;; amdgpu-corpus repo=ROCm/rocSPARSE kind=compiled arch=gfx950 opt=O3
	.amdgcn_target "amdgcn-amd-amdhsa--gfx950"
	.amdhsa_code_object_version 6
	.section	.text._ZN9rocsparseL42gtsv_transpose_and_pad_array_shared_kernelILj256ELj2EfEEviiiPKT1_PS1_S1_,"axG",@progbits,_ZN9rocsparseL42gtsv_transpose_and_pad_array_shared_kernelILj256ELj2EfEEviiiPKT1_PS1_S1_,comdat
	.globl	_ZN9rocsparseL42gtsv_transpose_and_pad_array_shared_kernelILj256ELj2EfEEviiiPKT1_PS1_S1_ ; -- Begin function _ZN9rocsparseL42gtsv_transpose_and_pad_array_shared_kernelILj256ELj2EfEEviiiPKT1_PS1_S1_
	.p2align	8
	.type	_ZN9rocsparseL42gtsv_transpose_and_pad_array_shared_kernelILj256ELj2EfEEviiiPKT1_PS1_S1_,@function
_ZN9rocsparseL42gtsv_transpose_and_pad_array_shared_kernelILj256ELj2EfEEviiiPKT1_PS1_S1_: ; @_ZN9rocsparseL42gtsv_transpose_and_pad_array_shared_kernelILj256ELj2EfEEviiiPKT1_PS1_S1_
; %bb.0:
	s_load_dwordx4 s[4:7], s[0:1], 0x0
	s_waitcnt lgkmcnt(0)
	s_load_dword s7, s[0:1], 0x20
	v_lshl_or_b32 v1, s2, 8, v0
	v_cmp_gt_i32_e32 vcc, s4, v1
	s_waitcnt lgkmcnt(0)
	v_mov_b32_e32 v4, s7
	s_and_saveexec_b64 s[8:9], vcc
	s_cbranch_execz .LBB0_2
; %bb.1:
	s_load_dwordx2 s[10:11], s[0:1], 0x10
	s_mul_i32 s4, s6, s3
	v_add_u32_e32 v2, s4, v1
	v_ashrrev_i32_e32 v3, 31, v2
	s_waitcnt lgkmcnt(0)
	v_lshl_add_u64 v[2:3], v[2:3], 2, s[10:11]
	global_load_dword v4, v[2:3], off
.LBB0_2:
	s_or_b64 exec, exec, s[8:9]
	v_lshrrev_b32_e32 v2, 7, v0
	v_and_b32_e32 v3, 0x7f, v0
	v_lshlrev_b32_e32 v0, 2, v0
	s_waitcnt vmcnt(0)
	ds_write_b32 v0, v4
	s_lshr_b32 s4, s5, 1
	v_lshl_or_b32 v0, s2, 7, v3
	v_mad_u64_u32 v[0:1], s[6:7], s4, v2, v[0:1]
	v_cmp_gt_i32_e32 vcc, s5, v0
	s_waitcnt lgkmcnt(0)
	s_barrier
	s_and_saveexec_b64 s[6:7], vcc
	s_cbranch_execz .LBB0_4
; %bb.3:
	v_lshlrev_b32_e32 v1, 2, v2
	s_load_dwordx2 s[0:1], s[0:1], 0x18
	v_lshl_or_b32 v1, v3, 3, v1
	ds_read_b32 v2, v1
	s_mul_i32 s2, s5, s3
	v_add_u32_e32 v0, s2, v0
	v_ashrrev_i32_e32 v1, 31, v0
	s_waitcnt lgkmcnt(0)
	v_lshl_add_u64 v[0:1], v[0:1], 2, s[0:1]
	global_store_dword v[0:1], v2, off
.LBB0_4:
	s_endpgm
	.section	.rodata,"a",@progbits
	.p2align	6, 0x0
	.amdhsa_kernel _ZN9rocsparseL42gtsv_transpose_and_pad_array_shared_kernelILj256ELj2EfEEviiiPKT1_PS1_S1_
		.amdhsa_group_segment_fixed_size 1024
		.amdhsa_private_segment_fixed_size 0
		.amdhsa_kernarg_size 36
		.amdhsa_user_sgpr_count 2
		.amdhsa_user_sgpr_dispatch_ptr 0
		.amdhsa_user_sgpr_queue_ptr 0
		.amdhsa_user_sgpr_kernarg_segment_ptr 1
		.amdhsa_user_sgpr_dispatch_id 0
		.amdhsa_user_sgpr_kernarg_preload_length 0
		.amdhsa_user_sgpr_kernarg_preload_offset 0
		.amdhsa_user_sgpr_private_segment_size 0
		.amdhsa_uses_dynamic_stack 0
		.amdhsa_enable_private_segment 0
		.amdhsa_system_sgpr_workgroup_id_x 1
		.amdhsa_system_sgpr_workgroup_id_y 1
		.amdhsa_system_sgpr_workgroup_id_z 0
		.amdhsa_system_sgpr_workgroup_info 0
		.amdhsa_system_vgpr_workitem_id 0
		.amdhsa_next_free_vgpr 5
		.amdhsa_next_free_sgpr 12
		.amdhsa_accum_offset 8
		.amdhsa_reserve_vcc 1
		.amdhsa_float_round_mode_32 0
		.amdhsa_float_round_mode_16_64 0
		.amdhsa_float_denorm_mode_32 3
		.amdhsa_float_denorm_mode_16_64 3
		.amdhsa_dx10_clamp 1
		.amdhsa_ieee_mode 1
		.amdhsa_fp16_overflow 0
		.amdhsa_tg_split 0
		.amdhsa_exception_fp_ieee_invalid_op 0
		.amdhsa_exception_fp_denorm_src 0
		.amdhsa_exception_fp_ieee_div_zero 0
		.amdhsa_exception_fp_ieee_overflow 0
		.amdhsa_exception_fp_ieee_underflow 0
		.amdhsa_exception_fp_ieee_inexact 0
		.amdhsa_exception_int_div_zero 0
	.end_amdhsa_kernel
	.section	.text._ZN9rocsparseL42gtsv_transpose_and_pad_array_shared_kernelILj256ELj2EfEEviiiPKT1_PS1_S1_,"axG",@progbits,_ZN9rocsparseL42gtsv_transpose_and_pad_array_shared_kernelILj256ELj2EfEEviiiPKT1_PS1_S1_,comdat
.Lfunc_end0:
	.size	_ZN9rocsparseL42gtsv_transpose_and_pad_array_shared_kernelILj256ELj2EfEEviiiPKT1_PS1_S1_, .Lfunc_end0-_ZN9rocsparseL42gtsv_transpose_and_pad_array_shared_kernelILj256ELj2EfEEviiiPKT1_PS1_S1_
                                        ; -- End function
	.set _ZN9rocsparseL42gtsv_transpose_and_pad_array_shared_kernelILj256ELj2EfEEviiiPKT1_PS1_S1_.num_vgpr, 5
	.set _ZN9rocsparseL42gtsv_transpose_and_pad_array_shared_kernelILj256ELj2EfEEviiiPKT1_PS1_S1_.num_agpr, 0
	.set _ZN9rocsparseL42gtsv_transpose_and_pad_array_shared_kernelILj256ELj2EfEEviiiPKT1_PS1_S1_.numbered_sgpr, 12
	.set _ZN9rocsparseL42gtsv_transpose_and_pad_array_shared_kernelILj256ELj2EfEEviiiPKT1_PS1_S1_.num_named_barrier, 0
	.set _ZN9rocsparseL42gtsv_transpose_and_pad_array_shared_kernelILj256ELj2EfEEviiiPKT1_PS1_S1_.private_seg_size, 0
	.set _ZN9rocsparseL42gtsv_transpose_and_pad_array_shared_kernelILj256ELj2EfEEviiiPKT1_PS1_S1_.uses_vcc, 1
	.set _ZN9rocsparseL42gtsv_transpose_and_pad_array_shared_kernelILj256ELj2EfEEviiiPKT1_PS1_S1_.uses_flat_scratch, 0
	.set _ZN9rocsparseL42gtsv_transpose_and_pad_array_shared_kernelILj256ELj2EfEEviiiPKT1_PS1_S1_.has_dyn_sized_stack, 0
	.set _ZN9rocsparseL42gtsv_transpose_and_pad_array_shared_kernelILj256ELj2EfEEviiiPKT1_PS1_S1_.has_recursion, 0
	.set _ZN9rocsparseL42gtsv_transpose_and_pad_array_shared_kernelILj256ELj2EfEEviiiPKT1_PS1_S1_.has_indirect_call, 0
	.section	.AMDGPU.csdata,"",@progbits
; Kernel info:
; codeLenInByte = 224
; TotalNumSgprs: 18
; NumVgprs: 5
; NumAgprs: 0
; TotalNumVgprs: 5
; ScratchSize: 0
; MemoryBound: 0
; FloatMode: 240
; IeeeMode: 1
; LDSByteSize: 1024 bytes/workgroup (compile time only)
; SGPRBlocks: 2
; VGPRBlocks: 0
; NumSGPRsForWavesPerEU: 18
; NumVGPRsForWavesPerEU: 5
; AccumOffset: 8
; Occupancy: 8
; WaveLimiterHint : 0
; COMPUTE_PGM_RSRC2:SCRATCH_EN: 0
; COMPUTE_PGM_RSRC2:USER_SGPR: 2
; COMPUTE_PGM_RSRC2:TRAP_HANDLER: 0
; COMPUTE_PGM_RSRC2:TGID_X_EN: 1
; COMPUTE_PGM_RSRC2:TGID_Y_EN: 1
; COMPUTE_PGM_RSRC2:TGID_Z_EN: 0
; COMPUTE_PGM_RSRC2:TIDIG_COMP_CNT: 0
; COMPUTE_PGM_RSRC3_GFX90A:ACCUM_OFFSET: 1
; COMPUTE_PGM_RSRC3_GFX90A:TG_SPLIT: 0
	.section	.text._ZN9rocsparseL18gtsv_LBM_wv_kernelILj256ELj2EfEEviiiPKT1_S3_S3_PS1_S4_S4_Pi,"axG",@progbits,_ZN9rocsparseL18gtsv_LBM_wv_kernelILj256ELj2EfEEviiiPKT1_S3_S3_PS1_S4_S4_Pi,comdat
	.globl	_ZN9rocsparseL18gtsv_LBM_wv_kernelILj256ELj2EfEEviiiPKT1_S3_S3_PS1_S4_S4_Pi ; -- Begin function _ZN9rocsparseL18gtsv_LBM_wv_kernelILj256ELj2EfEEviiiPKT1_S3_S3_PS1_S4_S4_Pi
	.p2align	8
	.type	_ZN9rocsparseL18gtsv_LBM_wv_kernelILj256ELj2EfEEviiiPKT1_S3_S3_PS1_S4_S4_Pi,@function
_ZN9rocsparseL18gtsv_LBM_wv_kernelILj256ELj2EfEEviiiPKT1_S3_S3_PS1_S4_S4_Pi: ; @_ZN9rocsparseL18gtsv_LBM_wv_kernelILj256ELj2EfEEviiiPKT1_S3_S3_PS1_S4_S4_Pi
; %bb.0:
	s_load_dword s25, s[0:1], 0x0
	v_lshl_or_b32 v0, s2, 8, v0
	s_waitcnt lgkmcnt(0)
	s_lshr_b32 s24, s25, 1
	v_cmp_gt_i32_e32 vcc, s24, v0
	s_and_saveexec_b64 s[2:3], vcc
	s_cbranch_execz .LBB1_26
; %bb.1:
	s_load_dwordx2 s[14:15], s[0:1], 0x10
	s_load_dwordx8 s[4:11], s[0:1], 0x20
	v_ashrrev_i32_e32 v1, 31, v0
	v_lshlrev_b64 v[4:5], 2, v[0:1]
	v_add_u32_e32 v2, s24, v0
	s_waitcnt lgkmcnt(0)
	v_lshl_add_u64 v[6:7], s[14:15], 0, v[4:5]
	v_mov_b32_e32 v3, 0
	global_load_dword v10, v[6:7], off
	v_lshlrev_b64 v[6:7], 2, v[2:3]
	v_lshl_add_u64 v[8:9], s[4:5], 0, v[6:7]
	global_load_dword v8, v[8:9], off
	s_load_dwordx2 s[12:13], s[0:1], 0x40
	v_lshl_add_u64 v[4:5], s[6:7], 0, v[4:5]
	v_lshl_add_u64 v[6:7], s[8:9], 0, v[6:7]
	s_cmp_lt_i32 s25, 1
	s_waitcnt vmcnt(1)
	global_store_dword v[4:5], v10, off
	s_waitcnt vmcnt(1)
	global_store_dword v[6:7], v8, off
	v_mov_b32_e32 v6, v3
	s_cbranch_scc1 .LBB1_19
; %bb.2:
	s_load_dwordx2 s[16:17], s[0:1], 0x18
	s_mov_b32 s20, 0x372fe950
	s_and_b32 s26, s25, 0x7ffffffe
	s_mov_b64 s[18:19], 0
	s_mov_b32 s21, 0x3fe3c6ef
	s_waitcnt lgkmcnt(0)
	v_lshl_add_u64 v[6:7], v[0:1], 2, s[16:17]
	global_load_dword v8, v[6:7], off
	v_mov_b32_e32 v6, 0
	v_mov_b32_e32 v1, 2
	;; [unrolled: 1-line block ×3, first 2 shown]
	s_branch .LBB1_5
.LBB1_3:                                ;   in Loop: Header=BB1_5 Depth=1
	s_or_b64 exec, exec, s[22:23]
	v_fma_f32 v7, -v8, v23, v10
	v_mov_b32_e32 v14, s24
.LBB1_4:                                ;   in Loop: Header=BB1_5 Depth=1
	s_or_b64 exec, exec, s[2:3]
	v_add_u32_e32 v6, v14, v6
	v_cmp_le_i32_e32 vcc, s25, v6
	s_or_b64 s[18:19], vcc, s[18:19]
	v_mov_b32_e32 v8, v7
	s_andn2_b64 exec, exec, s[18:19]
	s_cbranch_execz .LBB1_18
.LBB1_5:                                ; =>This Inner Loop Header: Depth=1
	v_add_u32_e32 v12, v6, v0
	v_ashrrev_i32_e32 v13, 31, v12
	v_lshl_add_u64 v[10:11], v[12:13], 2, s[4:5]
	global_load_dword v11, v[10:11], off
	v_cmp_gt_u32_e64 s[0:1], s24, v6
	v_mov_b32_e32 v9, 0
	s_and_saveexec_b64 s[2:3], s[0:1]
	s_cbranch_execz .LBB1_7
; %bb.6:                                ;   in Loop: Header=BB1_5 Depth=1
	v_add_u32_e32 v14, v2, v6
	v_ashrrev_i32_e32 v15, 31, v14
	v_lshl_add_u64 v[14:15], v[14:15], 2, s[14:15]
	global_load_dword v9, v[14:15], off
.LBB1_7:                                ;   in Loop: Header=BB1_5 Depth=1
	s_or_b64 exec, exec, s[2:3]
	v_mov_b32_e32 v22, 0
	v_mov_b32_e32 v10, 0
	s_and_saveexec_b64 s[2:3], s[0:1]
	s_cbranch_execz .LBB1_9
; %bb.8:                                ;   in Loop: Header=BB1_5 Depth=1
	v_add_u32_e32 v14, v2, v6
	v_ashrrev_i32_e32 v15, 31, v14
	v_lshl_add_u64 v[14:15], v[14:15], 2, s[16:17]
	global_load_dword v10, v[14:15], off
.LBB1_9:                                ;   in Loop: Header=BB1_5 Depth=1
	s_or_b64 exec, exec, s[2:3]
	s_and_saveexec_b64 s[2:3], s[0:1]
	s_cbranch_execz .LBB1_11
; %bb.10:                               ;   in Loop: Header=BB1_5 Depth=1
	v_add_u32_e32 v14, v2, v6
	v_ashrrev_i32_e32 v15, 31, v14
	v_lshl_add_u64 v[14:15], v[14:15], 2, s[4:5]
	global_load_dword v22, v[14:15], off
.LBB1_11:                               ;   in Loop: Header=BB1_5 Depth=1
	s_or_b64 exec, exec, s[2:3]
	s_waitcnt vmcnt(0)
	v_cmp_gt_f32_e32 vcc, 0, v9
	v_mul_f32_e32 v23, v11, v9
	v_cmp_ne_u32_e64 s[2:3], s24, v6
	v_cndmask_b32_e64 v7, v9, -v9, vcc
	v_cvt_f64_f32_e32 v[14:15], v7
	v_cmp_ngt_f64_e32 vcc, 0, v[14:15]
	s_nop 1
	v_cndmask_b32_e32 v15, 0, v15, vcc
	v_cndmask_b32_e32 v14, 0, v14, vcc
	v_cmp_gt_f32_e32 vcc, 0, v10
	s_nop 1
	v_cndmask_b32_e64 v7, v10, -v10, vcc
	v_cvt_f64_f32_e32 v[16:17], v7
	v_cmp_gt_f64_e32 vcc, v[14:15], v[16:17]
	s_nop 1
	v_cndmask_b32_e32 v15, v17, v15, vcc
	v_cndmask_b32_e32 v14, v16, v14, vcc
	v_cmp_gt_f32_e32 vcc, 0, v11
	s_nop 1
	v_cndmask_b32_e64 v7, v11, -v11, vcc
	v_cvt_f64_f32_e32 v[16:17], v7
	v_cmp_gt_f64_e32 vcc, v[14:15], v[16:17]
	;; [unrolled: 8-line block ×3, first 2 shown]
	s_nop 1
	v_cndmask_b32_e32 v15, v17, v15, vcc
	v_cndmask_b32_e32 v14, v16, v14, vcc
	v_cmp_gt_f32_e32 vcc, 0, v8
	s_nop 1
	v_cndmask_b32_e64 v7, v8, -v8, vcc
	v_cmp_gt_f32_e32 vcc, 0, v23
	v_cvt_f64_f32_e32 v[16:17], v7
	v_mul_f64 v[14:15], v[14:15], v[16:17]
	v_cndmask_b32_e64 v7, v23, -v23, vcc
	v_cvt_f64_f32_e32 v[16:17], v7
	v_mul_f64 v[16:17], v[16:17], s[20:21]
	v_cmp_nge_f64_e32 vcc, v[14:15], v[16:17]
	s_and_b64 s[2:3], s[2:3], vcc
	s_and_saveexec_b64 s[22:23], s[2:3]
	s_xor_b64 s[2:3], exec, s[22:23]
	s_cbranch_execz .LBB1_15
; %bb.12:                               ;   in Loop: Header=BB1_5 Depth=1
	v_add_u32_e32 v14, v2, v6
	v_ashrrev_i32_e32 v15, 31, v14
	v_ashrrev_i32_e32 v7, 31, v6
	v_lshlrev_b64 v[14:15], 2, v[14:15]
	v_lshl_add_u64 v[24:25], v[6:7], 2, v[4:5]
	v_lshl_add_u64 v[18:19], s[6:7], 0, v[14:15]
	v_lshlrev_b64 v[26:27], 2, v[12:13]
	global_load_dword v16, v[24:25], off
	global_load_dword v17, v[18:19], off
	v_lshl_add_u64 v[28:29], s[8:9], 0, v[26:27]
	v_lshl_add_u64 v[12:13], s[8:9], 0, v[14:15]
	global_load_dword v20, v[28:29], off
	global_load_dword v21, v[12:13], off
	v_fma_f32 v7, v8, v10, -v23
	v_div_scale_f32 v32, s[22:23], v7, v7, 1.0
	v_rcp_f32_e32 v33, v32
	v_div_scale_f32 v34, vcc, 1.0, v7, 1.0
	v_mul_f32_e64 v23, v22, -v11
	v_fma_f32 v35, -v32, v33, 1.0
	v_fmac_f32_e32 v33, v35, v33
	v_mul_f32_e32 v35, v34, v33
	v_fma_f32 v36, -v32, v35, v34
	v_fmac_f32_e32 v35, v36, v33
	v_fma_f32 v32, -v32, v35, v34
	v_div_fmas_f32 v32, v32, v33, v35
	v_div_fixup_f32 v7, v32, v7, 1.0
	v_lshl_add_u64 v[30:31], s[10:11], 0, v[26:27]
	v_mul_f32_e32 v23, v7, v23
	global_store_dword v[30:31], v23, off
	v_lshl_add_u64 v[26:27], s[12:13], 0, v[26:27]
	s_waitcnt vmcnt(3)
	v_pk_mul_f32 v[30:31], v[10:11], v[16:17]
	s_nop 0
	v_sub_f32_e32 v23, v30, v31
	s_waitcnt vmcnt(1)
	v_pk_mul_f32 v[10:11], v[10:11], v[20:21]
	s_nop 0
	v_sub_f32_e32 v10, v10, v11
	v_mul_f32_e32 v11, v7, v23
	v_mul_f32_e32 v10, v7, v10
	global_store_dword v[24:25], v11, off
	global_store_dword v[28:29], v10, off
	;; [unrolled: 1-line block ×3, first 2 shown]
	s_and_saveexec_b64 s[22:23], s[0:1]
	s_cbranch_execz .LBB1_14
; %bb.13:                               ;   in Loop: Header=BB1_5 Depth=1
	v_mov_b32_e32 v10, v17
	v_mov_b32_e32 v11, v16
	v_pk_mul_f32 v[10:11], v[8:9], v[10:11]
	s_nop 0
	v_sub_f32_e32 v10, v10, v11
	v_mul_f32_e32 v10, v7, v10
	global_store_dword v[18:19], v10, off
	v_mov_b32_e32 v10, v21
	v_mov_b32_e32 v11, v20
	v_pk_mul_f32 v[10:11], v[8:9], v[10:11]
	v_mul_f32_e32 v8, v8, v22
	v_sub_f32_e32 v9, v10, v11
	v_mul_f32_e32 v9, v7, v9
	global_store_dword v[12:13], v9, off
	v_mul_f32_e32 v7, v7, v8
	v_lshl_add_u64 v[8:9], s[10:11], 0, v[14:15]
	global_store_dword v[8:9], v7, off
	v_lshl_add_u64 v[8:9], s[12:13], 0, v[14:15]
	global_store_dword v[8:9], v1, off
.LBB1_14:                               ;   in Loop: Header=BB1_5 Depth=1
	s_or_b64 exec, exec, s[22:23]
                                        ; implicit-def: $vgpr23
                                        ; implicit-def: $vgpr10
                                        ; implicit-def: $vgpr8
                                        ; implicit-def: $vgpr12_vgpr13
.LBB1_15:                               ;   in Loop: Header=BB1_5 Depth=1
	s_or_saveexec_b64 s[2:3], s[2:3]
	v_mov_b32_e32 v7, 0
	v_mov_b32_e32 v14, s26
	s_xor_b64 exec, exec, s[2:3]
	s_cbranch_execz .LBB1_4
; %bb.16:                               ;   in Loop: Header=BB1_5 Depth=1
	v_ashrrev_i32_e32 v7, 31, v6
	v_lshl_add_u64 v[14:15], v[6:7], 2, v[4:5]
	v_lshlrev_b64 v[12:13], 2, v[12:13]
	global_load_dword v7, v[14:15], off
	v_lshl_add_u64 v[16:17], s[8:9], 0, v[12:13]
	global_load_dword v20, v[16:17], off
	v_div_scale_f32 v21, s[22:23], v8, v8, 1.0
	v_rcp_f32_e32 v22, v21
	v_div_scale_f32 v24, vcc, 1.0, v8, 1.0
	v_lshl_add_u64 v[18:19], s[10:11], 0, v[12:13]
	v_fma_f32 v25, -v21, v22, 1.0
	v_fmac_f32_e32 v22, v25, v22
	v_mul_f32_e32 v25, v24, v22
	v_fma_f32 v26, -v21, v25, v24
	v_fmac_f32_e32 v25, v26, v22
	v_fma_f32 v21, -v21, v25, v24
	v_div_fmas_f32 v21, v21, v22, v25
	v_div_fixup_f32 v8, v21, v8, 1.0
	v_mul_f32_e32 v11, v8, v11
	global_store_dword v[18:19], v11, off
	v_lshl_add_u64 v[12:13], s[12:13], 0, v[12:13]
	s_waitcnt vmcnt(2)
	v_mul_f32_e32 v11, v8, v7
	s_waitcnt vmcnt(1)
	v_mul_f32_e32 v18, v8, v20
	global_store_dword v[14:15], v11, off
	global_store_dword v[16:17], v18, off
	;; [unrolled: 1-line block ×3, first 2 shown]
	s_and_saveexec_b64 s[22:23], s[0:1]
	s_cbranch_execz .LBB1_3
; %bb.17:                               ;   in Loop: Header=BB1_5 Depth=1
	v_add_u32_e32 v12, v2, v6
	v_ashrrev_i32_e32 v13, 31, v12
	v_lshl_add_u64 v[12:13], v[12:13], 2, s[6:7]
	global_load_dword v11, v[12:13], off
	v_mul_f32_e32 v9, v9, v8
	s_waitcnt vmcnt(0)
	v_fma_f32 v7, -v9, v7, v11
	global_store_dword v[12:13], v7, off
	s_branch .LBB1_3
.LBB1_18:
	s_or_b64 exec, exec, s[18:19]
.LBB1_19:
	v_subrev_u32_e32 v1, s24, v6
	v_add_u32_e32 v6, v1, v0
	v_ashrrev_i32_e32 v7, 31, v6
	s_waitcnt lgkmcnt(0)
	v_lshl_add_u64 v[6:7], v[6:7], 2, s[12:13]
	buffer_wbl2 sc1
	s_waitcnt vmcnt(0)
	buffer_inv sc1
	global_load_dword v3, v[6:7], off
	s_waitcnt vmcnt(0)
	v_mul_lo_u32 v3, v3, s24
	v_sub_u32_e32 v6, v1, v3
	v_cmp_lt_i32_e32 vcc, -1, v6
	s_and_b64 exec, exec, vcc
	s_cbranch_execz .LBB1_26
; %bb.20:
	v_subrev_u32_e32 v1, s24, v0
	s_and_b32 s4, s25, -2
	s_mov_b64 s[0:1], 0
	s_branch .LBB1_22
.LBB1_21:                               ;   in Loop: Header=BB1_22 Depth=1
	s_or_b64 exec, exec, s[2:3]
	v_sub_u32_e32 v6, v6, v7
	v_cmp_gt_i32_e32 vcc, 0, v6
	s_or_b64 s[0:1], vcc, s[0:1]
	s_andn2_b64 exec, exec, s[0:1]
	s_cbranch_execz .LBB1_26
.LBB1_22:                               ; =>This Inner Loop Header: Depth=1
	v_add_u32_e32 v8, v6, v0
	v_ashrrev_i32_e32 v9, 31, v8
	v_lshlrev_b64 v[10:11], 2, v[8:9]
	v_lshl_add_u64 v[12:13], s[12:13], 0, v[10:11]
	global_load_dword v7, v[12:13], off
	v_lshl_add_u64 v[10:11], s[10:11], 0, v[10:11]
	global_load_dword v3, v[10:11], off
	s_waitcnt vmcnt(1)
	v_cmp_ne_u32_e32 vcc, 1, v7
	s_and_saveexec_b64 s[2:3], vcc
	s_xor_b64 s[2:3], exec, s[2:3]
	s_cbranch_execz .LBB1_24
; %bb.23:                               ;   in Loop: Header=BB1_22 Depth=1
	v_add_u32_e32 v10, v2, v6
	v_ashrrev_i32_e32 v11, 31, v10
	v_lshlrev_b64 v[10:11], 2, v[10:11]
	v_lshl_add_u64 v[12:13], s[6:7], 0, v[10:11]
	v_ashrrev_i32_e32 v7, 31, v6
	v_lshl_add_u64 v[14:15], v[6:7], 2, v[4:5]
	global_load_dword v7, v[12:13], off
	global_load_dword v22, v[14:15], off
	v_lshl_add_u64 v[10:11], s[8:9], 0, v[10:11]
	v_lshl_add_u64 v[8:9], v[8:9], 2, s[8:9]
	global_load_dword v23, v[10:11], off
	global_load_dword v24, v[8:9], off
	v_add_u32_e32 v16, v1, v6
	v_ashrrev_i32_e32 v17, 31, v16
	v_lshlrev_b64 v[16:17], 2, v[16:17]
	v_lshl_add_u64 v[18:19], s[10:11], 0, v[16:17]
	global_load_dword v18, v[18:19], off
	v_lshl_add_u64 v[20:21], s[6:7], 0, v[16:17]
	v_lshl_add_u64 v[16:17], s[8:9], 0, v[16:17]
	s_waitcnt vmcnt(3)
	v_fma_f32 v7, -v3, v7, v22
	s_waitcnt vmcnt(1)
	v_fma_f32 v3, -v3, v23, v24
	global_store_dword v[14:15], v7, off
	global_store_dword v[8:9], v3, off
	global_load_dword v3, v[12:13], off
	s_nop 0
	global_load_dword v7, v[20:21], off
	global_load_dword v8, v[10:11], off
	;; [unrolled: 1-line block ×3, first 2 shown]
	s_waitcnt vmcnt(2)
	v_fma_f32 v3, -v18, v3, v7
	s_waitcnt vmcnt(0)
	v_fma_f32 v7, -v18, v8, v9
	global_store_dword v[20:21], v3, off
	global_store_dword v[16:17], v7, off
                                        ; implicit-def: $vgpr3
                                        ; implicit-def: $vgpr8_vgpr9
.LBB1_24:                               ;   in Loop: Header=BB1_22 Depth=1
	s_or_saveexec_b64 s[2:3], s[2:3]
	v_mov_b32_e32 v7, s4
	s_xor_b64 exec, exec, s[2:3]
	s_cbranch_execz .LBB1_21
; %bb.25:                               ;   in Loop: Header=BB1_22 Depth=1
	v_add_u32_e32 v10, v2, v6
	v_ashrrev_i32_e32 v11, 31, v10
	v_lshlrev_b64 v[10:11], 2, v[10:11]
	v_lshl_add_u64 v[12:13], s[6:7], 0, v[10:11]
	v_ashrrev_i32_e32 v7, 31, v6
	v_lshl_add_u64 v[14:15], v[6:7], 2, v[4:5]
	global_load_dword v7, v[12:13], off
	global_load_dword v16, v[14:15], off
	v_lshl_add_u64 v[10:11], s[8:9], 0, v[10:11]
	v_lshl_add_u64 v[8:9], v[8:9], 2, s[8:9]
	global_load_dword v12, v[10:11], off
	global_load_dword v13, v[8:9], off
	s_waitcnt vmcnt(2)
	v_fma_f32 v7, -v3, v7, v16
	s_waitcnt vmcnt(0)
	v_fma_f32 v3, -v3, v12, v13
	global_store_dword v[14:15], v7, off
	global_store_dword v[8:9], v3, off
	v_mov_b32_e32 v7, s24
	s_branch .LBB1_21
.LBB1_26:
	s_endpgm
	.section	.rodata,"a",@progbits
	.p2align	6, 0x0
	.amdhsa_kernel _ZN9rocsparseL18gtsv_LBM_wv_kernelILj256ELj2EfEEviiiPKT1_S3_S3_PS1_S4_S4_Pi
		.amdhsa_group_segment_fixed_size 0
		.amdhsa_private_segment_fixed_size 0
		.amdhsa_kernarg_size 72
		.amdhsa_user_sgpr_count 2
		.amdhsa_user_sgpr_dispatch_ptr 0
		.amdhsa_user_sgpr_queue_ptr 0
		.amdhsa_user_sgpr_kernarg_segment_ptr 1
		.amdhsa_user_sgpr_dispatch_id 0
		.amdhsa_user_sgpr_kernarg_preload_length 0
		.amdhsa_user_sgpr_kernarg_preload_offset 0
		.amdhsa_user_sgpr_private_segment_size 0
		.amdhsa_uses_dynamic_stack 0
		.amdhsa_enable_private_segment 0
		.amdhsa_system_sgpr_workgroup_id_x 1
		.amdhsa_system_sgpr_workgroup_id_y 0
		.amdhsa_system_sgpr_workgroup_id_z 0
		.amdhsa_system_sgpr_workgroup_info 0
		.amdhsa_system_vgpr_workitem_id 0
		.amdhsa_next_free_vgpr 37
		.amdhsa_next_free_sgpr 27
		.amdhsa_accum_offset 40
		.amdhsa_reserve_vcc 1
		.amdhsa_float_round_mode_32 0
		.amdhsa_float_round_mode_16_64 0
		.amdhsa_float_denorm_mode_32 3
		.amdhsa_float_denorm_mode_16_64 3
		.amdhsa_dx10_clamp 1
		.amdhsa_ieee_mode 1
		.amdhsa_fp16_overflow 0
		.amdhsa_tg_split 0
		.amdhsa_exception_fp_ieee_invalid_op 0
		.amdhsa_exception_fp_denorm_src 0
		.amdhsa_exception_fp_ieee_div_zero 0
		.amdhsa_exception_fp_ieee_overflow 0
		.amdhsa_exception_fp_ieee_underflow 0
		.amdhsa_exception_fp_ieee_inexact 0
		.amdhsa_exception_int_div_zero 0
	.end_amdhsa_kernel
	.section	.text._ZN9rocsparseL18gtsv_LBM_wv_kernelILj256ELj2EfEEviiiPKT1_S3_S3_PS1_S4_S4_Pi,"axG",@progbits,_ZN9rocsparseL18gtsv_LBM_wv_kernelILj256ELj2EfEEviiiPKT1_S3_S3_PS1_S4_S4_Pi,comdat
.Lfunc_end1:
	.size	_ZN9rocsparseL18gtsv_LBM_wv_kernelILj256ELj2EfEEviiiPKT1_S3_S3_PS1_S4_S4_Pi, .Lfunc_end1-_ZN9rocsparseL18gtsv_LBM_wv_kernelILj256ELj2EfEEviiiPKT1_S3_S3_PS1_S4_S4_Pi
                                        ; -- End function
	.set _ZN9rocsparseL18gtsv_LBM_wv_kernelILj256ELj2EfEEviiiPKT1_S3_S3_PS1_S4_S4_Pi.num_vgpr, 37
	.set _ZN9rocsparseL18gtsv_LBM_wv_kernelILj256ELj2EfEEviiiPKT1_S3_S3_PS1_S4_S4_Pi.num_agpr, 0
	.set _ZN9rocsparseL18gtsv_LBM_wv_kernelILj256ELj2EfEEviiiPKT1_S3_S3_PS1_S4_S4_Pi.numbered_sgpr, 27
	.set _ZN9rocsparseL18gtsv_LBM_wv_kernelILj256ELj2EfEEviiiPKT1_S3_S3_PS1_S4_S4_Pi.num_named_barrier, 0
	.set _ZN9rocsparseL18gtsv_LBM_wv_kernelILj256ELj2EfEEviiiPKT1_S3_S3_PS1_S4_S4_Pi.private_seg_size, 0
	.set _ZN9rocsparseL18gtsv_LBM_wv_kernelILj256ELj2EfEEviiiPKT1_S3_S3_PS1_S4_S4_Pi.uses_vcc, 1
	.set _ZN9rocsparseL18gtsv_LBM_wv_kernelILj256ELj2EfEEviiiPKT1_S3_S3_PS1_S4_S4_Pi.uses_flat_scratch, 0
	.set _ZN9rocsparseL18gtsv_LBM_wv_kernelILj256ELj2EfEEviiiPKT1_S3_S3_PS1_S4_S4_Pi.has_dyn_sized_stack, 0
	.set _ZN9rocsparseL18gtsv_LBM_wv_kernelILj256ELj2EfEEviiiPKT1_S3_S3_PS1_S4_S4_Pi.has_recursion, 0
	.set _ZN9rocsparseL18gtsv_LBM_wv_kernelILj256ELj2EfEEviiiPKT1_S3_S3_PS1_S4_S4_Pi.has_indirect_call, 0
	.section	.AMDGPU.csdata,"",@progbits
; Kernel info:
; codeLenInByte = 1928
; TotalNumSgprs: 33
; NumVgprs: 37
; NumAgprs: 0
; TotalNumVgprs: 37
; ScratchSize: 0
; MemoryBound: 0
; FloatMode: 240
; IeeeMode: 1
; LDSByteSize: 0 bytes/workgroup (compile time only)
; SGPRBlocks: 4
; VGPRBlocks: 4
; NumSGPRsForWavesPerEU: 33
; NumVGPRsForWavesPerEU: 37
; AccumOffset: 40
; Occupancy: 8
; WaveLimiterHint : 0
; COMPUTE_PGM_RSRC2:SCRATCH_EN: 0
; COMPUTE_PGM_RSRC2:USER_SGPR: 2
; COMPUTE_PGM_RSRC2:TRAP_HANDLER: 0
; COMPUTE_PGM_RSRC2:TGID_X_EN: 1
; COMPUTE_PGM_RSRC2:TGID_Y_EN: 0
; COMPUTE_PGM_RSRC2:TGID_Z_EN: 0
; COMPUTE_PGM_RSRC2:TIDIG_COMP_CNT: 0
; COMPUTE_PGM_RSRC3_GFX90A:ACCUM_OFFSET: 9
; COMPUTE_PGM_RSRC3_GFX90A:TG_SPLIT: 0
	.section	.text._ZN9rocsparseL19gtsv_LBM_rhs_kernelILj256ELj2ELj8EfEEviiiPKT2_S3_S3_PS1_S3_PKi,"axG",@progbits,_ZN9rocsparseL19gtsv_LBM_rhs_kernelILj256ELj2ELj8EfEEviiiPKT2_S3_S3_PS1_S3_PKi,comdat
	.globl	_ZN9rocsparseL19gtsv_LBM_rhs_kernelILj256ELj2ELj8EfEEviiiPKT2_S3_S3_PS1_S3_PKi ; -- Begin function _ZN9rocsparseL19gtsv_LBM_rhs_kernelILj256ELj2ELj8EfEEviiiPKT2_S3_S3_PS1_S3_PKi
	.p2align	8
	.type	_ZN9rocsparseL19gtsv_LBM_rhs_kernelILj256ELj2ELj8EfEEviiiPKT2_S3_S3_PS1_S3_PKi,@function
_ZN9rocsparseL19gtsv_LBM_rhs_kernelILj256ELj2ELj8EfEEviiiPKT2_S3_S3_PS1_S3_PKi: ; @_ZN9rocsparseL19gtsv_LBM_rhs_kernelILj256ELj2ELj8EfEEviiiPKT2_S3_S3_PS1_S3_PKi
; %bb.0:
	s_load_dword s21, s[0:1], 0x0
	v_lshl_or_b32 v0, s2, 8, v0
	s_waitcnt lgkmcnt(0)
	s_lshr_b32 s20, s21, 1
	v_cmp_gt_i32_e32 vcc, s20, v0
	s_and_saveexec_b64 s[4:5], vcc
	s_cbranch_execz .LBB2_23
; %bb.1:
	s_load_dwordx4 s[4:7], s[0:1], 0x28
	s_load_dwordx2 s[12:13], s[0:1], 0x38
	s_cmp_lt_i32 s21, 1
	v_add_u32_e32 v20, s20, v0
	s_mul_i32 s22, s3, s21
	s_cbranch_scc1 .LBB2_15
; %bb.2:
	s_load_dwordx4 s[8:11], s[0:1], 0x10
	s_load_dwordx2 s[14:15], s[0:1], 0x20
	v_ashrrev_i32_e32 v1, 31, v0
	s_lshl_b32 s23, s22, 3
	s_add_i32 s24, s23, s21
	s_waitcnt lgkmcnt(0)
	v_lshl_add_u64 v[2:3], v[0:1], 2, s[10:11]
	global_load_dword v23, v[2:3], off
	s_add_i32 s25, s24, s21
	s_add_i32 s26, s25, s21
	;; [unrolled: 1-line block ×6, first 2 shown]
	s_and_b32 s31, s21, 0x7ffffffe
	v_mov_b32_e32 v3, 0
	s_mov_b64 s[16:17], 0
	v_mov_b32_e32 v1, 0
	s_branch .LBB2_5
.LBB2_3:                                ;   in Loop: Header=BB2_5 Depth=1
	s_or_b64 exec, exec, s[18:19]
	v_fma_f32 v2, -v23, v25, v22
	v_mov_b32_e32 v24, s20
.LBB2_4:                                ;   in Loop: Header=BB2_5 Depth=1
	s_or_b64 exec, exec, s[2:3]
	v_add_u32_e32 v1, v24, v1
	v_cmp_le_i32_e32 vcc, s21, v1
	s_or_b64 s[16:17], vcc, s[16:17]
	v_mov_b32_e32 v23, v2
	s_andn2_b64 exec, exec, s[16:17]
	s_cbranch_execz .LBB2_14
.LBB2_5:                                ; =>This Inner Loop Header: Depth=1
	v_add_u32_e32 v18, v1, v0
	v_ashrrev_i32_e32 v19, 31, v18
	v_lshl_add_u64 v[4:5], v[18:19], 2, s[14:15]
	global_load_dword v24, v[4:5], off
	v_cmp_gt_u32_e64 s[0:1], s20, v1
	v_mov_b32_e32 v21, 0
	s_and_saveexec_b64 s[2:3], s[0:1]
	s_cbranch_execz .LBB2_7
; %bb.6:                                ;   in Loop: Header=BB2_5 Depth=1
	v_add_u32_e32 v4, v20, v1
	v_ashrrev_i32_e32 v5, 31, v4
	v_lshl_add_u64 v[4:5], v[4:5], 2, s[8:9]
	global_load_dword v21, v[4:5], off
.LBB2_7:                                ;   in Loop: Header=BB2_5 Depth=1
	s_or_b64 exec, exec, s[2:3]
	v_mov_b32_e32 v22, 0
	s_and_saveexec_b64 s[2:3], s[0:1]
	s_cbranch_execz .LBB2_9
; %bb.8:                                ;   in Loop: Header=BB2_5 Depth=1
	v_add_u32_e32 v4, v20, v1
	v_ashrrev_i32_e32 v5, 31, v4
	v_lshl_add_u64 v[4:5], v[4:5], 2, s[10:11]
	global_load_dword v22, v[4:5], off
.LBB2_9:                                ;   in Loop: Header=BB2_5 Depth=1
	s_or_b64 exec, exec, s[2:3]
	v_add_u32_e32 v2, s23, v18
	v_lshl_add_u64 v[4:5], v[18:19], 2, s[12:13]
	v_lshl_add_u64 v[16:17], v[2:3], 2, s[4:5]
	v_add_u32_e32 v2, s24, v18
	global_load_dword v25, v[4:5], off
	v_lshl_add_u64 v[4:5], v[2:3], 2, s[4:5]
	v_add_u32_e32 v2, s25, v18
	v_lshl_add_u64 v[6:7], v[2:3], 2, s[4:5]
	v_add_u32_e32 v2, s26, v18
	;; [unrolled: 2-line block ×6, first 2 shown]
	v_lshl_add_u64 v[18:19], v[2:3], 2, s[4:5]
	global_load_dword v26, v[16:17], off
	global_load_dword v27, v[4:5], off
	;; [unrolled: 1-line block ×8, first 2 shown]
	v_cmp_ne_u32_e64 s[2:3], s20, v1
	s_waitcnt vmcnt(8)
	v_cmp_ne_u32_e32 vcc, 1, v25
	s_and_b64 s[2:3], s[2:3], vcc
	v_mul_f32_e32 v25, v24, v21
	s_and_saveexec_b64 s[18:19], s[2:3]
	s_xor_b64 s[2:3], exec, s[18:19]
	s_cbranch_execz .LBB2_11
; %bb.10:                               ;   in Loop: Header=BB2_5 Depth=1
	v_fma_f32 v25, v23, v22, -v25
	v_div_scale_f32 v48, s[18:19], v25, v25, 1.0
	v_rcp_f32_e32 v50, v48
	v_add_u32_e32 v49, v20, v1
	v_add_u32_e32 v2, s23, v49
	v_lshl_add_u64 v[34:35], v[2:3], 2, s[4:5]
	v_fma_f32 v2, -v48, v50, 1.0
	global_load_dword v51, v[34:35], off
	v_fmac_f32_e32 v50, v2, v50
	v_add_u32_e32 v2, s24, v49
	v_lshl_add_u64 v[36:37], v[2:3], 2, s[4:5]
	v_add_u32_e32 v2, s25, v49
	v_lshl_add_u64 v[38:39], v[2:3], 2, s[4:5]
	v_add_u32_e32 v2, s26, v49
	global_load_dword v52, v[36:37], off
	global_load_dword v53, v[38:39], off
	v_lshl_add_u64 v[40:41], v[2:3], 2, s[4:5]
	v_add_u32_e32 v2, s27, v49
	v_div_scale_f32 v56, vcc, 1.0, v25, 1.0
	v_lshl_add_u64 v[42:43], v[2:3], 2, s[4:5]
	v_mul_f32_e32 v57, v56, v50
	v_add_u32_e32 v2, s28, v49
	global_load_dword v54, v[40:41], off
	global_load_dword v55, v[42:43], off
	v_lshl_add_u64 v[44:45], v[2:3], 2, s[4:5]
	v_fma_f32 v2, -v48, v57, v56
	v_fmac_f32_e32 v57, v2, v50
	v_add_u32_e32 v2, s29, v49
	global_load_dword v58, v[44:45], off
	v_lshl_add_u64 v[46:47], v[2:3], 2, s[4:5]
	v_add_u32_e32 v2, s30, v49
	global_load_dword v59, v[46:47], off
	v_fma_f32 v56, -v48, v57, v56
	v_lshl_add_u64 v[48:49], v[2:3], 2, s[4:5]
	global_load_dword v2, v[48:49], off
	v_div_fmas_f32 v50, v56, v50, v57
	v_div_fixup_f32 v25, v50, v25, 1.0
	s_waitcnt vmcnt(15)
	v_mul_f32_e32 v26, v25, v26
	v_mul_f32_e32 v50, v21, v26
	s_waitcnt vmcnt(14)
	v_mul_f32_e32 v27, v25, v27
	s_waitcnt vmcnt(13)
	v_mul_f32_e32 v28, v25, v28
	v_mul_f32_e32 v56, v21, v27
	s_waitcnt vmcnt(12)
	v_mul_f32_e32 v29, v25, v29
	s_waitcnt vmcnt(11)
	;; [unrolled: 2-line block ×6, first 2 shown]
	v_mul_f32_e32 v51, v25, v51
	v_mul_f32_e32 v57, v24, v51
	v_fma_f32 v26, v22, v26, -v57
	global_store_dword v[16:17], v26, off
	v_fma_f32 v50, v23, v51, -v50
	v_mul_f32_e32 v57, v21, v28
	v_mul_f32_e32 v16, v21, v29
	s_waitcnt vmcnt(7)
	v_mul_f32_e32 v26, v25, v52
	s_waitcnt vmcnt(6)
	v_mul_f32_e32 v51, v25, v53
	v_mul_f32_e32 v52, v24, v26
	v_fma_f32 v27, v22, v27, -v52
	v_mul_f32_e32 v52, v24, v51
	global_store_dword v[4:5], v27, off
	v_fma_f32 v4, v22, v28, -v52
	global_store_dword v[6:7], v4, off
	v_mul_f32_e32 v17, v21, v30
	s_waitcnt vmcnt(7)
	v_mul_f32_e32 v53, v25, v54
	s_waitcnt vmcnt(6)
	v_mul_f32_e32 v54, v25, v55
	v_mul_f32_e32 v5, v24, v53
	v_fma_f32 v4, v22, v29, -v5
	v_mul_f32_e32 v5, v24, v54
	global_store_dword v[8:9], v4, off
	s_waitcnt vmcnt(6)
	v_mul_f32_e32 v27, v25, v58
	v_fma_f32 v4, v22, v30, -v5
	v_mul_f32_e32 v5, v24, v27
	s_waitcnt vmcnt(5)
	v_mul_f32_e32 v7, v25, v59
	global_store_dword v[10:11], v4, off
	v_fma_f32 v4, v22, v31, -v5
	s_waitcnt vmcnt(5)
	v_mul_f32_e32 v2, v25, v2
	v_mul_f32_e32 v5, v24, v7
	global_store_dword v[12:13], v4, off
	v_fma_f32 v4, v22, v32, -v5
	v_mul_f32_e32 v5, v24, v2
	global_store_dword v[14:15], v4, off
	v_fma_f32 v4, v22, v33, -v5
	v_fma_f32 v26, v23, v26, -v56
	;; [unrolled: 1-line block ×5, first 2 shown]
	global_store_dword v[18:19], v4, off
	global_store_dword v[34:35], v50, off
	;; [unrolled: 1-line block ×6, first 2 shown]
	v_mul_f32_e32 v4, v21, v31
	v_fma_f32 v4, v23, v27, -v4
	global_store_dword v[44:45], v4, off
	v_mul_f32_e32 v4, v21, v32
	v_fma_f32 v4, v23, v7, -v4
	global_store_dword v[46:47], v4, off
	v_mul_f32_e32 v4, v21, v33
	v_fma_f32 v2, v23, v2, -v4
	global_store_dword v[48:49], v2, off
                                        ; implicit-def: $vgpr23
                                        ; implicit-def: $vgpr21
                                        ; implicit-def: $vgpr22
                                        ; implicit-def: $vgpr25
                                        ; implicit-def: $vgpr16_vgpr17
                                        ; implicit-def: $vgpr26
                                        ; implicit-def: $vgpr4_vgpr5
                                        ; implicit-def: $vgpr27
                                        ; implicit-def: $vgpr6_vgpr7
                                        ; implicit-def: $vgpr28
                                        ; implicit-def: $vgpr8_vgpr9
                                        ; implicit-def: $vgpr29
                                        ; implicit-def: $vgpr10_vgpr11
                                        ; implicit-def: $vgpr30
                                        ; implicit-def: $vgpr12_vgpr13
                                        ; implicit-def: $vgpr31
                                        ; implicit-def: $vgpr14_vgpr15
                                        ; implicit-def: $vgpr32
                                        ; implicit-def: $vgpr18_vgpr19
                                        ; implicit-def: $vgpr33
.LBB2_11:                               ;   in Loop: Header=BB2_5 Depth=1
	s_or_saveexec_b64 s[2:3], s[2:3]
	v_mov_b32_e32 v2, 0
	v_mov_b32_e32 v24, s31
	s_xor_b64 exec, exec, s[2:3]
	s_cbranch_execz .LBB2_4
; %bb.12:                               ;   in Loop: Header=BB2_5 Depth=1
	v_div_scale_f32 v2, s[18:19], v23, v23, 1.0
	v_rcp_f32_e32 v24, v2
	v_div_scale_f32 v34, vcc, 1.0, v23, 1.0
	v_fma_f32 v35, -v2, v24, 1.0
	v_fmac_f32_e32 v24, v35, v24
	v_mul_f32_e32 v35, v34, v24
	v_fma_f32 v36, -v2, v35, v34
	v_fmac_f32_e32 v35, v36, v24
	v_fma_f32 v2, -v2, v35, v34
	v_div_fmas_f32 v2, v2, v24, v35
	v_div_fixup_f32 v23, v2, v23, 1.0
	s_waitcnt vmcnt(7)
	v_mul_f32_e32 v36, v23, v26
	s_waitcnt vmcnt(6)
	v_mul_f32_e32 v35, v23, v27
	;; [unrolled: 2-line block ×8, first 2 shown]
	global_store_dword v[16:17], v36, off
	global_store_dword v[4:5], v35, off
	;; [unrolled: 1-line block ×8, first 2 shown]
	s_and_saveexec_b64 s[18:19], s[0:1]
	s_cbranch_execz .LBB2_3
; %bb.13:                               ;   in Loop: Header=BB2_5 Depth=1
	v_add_u32_e32 v12, v20, v1
	v_add_u32_e32 v2, s23, v12
	v_lshl_add_u64 v[4:5], v[2:3], 2, s[4:5]
	global_load_dword v10, v[4:5], off
	v_add_u32_e32 v2, s24, v12
	v_lshl_add_u64 v[6:7], v[2:3], 2, s[4:5]
	v_add_u32_e32 v2, s25, v12
	global_load_dword v13, v[6:7], off
	v_lshl_add_u64 v[8:9], v[2:3], 2, s[4:5]
	s_waitcnt vmcnt(1)
	v_fma_f32 v2, -v21, v36, v10
	global_store_dword v[4:5], v2, off
	global_load_dword v14, v[8:9], off
	v_add_u32_e32 v2, s26, v12
	v_lshl_add_u64 v[4:5], v[2:3], 2, s[4:5]
	v_add_u32_e32 v2, s27, v12
	v_lshl_add_u64 v[10:11], v[2:3], 2, s[4:5]
	s_waitcnt vmcnt(2)
	v_fma_f32 v2, -v21, v35, v13
	global_store_dword v[6:7], v2, off
	global_load_dword v13, v[4:5], off
	s_waitcnt vmcnt(2)
	v_fma_f32 v2, -v21, v34, v14
	global_store_dword v[8:9], v2, off
	global_load_dword v8, v[10:11], off
	v_add_u32_e32 v2, s28, v12
	v_lshl_add_u64 v[6:7], v[2:3], 2, s[4:5]
	s_waitcnt vmcnt(2)
	v_fma_f32 v2, -v21, v29, v13
	global_store_dword v[4:5], v2, off
	s_waitcnt vmcnt(1)
	v_fma_f32 v2, -v21, v28, v8
	global_store_dword v[10:11], v2, off
	global_load_dword v8, v[6:7], off
	v_add_u32_e32 v2, s29, v12
	v_lshl_add_u64 v[4:5], v[2:3], 2, s[4:5]
	s_waitcnt vmcnt(0)
	v_fma_f32 v2, -v21, v27, v8
	global_store_dword v[6:7], v2, off
	global_load_dword v6, v[4:5], off
	v_add_u32_e32 v2, s30, v12
	s_waitcnt vmcnt(0)
	v_fma_f32 v6, -v21, v26, v6
	global_store_dword v[4:5], v6, off
	v_lshl_add_u64 v[4:5], v[2:3], 2, s[4:5]
	global_load_dword v2, v[4:5], off
	s_waitcnt vmcnt(0)
	v_fma_f32 v2, -v21, v24, v2
	global_store_dword v[4:5], v2, off
	s_branch .LBB2_3
.LBB2_14:
	s_or_b64 exec, exec, s[16:17]
	s_branch .LBB2_16
.LBB2_15:
	v_mov_b32_e32 v1, 0
.LBB2_16:
	v_subrev_u32_e32 v1, s20, v1
	v_add_u32_e32 v2, v1, v0
	v_ashrrev_i32_e32 v3, 31, v2
	s_waitcnt lgkmcnt(0)
	v_lshl_add_u64 v[2:3], v[2:3], 2, s[12:13]
	buffer_wbl2 sc1
	s_waitcnt vmcnt(0)
	buffer_inv sc1
	global_load_dword v2, v[2:3], off
	s_waitcnt vmcnt(0)
	v_mul_lo_u32 v2, v2, s20
	v_sub_u32_e32 v1, v1, v2
	v_cmp_lt_i32_e32 vcc, -1, v1
	s_and_b64 exec, exec, vcc
	s_cbranch_execz .LBB2_23
; %bb.17:
	s_lshl_b32 s8, s22, 3
	s_add_i32 s9, s8, s21
	s_add_i32 s10, s9, s21
	;; [unrolled: 1-line block ×7, first 2 shown]
	s_and_b32 s18, s21, -2
	s_mov_b64 s[0:1], 0
	v_mov_b32_e32 v3, 0
	s_branch .LBB2_19
.LBB2_18:                               ;   in Loop: Header=BB2_19 Depth=1
	s_or_b64 exec, exec, s[2:3]
	v_sub_u32_e32 v1, v1, v2
	v_cmp_gt_i32_e32 vcc, 0, v1
	s_or_b64 s[0:1], vcc, s[0:1]
	s_andn2_b64 exec, exec, s[0:1]
	s_cbranch_execz .LBB2_23
.LBB2_19:                               ; =>This Inner Loop Header: Depth=1
	v_add_u32_e32 v4, v1, v0
	s_waitcnt vmcnt(0)
	v_ashrrev_i32_e32 v5, 31, v4
	v_lshlrev_b64 v[6:7], 2, v[4:5]
	v_lshl_add_u64 v[8:9], s[12:13], 0, v[6:7]
	global_load_dword v2, v[8:9], off
	v_lshl_add_u64 v[6:7], s[6:7], 0, v[6:7]
	global_load_dword v5, v[6:7], off
	s_waitcnt vmcnt(1)
	v_cmp_ne_u32_e32 vcc, 1, v2
	s_and_saveexec_b64 s[2:3], vcc
	s_xor_b64 s[2:3], exec, s[2:3]
	s_cbranch_execz .LBB2_21
; %bb.20:                               ;   in Loop: Header=BB2_19 Depth=1
	v_add_u32_e32 v21, v20, v1
	v_add_u32_e32 v2, s8, v21
	v_lshl_add_u64 v[6:7], v[2:3], 2, s[4:5]
	v_add_u32_e32 v2, s9, v21
	v_lshl_add_u64 v[8:9], v[2:3], 2, s[4:5]
	;; [unrolled: 2-line block ×9, first 2 shown]
	global_load_dword v21, v[24:25], off
	global_load_dword v26, v[6:7], off
	;; [unrolled: 1-line block ×9, first 2 shown]
	v_add_u32_e32 v2, s9, v4
	v_lshl_add_u64 v[6:7], v[2:3], 2, s[4:5]
	s_waitcnt vmcnt(7)
	v_fma_f32 v2, -v5, v26, v21
	global_store_dword v[24:25], v2, off
	global_load_dword v10, v[6:7], off
	v_add_u32_e32 v2, s10, v4
	v_lshl_add_u64 v[8:9], v[2:3], 2, s[4:5]
	s_waitcnt vmcnt(0)
	v_fma_f32 v2, -v5, v27, v10
	global_store_dword v[6:7], v2, off
	global_load_dword v10, v[8:9], off
	;; [unrolled: 6-line block ×7, first 2 shown]
	v_subrev_u32_e32 v2, s20, v1
	v_add_u32_e32 v8, v2, v0
	v_ashrrev_i32_e32 v9, 31, v8
	v_lshl_add_u64 v[10:11], v[8:9], 2, s[6:7]
	v_add_u32_e32 v2, s8, v8
	global_load_dword v9, v[10:11], off
	v_lshl_add_u64 v[10:11], v[2:3], 2, s[4:5]
	s_waitcnt vmcnt(1)
	v_fma_f32 v2, -v5, v33, v4
	global_store_dword v[6:7], v2, off
	global_load_dword v6, v[10:11], off
	v_add_u32_e32 v2, s9, v8
	v_lshl_add_u64 v[4:5], v[2:3], 2, s[4:5]
	s_waitcnt vmcnt(0)
	v_fma_f32 v2, -v9, v26, v6
	global_store_dword v[10:11], v2, off
	global_load_dword v10, v[4:5], off
	v_add_u32_e32 v2, s10, v8
	;; [unrolled: 6-line block ×7, first 2 shown]
	s_waitcnt vmcnt(0)
	v_fma_f32 v4, -v9, v32, v4
	global_store_dword v[6:7], v4, off
	v_lshl_add_u64 v[4:5], v[2:3], 2, s[4:5]
	global_load_dword v2, v[4:5], off
	s_waitcnt vmcnt(0)
	v_fma_f32 v2, -v9, v33, v2
	global_store_dword v[4:5], v2, off
                                        ; implicit-def: $vgpr4
                                        ; implicit-def: $vgpr5
.LBB2_21:                               ;   in Loop: Header=BB2_19 Depth=1
	s_or_saveexec_b64 s[2:3], s[2:3]
	v_mov_b32_e32 v2, s18
	s_xor_b64 exec, exec, s[2:3]
	s_cbranch_execz .LBB2_18
; %bb.22:                               ;   in Loop: Header=BB2_19 Depth=1
	v_add_u32_e32 v12, v20, v1
	v_add_u32_e32 v2, s8, v12
	v_lshl_add_u64 v[6:7], v[2:3], 2, s[4:5]
	v_add_u32_e32 v2, s8, v4
	v_lshl_add_u64 v[8:9], v[2:3], 2, s[4:5]
	global_load_dword v13, v[6:7], off
	global_load_dword v14, v[8:9], off
	v_add_u32_e32 v2, s9, v12
	v_lshl_add_u64 v[6:7], v[2:3], 2, s[4:5]
	v_add_u32_e32 v2, s9, v4
	v_lshl_add_u64 v[10:11], v[2:3], 2, s[4:5]
	s_waitcnt vmcnt(0)
	v_fma_f32 v2, -v5, v13, v14
	global_store_dword v[8:9], v2, off
	global_load_dword v13, v[6:7], off
	global_load_dword v14, v[10:11], off
	v_add_u32_e32 v2, s10, v12
	v_lshl_add_u64 v[6:7], v[2:3], 2, s[4:5]
	v_add_u32_e32 v2, s10, v4
	v_lshl_add_u64 v[8:9], v[2:3], 2, s[4:5]
	s_waitcnt vmcnt(0)
	v_fma_f32 v2, -v5, v13, v14
	global_store_dword v[10:11], v2, off
	;; [unrolled: 9-line block ×7, first 2 shown]
	global_load_dword v2, v[6:7], off
	s_nop 0
	global_load_dword v4, v[10:11], off
	s_waitcnt vmcnt(0)
	v_fma_f32 v2, -v5, v2, v4
	global_store_dword v[10:11], v2, off
	v_mov_b32_e32 v2, s20
	s_branch .LBB2_18
.LBB2_23:
	s_endpgm
	.section	.rodata,"a",@progbits
	.p2align	6, 0x0
	.amdhsa_kernel _ZN9rocsparseL19gtsv_LBM_rhs_kernelILj256ELj2ELj8EfEEviiiPKT2_S3_S3_PS1_S3_PKi
		.amdhsa_group_segment_fixed_size 0
		.amdhsa_private_segment_fixed_size 0
		.amdhsa_kernarg_size 64
		.amdhsa_user_sgpr_count 2
		.amdhsa_user_sgpr_dispatch_ptr 0
		.amdhsa_user_sgpr_queue_ptr 0
		.amdhsa_user_sgpr_kernarg_segment_ptr 1
		.amdhsa_user_sgpr_dispatch_id 0
		.amdhsa_user_sgpr_kernarg_preload_length 0
		.amdhsa_user_sgpr_kernarg_preload_offset 0
		.amdhsa_user_sgpr_private_segment_size 0
		.amdhsa_uses_dynamic_stack 0
		.amdhsa_enable_private_segment 0
		.amdhsa_system_sgpr_workgroup_id_x 1
		.amdhsa_system_sgpr_workgroup_id_y 1
		.amdhsa_system_sgpr_workgroup_id_z 0
		.amdhsa_system_sgpr_workgroup_info 0
		.amdhsa_system_vgpr_workitem_id 0
		.amdhsa_next_free_vgpr 60
		.amdhsa_next_free_sgpr 32
		.amdhsa_accum_offset 60
		.amdhsa_reserve_vcc 1
		.amdhsa_float_round_mode_32 0
		.amdhsa_float_round_mode_16_64 0
		.amdhsa_float_denorm_mode_32 3
		.amdhsa_float_denorm_mode_16_64 3
		.amdhsa_dx10_clamp 1
		.amdhsa_ieee_mode 1
		.amdhsa_fp16_overflow 0
		.amdhsa_tg_split 0
		.amdhsa_exception_fp_ieee_invalid_op 0
		.amdhsa_exception_fp_denorm_src 0
		.amdhsa_exception_fp_ieee_div_zero 0
		.amdhsa_exception_fp_ieee_overflow 0
		.amdhsa_exception_fp_ieee_underflow 0
		.amdhsa_exception_fp_ieee_inexact 0
		.amdhsa_exception_int_div_zero 0
	.end_amdhsa_kernel
	.section	.text._ZN9rocsparseL19gtsv_LBM_rhs_kernelILj256ELj2ELj8EfEEviiiPKT2_S3_S3_PS1_S3_PKi,"axG",@progbits,_ZN9rocsparseL19gtsv_LBM_rhs_kernelILj256ELj2ELj8EfEEviiiPKT2_S3_S3_PS1_S3_PKi,comdat
.Lfunc_end2:
	.size	_ZN9rocsparseL19gtsv_LBM_rhs_kernelILj256ELj2ELj8EfEEviiiPKT2_S3_S3_PS1_S3_PKi, .Lfunc_end2-_ZN9rocsparseL19gtsv_LBM_rhs_kernelILj256ELj2ELj8EfEEviiiPKT2_S3_S3_PS1_S3_PKi
                                        ; -- End function
	.set _ZN9rocsparseL19gtsv_LBM_rhs_kernelILj256ELj2ELj8EfEEviiiPKT2_S3_S3_PS1_S3_PKi.num_vgpr, 60
	.set _ZN9rocsparseL19gtsv_LBM_rhs_kernelILj256ELj2ELj8EfEEviiiPKT2_S3_S3_PS1_S3_PKi.num_agpr, 0
	.set _ZN9rocsparseL19gtsv_LBM_rhs_kernelILj256ELj2ELj8EfEEviiiPKT2_S3_S3_PS1_S3_PKi.numbered_sgpr, 32
	.set _ZN9rocsparseL19gtsv_LBM_rhs_kernelILj256ELj2ELj8EfEEviiiPKT2_S3_S3_PS1_S3_PKi.num_named_barrier, 0
	.set _ZN9rocsparseL19gtsv_LBM_rhs_kernelILj256ELj2ELj8EfEEviiiPKT2_S3_S3_PS1_S3_PKi.private_seg_size, 0
	.set _ZN9rocsparseL19gtsv_LBM_rhs_kernelILj256ELj2ELj8EfEEviiiPKT2_S3_S3_PS1_S3_PKi.uses_vcc, 1
	.set _ZN9rocsparseL19gtsv_LBM_rhs_kernelILj256ELj2ELj8EfEEviiiPKT2_S3_S3_PS1_S3_PKi.uses_flat_scratch, 0
	.set _ZN9rocsparseL19gtsv_LBM_rhs_kernelILj256ELj2ELj8EfEEviiiPKT2_S3_S3_PS1_S3_PKi.has_dyn_sized_stack, 0
	.set _ZN9rocsparseL19gtsv_LBM_rhs_kernelILj256ELj2ELj8EfEEviiiPKT2_S3_S3_PS1_S3_PKi.has_recursion, 0
	.set _ZN9rocsparseL19gtsv_LBM_rhs_kernelILj256ELj2ELj8EfEEviiiPKT2_S3_S3_PS1_S3_PKi.has_indirect_call, 0
	.section	.AMDGPU.csdata,"",@progbits
; Kernel info:
; codeLenInByte = 3364
; TotalNumSgprs: 38
; NumVgprs: 60
; NumAgprs: 0
; TotalNumVgprs: 60
; ScratchSize: 0
; MemoryBound: 0
; FloatMode: 240
; IeeeMode: 1
; LDSByteSize: 0 bytes/workgroup (compile time only)
; SGPRBlocks: 4
; VGPRBlocks: 7
; NumSGPRsForWavesPerEU: 38
; NumVGPRsForWavesPerEU: 60
; AccumOffset: 60
; Occupancy: 8
; WaveLimiterHint : 0
; COMPUTE_PGM_RSRC2:SCRATCH_EN: 0
; COMPUTE_PGM_RSRC2:USER_SGPR: 2
; COMPUTE_PGM_RSRC2:TRAP_HANDLER: 0
; COMPUTE_PGM_RSRC2:TGID_X_EN: 1
; COMPUTE_PGM_RSRC2:TGID_Y_EN: 1
; COMPUTE_PGM_RSRC2:TGID_Z_EN: 0
; COMPUTE_PGM_RSRC2:TIDIG_COMP_CNT: 0
; COMPUTE_PGM_RSRC3_GFX90A:ACCUM_OFFSET: 14
; COMPUTE_PGM_RSRC3_GFX90A:TG_SPLIT: 0
	.section	.text._ZN9rocsparseL19gtsv_LBM_rhs_kernelILj256ELj2ELj4EfEEviiiPKT2_S3_S3_PS1_S3_PKi,"axG",@progbits,_ZN9rocsparseL19gtsv_LBM_rhs_kernelILj256ELj2ELj4EfEEviiiPKT2_S3_S3_PS1_S3_PKi,comdat
	.globl	_ZN9rocsparseL19gtsv_LBM_rhs_kernelILj256ELj2ELj4EfEEviiiPKT2_S3_S3_PS1_S3_PKi ; -- Begin function _ZN9rocsparseL19gtsv_LBM_rhs_kernelILj256ELj2ELj4EfEEviiiPKT2_S3_S3_PS1_S3_PKi
	.p2align	8
	.type	_ZN9rocsparseL19gtsv_LBM_rhs_kernelILj256ELj2ELj4EfEEviiiPKT2_S3_S3_PS1_S3_PKi,@function
_ZN9rocsparseL19gtsv_LBM_rhs_kernelILj256ELj2ELj4EfEEviiiPKT2_S3_S3_PS1_S3_PKi: ; @_ZN9rocsparseL19gtsv_LBM_rhs_kernelILj256ELj2ELj4EfEEviiiPKT2_S3_S3_PS1_S3_PKi
; %bb.0:
	s_load_dword s21, s[0:1], 0x0
	v_lshl_or_b32 v0, s2, 8, v0
	s_waitcnt lgkmcnt(0)
	s_lshr_b32 s20, s21, 1
	v_cmp_gt_i32_e32 vcc, s20, v0
	s_and_saveexec_b64 s[4:5], vcc
	s_cbranch_execz .LBB3_23
; %bb.1:
	s_load_dwordx4 s[4:7], s[0:1], 0x28
	s_load_dwordx2 s[12:13], s[0:1], 0x38
	s_cmp_lt_i32 s21, 1
	v_add_u32_e32 v12, s20, v0
	s_mul_i32 s22, s3, s21
	s_cbranch_scc1 .LBB3_15
; %bb.2:
	s_load_dwordx4 s[8:11], s[0:1], 0x10
	s_load_dwordx2 s[14:15], s[0:1], 0x20
	v_ashrrev_i32_e32 v1, 31, v0
	s_lshl_b32 s23, s22, 2
	s_add_i32 s24, s23, s21
	s_waitcnt lgkmcnt(0)
	v_lshl_add_u64 v[2:3], v[0:1], 2, s[10:11]
	global_load_dword v14, v[2:3], off
	s_add_i32 s25, s24, s21
	s_add_i32 s26, s25, s21
	s_and_b32 s27, s21, 0x7ffffffe
	v_mov_b32_e32 v3, 0
	s_mov_b64 s[16:17], 0
	v_mov_b32_e32 v1, 0
	s_branch .LBB3_5
.LBB3_3:                                ;   in Loop: Header=BB3_5 Depth=1
	s_or_b64 exec, exec, s[18:19]
	v_fma_f32 v2, -v14, v17, v13
	v_mov_b32_e32 v16, s20
.LBB3_4:                                ;   in Loop: Header=BB3_5 Depth=1
	s_or_b64 exec, exec, s[2:3]
	v_add_u32_e32 v1, v16, v1
	v_cmp_le_i32_e32 vcc, s21, v1
	s_or_b64 s[16:17], vcc, s[16:17]
	v_mov_b32_e32 v14, v2
	s_andn2_b64 exec, exec, s[16:17]
	s_cbranch_execz .LBB3_14
.LBB3_5:                                ; =>This Inner Loop Header: Depth=1
	v_add_u32_e32 v10, v1, v0
	v_ashrrev_i32_e32 v11, 31, v10
	v_lshl_add_u64 v[4:5], v[10:11], 2, s[14:15]
	global_load_dword v16, v[4:5], off
	v_cmp_gt_u32_e64 s[0:1], s20, v1
	v_mov_b32_e32 v15, 0
	s_and_saveexec_b64 s[2:3], s[0:1]
	s_cbranch_execz .LBB3_7
; %bb.6:                                ;   in Loop: Header=BB3_5 Depth=1
	v_add_u32_e32 v4, v12, v1
	v_ashrrev_i32_e32 v5, 31, v4
	v_lshl_add_u64 v[4:5], v[4:5], 2, s[8:9]
	global_load_dword v15, v[4:5], off
.LBB3_7:                                ;   in Loop: Header=BB3_5 Depth=1
	s_or_b64 exec, exec, s[2:3]
	v_mov_b32_e32 v13, 0
	s_and_saveexec_b64 s[2:3], s[0:1]
	s_cbranch_execz .LBB3_9
; %bb.8:                                ;   in Loop: Header=BB3_5 Depth=1
	v_add_u32_e32 v4, v12, v1
	v_ashrrev_i32_e32 v5, 31, v4
	v_lshl_add_u64 v[4:5], v[4:5], 2, s[10:11]
	global_load_dword v13, v[4:5], off
.LBB3_9:                                ;   in Loop: Header=BB3_5 Depth=1
	s_or_b64 exec, exec, s[2:3]
	v_lshl_add_u64 v[4:5], v[10:11], 2, s[12:13]
	v_add_u32_e32 v2, s23, v10
	global_load_dword v17, v[4:5], off
	v_lshl_add_u64 v[4:5], v[2:3], 2, s[4:5]
	v_add_u32_e32 v2, s24, v10
	v_lshl_add_u64 v[6:7], v[2:3], 2, s[4:5]
	v_add_u32_e32 v2, s25, v10
	;; [unrolled: 2-line block ×3, first 2 shown]
	v_lshl_add_u64 v[10:11], v[2:3], 2, s[4:5]
	global_load_dword v18, v[4:5], off
	global_load_dword v19, v[6:7], off
	;; [unrolled: 1-line block ×4, first 2 shown]
	v_cmp_ne_u32_e64 s[2:3], s20, v1
	s_waitcnt vmcnt(4)
	v_cmp_ne_u32_e32 vcc, 1, v17
	s_and_b64 s[2:3], s[2:3], vcc
	v_mul_f32_e32 v17, v16, v15
	s_and_saveexec_b64 s[18:19], s[2:3]
	s_xor_b64 s[2:3], exec, s[18:19]
	s_cbranch_execz .LBB3_11
; %bb.10:                               ;   in Loop: Header=BB3_5 Depth=1
	v_add_u32_e32 v28, v12, v1
	v_add_u32_e32 v2, s23, v28
	v_lshl_add_u64 v[22:23], v[2:3], 2, s[4:5]
	v_add_u32_e32 v2, s24, v28
	v_lshl_add_u64 v[24:25], v[2:3], 2, s[4:5]
	v_add_u32_e32 v2, s25, v28
	global_load_dword v30, v[22:23], off
	global_load_dword v31, v[24:25], off
	v_lshl_add_u64 v[26:27], v[2:3], 2, s[4:5]
	v_add_u32_e32 v2, s26, v28
	global_load_dword v32, v[26:27], off
	v_lshl_add_u64 v[28:29], v[2:3], 2, s[4:5]
	global_load_dword v2, v[28:29], off
	v_fma_f32 v17, v14, v13, -v17
	v_div_scale_f32 v33, s[18:19], v17, v17, 1.0
	v_rcp_f32_e32 v34, v33
	v_div_scale_f32 v35, vcc, 1.0, v17, 1.0
	v_fma_f32 v36, -v33, v34, 1.0
	v_fmac_f32_e32 v34, v36, v34
	v_mul_f32_e32 v36, v35, v34
	v_fma_f32 v37, -v33, v36, v35
	v_fmac_f32_e32 v36, v37, v34
	v_fma_f32 v33, -v33, v36, v35
	v_div_fmas_f32 v33, v33, v34, v36
	v_div_fixup_f32 v17, v33, v17, 1.0
	s_waitcnt vmcnt(7)
	v_mul_f32_e32 v18, v17, v18
	v_mul_f32_e32 v33, v15, v18
	s_waitcnt vmcnt(6)
	v_mul_f32_e32 v19, v17, v19
	s_waitcnt vmcnt(5)
	;; [unrolled: 2-line block ×3, first 2 shown]
	v_mul_f32_e32 v21, v17, v21
	v_mul_f32_e32 v35, v15, v20
	;; [unrolled: 1-line block ×4, first 2 shown]
	s_waitcnt vmcnt(3)
	v_mul_f32_e32 v30, v17, v30
	s_waitcnt vmcnt(2)
	v_mul_f32_e32 v31, v17, v31
	v_mul_f32_e32 v36, v16, v30
	v_fma_f32 v30, v14, v30, -v33
	s_waitcnt vmcnt(1)
	v_mul_f32_e32 v32, v17, v32
	v_fma_f32 v18, v13, v18, -v36
	v_mul_f32_e32 v33, v16, v31
	s_waitcnt vmcnt(0)
	v_mul_f32_e32 v2, v17, v2
	global_store_dword v[4:5], v18, off
	v_fma_f32 v4, v13, v19, -v33
	v_mul_f32_e32 v5, v16, v32
	global_store_dword v[6:7], v4, off
	v_fma_f32 v4, v13, v20, -v5
	v_mul_f32_e32 v5, v16, v2
	v_fma_f32 v17, v14, v32, -v35
	global_store_dword v[8:9], v4, off
	v_fma_f32 v4, v13, v21, -v5
	v_fma_f32 v31, v14, v31, -v34
	;; [unrolled: 1-line block ×3, first 2 shown]
	global_store_dword v[10:11], v4, off
	global_store_dword v[22:23], v30, off
	;; [unrolled: 1-line block ×5, first 2 shown]
                                        ; implicit-def: $vgpr14
                                        ; implicit-def: $vgpr15
                                        ; implicit-def: $vgpr13
                                        ; implicit-def: $vgpr17
                                        ; implicit-def: $vgpr4_vgpr5
                                        ; implicit-def: $vgpr18
                                        ; implicit-def: $vgpr6_vgpr7
                                        ; implicit-def: $vgpr19
                                        ; implicit-def: $vgpr8_vgpr9
                                        ; implicit-def: $vgpr20
                                        ; implicit-def: $vgpr10_vgpr11
                                        ; implicit-def: $vgpr21
.LBB3_11:                               ;   in Loop: Header=BB3_5 Depth=1
	s_or_saveexec_b64 s[2:3], s[2:3]
	v_mov_b32_e32 v2, 0
	v_mov_b32_e32 v16, s27
	s_xor_b64 exec, exec, s[2:3]
	s_cbranch_execz .LBB3_4
; %bb.12:                               ;   in Loop: Header=BB3_5 Depth=1
	v_div_scale_f32 v2, s[18:19], v14, v14, 1.0
	v_rcp_f32_e32 v16, v2
	v_div_scale_f32 v22, vcc, 1.0, v14, 1.0
	v_fma_f32 v23, -v2, v16, 1.0
	v_fmac_f32_e32 v16, v23, v16
	v_mul_f32_e32 v23, v22, v16
	v_fma_f32 v24, -v2, v23, v22
	v_fmac_f32_e32 v23, v24, v16
	v_fma_f32 v2, -v2, v23, v22
	v_div_fmas_f32 v2, v2, v16, v23
	v_div_fixup_f32 v14, v2, v14, 1.0
	s_waitcnt vmcnt(3)
	v_mul_f32_e32 v22, v14, v18
	s_waitcnt vmcnt(2)
	v_mul_f32_e32 v19, v14, v19
	;; [unrolled: 2-line block ×4, first 2 shown]
	global_store_dword v[4:5], v22, off
	global_store_dword v[6:7], v19, off
	;; [unrolled: 1-line block ×4, first 2 shown]
	s_and_saveexec_b64 s[18:19], s[0:1]
	s_cbranch_execz .LBB3_3
; %bb.13:                               ;   in Loop: Header=BB3_5 Depth=1
	v_add_u32_e32 v10, v12, v1
	v_add_u32_e32 v2, s23, v10
	v_lshl_add_u64 v[4:5], v[2:3], 2, s[4:5]
	v_add_u32_e32 v2, s24, v10
	global_load_dword v20, v[4:5], off
	v_lshl_add_u64 v[6:7], v[2:3], 2, s[4:5]
	global_load_dword v21, v[6:7], off
	v_add_u32_e32 v2, s25, v10
	v_lshl_add_u64 v[8:9], v[2:3], 2, s[4:5]
	v_add_u32_e32 v2, s26, v10
	v_lshl_add_u64 v[10:11], v[2:3], 2, s[4:5]
	s_waitcnt vmcnt(1)
	v_fma_f32 v2, -v15, v22, v20
	global_store_dword v[4:5], v2, off
	s_waitcnt vmcnt(1)
	v_fma_f32 v2, -v15, v19, v21
	global_store_dword v[6:7], v2, off
	global_load_dword v4, v[8:9], off
	s_nop 0
	global_load_dword v2, v[10:11], off
	s_waitcnt vmcnt(1)
	v_fma_f32 v4, -v15, v18, v4
	global_store_dword v[8:9], v4, off
	s_waitcnt vmcnt(1)
	v_fma_f32 v2, -v15, v16, v2
	global_store_dword v[10:11], v2, off
	s_branch .LBB3_3
.LBB3_14:
	s_or_b64 exec, exec, s[16:17]
	s_branch .LBB3_16
.LBB3_15:
	v_mov_b32_e32 v1, 0
.LBB3_16:
	v_subrev_u32_e32 v1, s20, v1
	v_add_u32_e32 v2, v1, v0
	v_ashrrev_i32_e32 v3, 31, v2
	s_waitcnt lgkmcnt(0)
	v_lshl_add_u64 v[2:3], v[2:3], 2, s[12:13]
	buffer_wbl2 sc1
	s_waitcnt vmcnt(0)
	buffer_inv sc1
	global_load_dword v2, v[2:3], off
	s_waitcnt vmcnt(0)
	v_mul_lo_u32 v2, v2, s20
	v_sub_u32_e32 v1, v1, v2
	v_cmp_lt_i32_e32 vcc, -1, v1
	s_and_b64 exec, exec, vcc
	s_cbranch_execz .LBB3_23
; %bb.17:
	s_lshl_b32 s8, s22, 2
	s_add_i32 s9, s8, s21
	s_add_i32 s10, s9, s21
	;; [unrolled: 1-line block ×3, first 2 shown]
	s_and_b32 s14, s21, -2
	s_mov_b64 s[0:1], 0
	v_mov_b32_e32 v3, 0
	s_branch .LBB3_19
.LBB3_18:                               ;   in Loop: Header=BB3_19 Depth=1
	s_or_b64 exec, exec, s[2:3]
	v_sub_u32_e32 v1, v1, v2
	v_cmp_gt_i32_e32 vcc, 0, v1
	s_or_b64 s[0:1], vcc, s[0:1]
	s_andn2_b64 exec, exec, s[0:1]
	s_cbranch_execz .LBB3_23
.LBB3_19:                               ; =>This Inner Loop Header: Depth=1
	v_add_u32_e32 v4, v1, v0
	s_waitcnt vmcnt(0)
	v_ashrrev_i32_e32 v5, 31, v4
	v_lshlrev_b64 v[6:7], 2, v[4:5]
	v_lshl_add_u64 v[8:9], s[12:13], 0, v[6:7]
	global_load_dword v2, v[8:9], off
	v_lshl_add_u64 v[6:7], s[6:7], 0, v[6:7]
	global_load_dword v5, v[6:7], off
	s_waitcnt vmcnt(1)
	v_cmp_ne_u32_e32 vcc, 1, v2
	s_and_saveexec_b64 s[2:3], vcc
	s_xor_b64 s[2:3], exec, s[2:3]
	s_cbranch_execz .LBB3_21
; %bb.20:                               ;   in Loop: Header=BB3_19 Depth=1
	v_add_u32_e32 v13, v12, v1
	v_add_u32_e32 v2, s8, v13
	v_lshl_add_u64 v[6:7], v[2:3], 2, s[4:5]
	v_add_u32_e32 v2, s9, v13
	v_lshl_add_u64 v[8:9], v[2:3], 2, s[4:5]
	;; [unrolled: 2-line block ×5, first 2 shown]
	global_load_dword v13, v[6:7], off
	global_load_dword v18, v[16:17], off
	;; [unrolled: 1-line block ×5, first 2 shown]
	v_add_u32_e32 v2, s9, v4
	v_lshl_add_u64 v[6:7], v[2:3], 2, s[4:5]
	s_waitcnt vmcnt(3)
	v_fma_f32 v2, -v5, v13, v18
	global_store_dword v[16:17], v2, off
	global_load_dword v10, v[6:7], off
	v_add_u32_e32 v2, s10, v4
	v_lshl_add_u64 v[8:9], v[2:3], 2, s[4:5]
	s_waitcnt vmcnt(0)
	v_fma_f32 v2, -v5, v19, v10
	global_store_dword v[6:7], v2, off
	global_load_dword v10, v[8:9], off
	;; [unrolled: 6-line block ×3, first 2 shown]
	v_subrev_u32_e32 v2, s20, v1
	v_add_u32_e32 v8, v2, v0
	v_ashrrev_i32_e32 v9, 31, v8
	v_lshl_add_u64 v[10:11], v[8:9], 2, s[6:7]
	v_add_u32_e32 v2, s8, v8
	global_load_dword v9, v[10:11], off
	v_lshl_add_u64 v[10:11], v[2:3], 2, s[4:5]
	s_waitcnt vmcnt(1)
	v_fma_f32 v2, -v5, v21, v4
	global_store_dword v[6:7], v2, off
	global_load_dword v6, v[10:11], off
	v_add_u32_e32 v2, s9, v8
	v_lshl_add_u64 v[4:5], v[2:3], 2, s[4:5]
	s_waitcnt vmcnt(0)
	v_fma_f32 v2, -v9, v13, v6
	global_store_dword v[10:11], v2, off
	global_load_dword v10, v[4:5], off
	v_add_u32_e32 v2, s10, v8
	;; [unrolled: 6-line block ×3, first 2 shown]
	s_waitcnt vmcnt(0)
	v_fma_f32 v4, -v9, v20, v4
	global_store_dword v[6:7], v4, off
	v_lshl_add_u64 v[4:5], v[2:3], 2, s[4:5]
	global_load_dword v2, v[4:5], off
	s_waitcnt vmcnt(0)
	v_fma_f32 v2, -v9, v21, v2
	global_store_dword v[4:5], v2, off
                                        ; implicit-def: $vgpr4
                                        ; implicit-def: $vgpr5
.LBB3_21:                               ;   in Loop: Header=BB3_19 Depth=1
	s_or_saveexec_b64 s[2:3], s[2:3]
	v_mov_b32_e32 v2, s14
	s_xor_b64 exec, exec, s[2:3]
	s_cbranch_execz .LBB3_18
; %bb.22:                               ;   in Loop: Header=BB3_19 Depth=1
	v_add_u32_e32 v13, v12, v1
	v_add_u32_e32 v2, s8, v13
	v_lshl_add_u64 v[6:7], v[2:3], 2, s[4:5]
	v_add_u32_e32 v2, s8, v4
	v_lshl_add_u64 v[8:9], v[2:3], 2, s[4:5]
	global_load_dword v14, v[6:7], off
	global_load_dword v15, v[8:9], off
	v_add_u32_e32 v2, s9, v13
	v_lshl_add_u64 v[6:7], v[2:3], 2, s[4:5]
	v_add_u32_e32 v2, s9, v4
	v_lshl_add_u64 v[10:11], v[2:3], 2, s[4:5]
	s_waitcnt vmcnt(0)
	v_fma_f32 v2, -v5, v14, v15
	global_store_dword v[8:9], v2, off
	global_load_dword v14, v[6:7], off
	global_load_dword v15, v[10:11], off
	v_add_u32_e32 v2, s10, v13
	v_lshl_add_u64 v[6:7], v[2:3], 2, s[4:5]
	v_add_u32_e32 v2, s10, v4
	v_lshl_add_u64 v[8:9], v[2:3], 2, s[4:5]
	s_waitcnt vmcnt(0)
	v_fma_f32 v2, -v5, v14, v15
	global_store_dword v[10:11], v2, off
	;; [unrolled: 9-line block ×3, first 2 shown]
	global_load_dword v2, v[6:7], off
	s_nop 0
	global_load_dword v4, v[10:11], off
	s_waitcnt vmcnt(0)
	v_fma_f32 v2, -v5, v2, v4
	global_store_dword v[10:11], v2, off
	v_mov_b32_e32 v2, s20
	s_branch .LBB3_18
.LBB3_23:
	s_endpgm
	.section	.rodata,"a",@progbits
	.p2align	6, 0x0
	.amdhsa_kernel _ZN9rocsparseL19gtsv_LBM_rhs_kernelILj256ELj2ELj4EfEEviiiPKT2_S3_S3_PS1_S3_PKi
		.amdhsa_group_segment_fixed_size 0
		.amdhsa_private_segment_fixed_size 0
		.amdhsa_kernarg_size 64
		.amdhsa_user_sgpr_count 2
		.amdhsa_user_sgpr_dispatch_ptr 0
		.amdhsa_user_sgpr_queue_ptr 0
		.amdhsa_user_sgpr_kernarg_segment_ptr 1
		.amdhsa_user_sgpr_dispatch_id 0
		.amdhsa_user_sgpr_kernarg_preload_length 0
		.amdhsa_user_sgpr_kernarg_preload_offset 0
		.amdhsa_user_sgpr_private_segment_size 0
		.amdhsa_uses_dynamic_stack 0
		.amdhsa_enable_private_segment 0
		.amdhsa_system_sgpr_workgroup_id_x 1
		.amdhsa_system_sgpr_workgroup_id_y 1
		.amdhsa_system_sgpr_workgroup_id_z 0
		.amdhsa_system_sgpr_workgroup_info 0
		.amdhsa_system_vgpr_workitem_id 0
		.amdhsa_next_free_vgpr 38
		.amdhsa_next_free_sgpr 28
		.amdhsa_accum_offset 40
		.amdhsa_reserve_vcc 1
		.amdhsa_float_round_mode_32 0
		.amdhsa_float_round_mode_16_64 0
		.amdhsa_float_denorm_mode_32 3
		.amdhsa_float_denorm_mode_16_64 3
		.amdhsa_dx10_clamp 1
		.amdhsa_ieee_mode 1
		.amdhsa_fp16_overflow 0
		.amdhsa_tg_split 0
		.amdhsa_exception_fp_ieee_invalid_op 0
		.amdhsa_exception_fp_denorm_src 0
		.amdhsa_exception_fp_ieee_div_zero 0
		.amdhsa_exception_fp_ieee_overflow 0
		.amdhsa_exception_fp_ieee_underflow 0
		.amdhsa_exception_fp_ieee_inexact 0
		.amdhsa_exception_int_div_zero 0
	.end_amdhsa_kernel
	.section	.text._ZN9rocsparseL19gtsv_LBM_rhs_kernelILj256ELj2ELj4EfEEviiiPKT2_S3_S3_PS1_S3_PKi,"axG",@progbits,_ZN9rocsparseL19gtsv_LBM_rhs_kernelILj256ELj2ELj4EfEEviiiPKT2_S3_S3_PS1_S3_PKi,comdat
.Lfunc_end3:
	.size	_ZN9rocsparseL19gtsv_LBM_rhs_kernelILj256ELj2ELj4EfEEviiiPKT2_S3_S3_PS1_S3_PKi, .Lfunc_end3-_ZN9rocsparseL19gtsv_LBM_rhs_kernelILj256ELj2ELj4EfEEviiiPKT2_S3_S3_PS1_S3_PKi
                                        ; -- End function
	.set _ZN9rocsparseL19gtsv_LBM_rhs_kernelILj256ELj2ELj4EfEEviiiPKT2_S3_S3_PS1_S3_PKi.num_vgpr, 38
	.set _ZN9rocsparseL19gtsv_LBM_rhs_kernelILj256ELj2ELj4EfEEviiiPKT2_S3_S3_PS1_S3_PKi.num_agpr, 0
	.set _ZN9rocsparseL19gtsv_LBM_rhs_kernelILj256ELj2ELj4EfEEviiiPKT2_S3_S3_PS1_S3_PKi.numbered_sgpr, 28
	.set _ZN9rocsparseL19gtsv_LBM_rhs_kernelILj256ELj2ELj4EfEEviiiPKT2_S3_S3_PS1_S3_PKi.num_named_barrier, 0
	.set _ZN9rocsparseL19gtsv_LBM_rhs_kernelILj256ELj2ELj4EfEEviiiPKT2_S3_S3_PS1_S3_PKi.private_seg_size, 0
	.set _ZN9rocsparseL19gtsv_LBM_rhs_kernelILj256ELj2ELj4EfEEviiiPKT2_S3_S3_PS1_S3_PKi.uses_vcc, 1
	.set _ZN9rocsparseL19gtsv_LBM_rhs_kernelILj256ELj2ELj4EfEEviiiPKT2_S3_S3_PS1_S3_PKi.uses_flat_scratch, 0
	.set _ZN9rocsparseL19gtsv_LBM_rhs_kernelILj256ELj2ELj4EfEEviiiPKT2_S3_S3_PS1_S3_PKi.has_dyn_sized_stack, 0
	.set _ZN9rocsparseL19gtsv_LBM_rhs_kernelILj256ELj2ELj4EfEEviiiPKT2_S3_S3_PS1_S3_PKi.has_recursion, 0
	.set _ZN9rocsparseL19gtsv_LBM_rhs_kernelILj256ELj2ELj4EfEEviiiPKT2_S3_S3_PS1_S3_PKi.has_indirect_call, 0
	.section	.AMDGPU.csdata,"",@progbits
; Kernel info:
; codeLenInByte = 2088
; TotalNumSgprs: 34
; NumVgprs: 38
; NumAgprs: 0
; TotalNumVgprs: 38
; ScratchSize: 0
; MemoryBound: 0
; FloatMode: 240
; IeeeMode: 1
; LDSByteSize: 0 bytes/workgroup (compile time only)
; SGPRBlocks: 4
; VGPRBlocks: 4
; NumSGPRsForWavesPerEU: 34
; NumVGPRsForWavesPerEU: 38
; AccumOffset: 40
; Occupancy: 8
; WaveLimiterHint : 0
; COMPUTE_PGM_RSRC2:SCRATCH_EN: 0
; COMPUTE_PGM_RSRC2:USER_SGPR: 2
; COMPUTE_PGM_RSRC2:TRAP_HANDLER: 0
; COMPUTE_PGM_RSRC2:TGID_X_EN: 1
; COMPUTE_PGM_RSRC2:TGID_Y_EN: 1
; COMPUTE_PGM_RSRC2:TGID_Z_EN: 0
; COMPUTE_PGM_RSRC2:TIDIG_COMP_CNT: 0
; COMPUTE_PGM_RSRC3_GFX90A:ACCUM_OFFSET: 9
; COMPUTE_PGM_RSRC3_GFX90A:TG_SPLIT: 0
	.section	.text._ZN9rocsparseL19gtsv_LBM_rhs_kernelILj256ELj2ELj2EfEEviiiPKT2_S3_S3_PS1_S3_PKi,"axG",@progbits,_ZN9rocsparseL19gtsv_LBM_rhs_kernelILj256ELj2ELj2EfEEviiiPKT2_S3_S3_PS1_S3_PKi,comdat
	.globl	_ZN9rocsparseL19gtsv_LBM_rhs_kernelILj256ELj2ELj2EfEEviiiPKT2_S3_S3_PS1_S3_PKi ; -- Begin function _ZN9rocsparseL19gtsv_LBM_rhs_kernelILj256ELj2ELj2EfEEviiiPKT2_S3_S3_PS1_S3_PKi
	.p2align	8
	.type	_ZN9rocsparseL19gtsv_LBM_rhs_kernelILj256ELj2ELj2EfEEviiiPKT2_S3_S3_PS1_S3_PKi,@function
_ZN9rocsparseL19gtsv_LBM_rhs_kernelILj256ELj2ELj2EfEEviiiPKT2_S3_S3_PS1_S3_PKi: ; @_ZN9rocsparseL19gtsv_LBM_rhs_kernelILj256ELj2ELj2EfEEviiiPKT2_S3_S3_PS1_S3_PKi
; %bb.0:
	s_load_dword s21, s[0:1], 0x0
	v_lshl_or_b32 v0, s2, 8, v0
	s_waitcnt lgkmcnt(0)
	s_lshr_b32 s20, s21, 1
	v_cmp_gt_i32_e32 vcc, s20, v0
	s_and_saveexec_b64 s[4:5], vcc
	s_cbranch_execz .LBB4_23
; %bb.1:
	s_load_dwordx4 s[4:7], s[0:1], 0x28
	s_load_dwordx2 s[12:13], s[0:1], 0x38
	s_cmp_lt_i32 s21, 1
	v_add_u32_e32 v8, s20, v0
	s_mul_i32 s22, s3, s21
	s_cbranch_scc1 .LBB4_15
; %bb.2:
	s_load_dwordx4 s[8:11], s[0:1], 0x10
	s_load_dwordx2 s[14:15], s[0:1], 0x20
	v_ashrrev_i32_e32 v1, 31, v0
	s_lshl_b32 s23, s22, 1
	s_add_i32 s24, s23, s21
	s_waitcnt lgkmcnt(0)
	v_lshl_add_u64 v[2:3], v[0:1], 2, s[10:11]
	global_load_dword v9, v[2:3], off
	s_and_b32 s25, s21, 0x7ffffffe
	v_mov_b32_e32 v3, 0
	s_mov_b64 s[16:17], 0
	v_mov_b32_e32 v1, 0
	s_branch .LBB4_5
.LBB4_3:                                ;   in Loop: Header=BB4_5 Depth=1
	s_or_b64 exec, exec, s[18:19]
	v_fma_f32 v2, -v9, v13, v10
	v_mov_b32_e32 v12, s20
.LBB4_4:                                ;   in Loop: Header=BB4_5 Depth=1
	s_or_b64 exec, exec, s[2:3]
	v_add_u32_e32 v1, v12, v1
	v_cmp_le_i32_e32 vcc, s21, v1
	s_or_b64 s[16:17], vcc, s[16:17]
	v_mov_b32_e32 v9, v2
	s_andn2_b64 exec, exec, s[16:17]
	s_cbranch_execz .LBB4_14
.LBB4_5:                                ; =>This Inner Loop Header: Depth=1
	v_add_u32_e32 v6, v1, v0
	v_ashrrev_i32_e32 v7, 31, v6
	v_lshl_add_u64 v[4:5], v[6:7], 2, s[14:15]
	global_load_dword v12, v[4:5], off
	v_cmp_gt_u32_e64 s[0:1], s20, v1
	v_mov_b32_e32 v11, 0
	s_and_saveexec_b64 s[2:3], s[0:1]
	s_cbranch_execz .LBB4_7
; %bb.6:                                ;   in Loop: Header=BB4_5 Depth=1
	v_add_u32_e32 v4, v8, v1
	v_ashrrev_i32_e32 v5, 31, v4
	v_lshl_add_u64 v[4:5], v[4:5], 2, s[8:9]
	global_load_dword v11, v[4:5], off
.LBB4_7:                                ;   in Loop: Header=BB4_5 Depth=1
	s_or_b64 exec, exec, s[2:3]
	v_mov_b32_e32 v10, 0
	s_and_saveexec_b64 s[2:3], s[0:1]
	s_cbranch_execz .LBB4_9
; %bb.8:                                ;   in Loop: Header=BB4_5 Depth=1
	v_add_u32_e32 v4, v8, v1
	v_ashrrev_i32_e32 v5, 31, v4
	v_lshl_add_u64 v[4:5], v[4:5], 2, s[10:11]
	global_load_dword v10, v[4:5], off
.LBB4_9:                                ;   in Loop: Header=BB4_5 Depth=1
	s_or_b64 exec, exec, s[2:3]
	v_lshl_add_u64 v[4:5], v[6:7], 2, s[12:13]
	global_load_dword v13, v[4:5], off
	v_add_u32_e32 v2, s23, v6
	v_lshl_add_u64 v[4:5], v[2:3], 2, s[4:5]
	v_add_u32_e32 v2, s24, v6
	v_lshl_add_u64 v[6:7], v[2:3], 2, s[4:5]
	global_load_dword v14, v[4:5], off
	global_load_dword v15, v[6:7], off
	v_cmp_ne_u32_e32 vcc, s20, v1
	s_waitcnt vmcnt(2)
	v_cmp_ne_u32_e64 s[2:3], 1, v13
	s_and_b64 s[2:3], vcc, s[2:3]
	v_mul_f32_e32 v13, v12, v11
	s_and_saveexec_b64 s[18:19], s[2:3]
	s_xor_b64 s[2:3], exec, s[18:19]
	s_cbranch_execz .LBB4_11
; %bb.10:                               ;   in Loop: Header=BB4_5 Depth=1
	v_add_u32_e32 v18, v8, v1
	v_add_u32_e32 v2, s23, v18
	v_lshl_add_u64 v[16:17], v[2:3], 2, s[4:5]
	v_add_u32_e32 v2, s24, v18
	v_lshl_add_u64 v[18:19], v[2:3], 2, s[4:5]
	global_load_dword v2, v[16:17], off
	global_load_dword v20, v[18:19], off
	v_fma_f32 v13, v9, v10, -v13
	v_div_scale_f32 v21, s[18:19], v13, v13, 1.0
	v_rcp_f32_e32 v22, v21
	v_div_scale_f32 v23, vcc, 1.0, v13, 1.0
	v_fma_f32 v24, -v21, v22, 1.0
	v_fmac_f32_e32 v22, v24, v22
	v_mul_f32_e32 v24, v23, v22
	v_fma_f32 v25, -v21, v24, v23
	v_fmac_f32_e32 v24, v25, v22
	v_fma_f32 v21, -v21, v24, v23
	v_div_fmas_f32 v21, v21, v22, v24
	v_div_fixup_f32 v13, v21, v13, 1.0
	s_waitcnt vmcnt(3)
	v_mul_f32_e32 v14, v13, v14
	s_waitcnt vmcnt(2)
	v_mul_f32_e32 v15, v13, v15
	v_mul_f32_e32 v21, v11, v14
	;; [unrolled: 1-line block ×3, first 2 shown]
	s_waitcnt vmcnt(1)
	v_mul_f32_e32 v2, v13, v2
	s_waitcnt vmcnt(0)
	v_mul_f32_e32 v13, v13, v20
	v_mul_f32_e32 v20, v12, v2
	v_fma_f32 v14, v10, v14, -v20
	v_mul_f32_e32 v12, v12, v13
	v_fma_f32 v2, v9, v2, -v21
	v_fma_f32 v9, v9, v13, -v11
	global_store_dword v[4:5], v14, off
	v_fma_f32 v4, v10, v15, -v12
	global_store_dword v[6:7], v4, off
	global_store_dword v[16:17], v2, off
	;; [unrolled: 1-line block ×3, first 2 shown]
                                        ; implicit-def: $vgpr13
                                        ; implicit-def: $vgpr10
                                        ; implicit-def: $vgpr9
                                        ; implicit-def: $vgpr14
                                        ; implicit-def: $vgpr15
                                        ; implicit-def: $vgpr4_vgpr5
                                        ; implicit-def: $vgpr6_vgpr7
                                        ; implicit-def: $vgpr11
.LBB4_11:                               ;   in Loop: Header=BB4_5 Depth=1
	s_or_saveexec_b64 s[2:3], s[2:3]
	v_mov_b32_e32 v2, 0
	v_mov_b32_e32 v12, s25
	s_xor_b64 exec, exec, s[2:3]
	s_cbranch_execz .LBB4_4
; %bb.12:                               ;   in Loop: Header=BB4_5 Depth=1
	v_div_scale_f32 v2, s[18:19], v9, v9, 1.0
	v_rcp_f32_e32 v12, v2
	v_div_scale_f32 v16, vcc, 1.0, v9, 1.0
	v_fma_f32 v17, -v2, v12, 1.0
	v_fmac_f32_e32 v12, v17, v12
	v_mul_f32_e32 v17, v16, v12
	v_fma_f32 v18, -v2, v17, v16
	v_fmac_f32_e32 v17, v18, v12
	v_fma_f32 v2, -v2, v17, v16
	v_div_fmas_f32 v2, v2, v12, v17
	v_div_fixup_f32 v9, v2, v9, 1.0
	s_waitcnt vmcnt(1)
	v_mul_f32_e32 v14, v9, v14
	s_waitcnt vmcnt(0)
	v_mul_f32_e32 v12, v9, v15
	global_store_dword v[4:5], v14, off
	global_store_dword v[6:7], v12, off
	s_and_saveexec_b64 s[18:19], s[0:1]
	s_cbranch_execz .LBB4_3
; %bb.13:                               ;   in Loop: Header=BB4_5 Depth=1
	v_add_u32_e32 v6, v8, v1
	v_add_u32_e32 v2, s23, v6
	v_lshl_add_u64 v[4:5], v[2:3], 2, s[4:5]
	v_add_u32_e32 v2, s24, v6
	v_lshl_add_u64 v[6:7], v[2:3], 2, s[4:5]
	global_load_dword v15, v[4:5], off
	global_load_dword v2, v[6:7], off
	s_waitcnt vmcnt(1)
	v_fma_f32 v14, -v11, v14, v15
	s_waitcnt vmcnt(0)
	v_fma_f32 v2, -v11, v12, v2
	global_store_dword v[4:5], v14, off
	global_store_dword v[6:7], v2, off
	s_branch .LBB4_3
.LBB4_14:
	s_or_b64 exec, exec, s[16:17]
	s_branch .LBB4_16
.LBB4_15:
	v_mov_b32_e32 v1, 0
.LBB4_16:
	v_subrev_u32_e32 v1, s20, v1
	v_add_u32_e32 v2, v1, v0
	v_ashrrev_i32_e32 v3, 31, v2
	s_waitcnt lgkmcnt(0)
	v_lshl_add_u64 v[2:3], v[2:3], 2, s[12:13]
	buffer_wbl2 sc1
	s_waitcnt vmcnt(0)
	buffer_inv sc1
	global_load_dword v2, v[2:3], off
	s_waitcnt vmcnt(0)
	v_mul_lo_u32 v2, v2, s20
	v_sub_u32_e32 v1, v1, v2
	v_cmp_lt_i32_e32 vcc, -1, v1
	s_and_b64 exec, exec, vcc
	s_cbranch_execz .LBB4_23
; %bb.17:
	s_lshl_b32 s8, s22, 1
	s_add_i32 s9, s8, s21
	s_and_b32 s10, s21, -2
	s_mov_b64 s[0:1], 0
	v_mov_b32_e32 v3, 0
	s_branch .LBB4_19
.LBB4_18:                               ;   in Loop: Header=BB4_19 Depth=1
	s_or_b64 exec, exec, s[2:3]
	v_sub_u32_e32 v1, v1, v2
	v_cmp_gt_i32_e32 vcc, 0, v1
	s_or_b64 s[0:1], vcc, s[0:1]
	s_andn2_b64 exec, exec, s[0:1]
	s_cbranch_execz .LBB4_23
.LBB4_19:                               ; =>This Inner Loop Header: Depth=1
	v_add_u32_e32 v4, v1, v0
	s_waitcnt vmcnt(0)
	v_ashrrev_i32_e32 v5, 31, v4
	v_lshlrev_b64 v[6:7], 2, v[4:5]
	v_lshl_add_u64 v[10:11], s[12:13], 0, v[6:7]
	global_load_dword v2, v[10:11], off
	v_lshl_add_u64 v[6:7], s[6:7], 0, v[6:7]
	global_load_dword v5, v[6:7], off
	s_waitcnt vmcnt(1)
	v_cmp_ne_u32_e32 vcc, 1, v2
	s_and_saveexec_b64 s[2:3], vcc
	s_xor_b64 s[2:3], exec, s[2:3]
	s_cbranch_execz .LBB4_21
; %bb.20:                               ;   in Loop: Header=BB4_19 Depth=1
	v_add_u32_e32 v9, v8, v1
	v_add_u32_e32 v2, s8, v9
	v_lshl_add_u64 v[6:7], v[2:3], 2, s[4:5]
	v_add_u32_e32 v2, s9, v9
	v_lshl_add_u64 v[10:11], v[2:3], 2, s[4:5]
	;; [unrolled: 2-line block ×3, first 2 shown]
	global_load_dword v9, v[6:7], off
	global_load_dword v14, v[12:13], off
	;; [unrolled: 1-line block ×3, first 2 shown]
	v_add_u32_e32 v2, s9, v4
	v_lshl_add_u64 v[6:7], v[2:3], 2, s[4:5]
	s_waitcnt vmcnt(1)
	v_fma_f32 v2, -v5, v9, v14
	global_store_dword v[12:13], v2, off
	global_load_dword v4, v[6:7], off
	v_subrev_u32_e32 v2, s20, v1
	v_add_u32_e32 v10, v2, v0
	v_ashrrev_i32_e32 v11, 31, v10
	v_lshl_add_u64 v[12:13], v[10:11], 2, s[6:7]
	v_add_u32_e32 v2, s8, v10
	global_load_dword v11, v[12:13], off
	v_lshl_add_u64 v[12:13], v[2:3], 2, s[4:5]
	s_waitcnt vmcnt(1)
	v_fma_f32 v2, -v5, v15, v4
	global_store_dword v[6:7], v2, off
	global_load_dword v4, v[12:13], off
	v_add_u32_e32 v2, s9, v10
	s_waitcnt vmcnt(0)
	v_fma_f32 v4, -v11, v9, v4
	global_store_dword v[12:13], v4, off
	v_lshl_add_u64 v[4:5], v[2:3], 2, s[4:5]
	global_load_dword v2, v[4:5], off
	s_waitcnt vmcnt(0)
	v_fma_f32 v2, -v11, v15, v2
	global_store_dword v[4:5], v2, off
                                        ; implicit-def: $vgpr4
                                        ; implicit-def: $vgpr5
.LBB4_21:                               ;   in Loop: Header=BB4_19 Depth=1
	s_or_saveexec_b64 s[2:3], s[2:3]
	v_mov_b32_e32 v2, s10
	s_xor_b64 exec, exec, s[2:3]
	s_cbranch_execz .LBB4_18
; %bb.22:                               ;   in Loop: Header=BB4_19 Depth=1
	v_add_u32_e32 v9, v8, v1
	v_add_u32_e32 v2, s8, v9
	v_lshl_add_u64 v[6:7], v[2:3], 2, s[4:5]
	v_add_u32_e32 v2, s8, v4
	v_lshl_add_u64 v[10:11], v[2:3], 2, s[4:5]
	global_load_dword v14, v[6:7], off
	global_load_dword v15, v[10:11], off
	v_add_u32_e32 v2, s9, v9
	v_lshl_add_u64 v[6:7], v[2:3], 2, s[4:5]
	v_add_u32_e32 v2, s9, v4
	v_lshl_add_u64 v[12:13], v[2:3], 2, s[4:5]
	s_waitcnt vmcnt(0)
	v_fma_f32 v2, -v5, v14, v15
	global_store_dword v[10:11], v2, off
	global_load_dword v2, v[6:7], off
	s_nop 0
	global_load_dword v4, v[12:13], off
	s_waitcnt vmcnt(0)
	v_fma_f32 v2, -v5, v2, v4
	global_store_dword v[12:13], v2, off
	v_mov_b32_e32 v2, s20
	s_branch .LBB4_18
.LBB4_23:
	s_endpgm
	.section	.rodata,"a",@progbits
	.p2align	6, 0x0
	.amdhsa_kernel _ZN9rocsparseL19gtsv_LBM_rhs_kernelILj256ELj2ELj2EfEEviiiPKT2_S3_S3_PS1_S3_PKi
		.amdhsa_group_segment_fixed_size 0
		.amdhsa_private_segment_fixed_size 0
		.amdhsa_kernarg_size 64
		.amdhsa_user_sgpr_count 2
		.amdhsa_user_sgpr_dispatch_ptr 0
		.amdhsa_user_sgpr_queue_ptr 0
		.amdhsa_user_sgpr_kernarg_segment_ptr 1
		.amdhsa_user_sgpr_dispatch_id 0
		.amdhsa_user_sgpr_kernarg_preload_length 0
		.amdhsa_user_sgpr_kernarg_preload_offset 0
		.amdhsa_user_sgpr_private_segment_size 0
		.amdhsa_uses_dynamic_stack 0
		.amdhsa_enable_private_segment 0
		.amdhsa_system_sgpr_workgroup_id_x 1
		.amdhsa_system_sgpr_workgroup_id_y 1
		.amdhsa_system_sgpr_workgroup_id_z 0
		.amdhsa_system_sgpr_workgroup_info 0
		.amdhsa_system_vgpr_workitem_id 0
		.amdhsa_next_free_vgpr 26
		.amdhsa_next_free_sgpr 26
		.amdhsa_accum_offset 28
		.amdhsa_reserve_vcc 1
		.amdhsa_float_round_mode_32 0
		.amdhsa_float_round_mode_16_64 0
		.amdhsa_float_denorm_mode_32 3
		.amdhsa_float_denorm_mode_16_64 3
		.amdhsa_dx10_clamp 1
		.amdhsa_ieee_mode 1
		.amdhsa_fp16_overflow 0
		.amdhsa_tg_split 0
		.amdhsa_exception_fp_ieee_invalid_op 0
		.amdhsa_exception_fp_denorm_src 0
		.amdhsa_exception_fp_ieee_div_zero 0
		.amdhsa_exception_fp_ieee_overflow 0
		.amdhsa_exception_fp_ieee_underflow 0
		.amdhsa_exception_fp_ieee_inexact 0
		.amdhsa_exception_int_div_zero 0
	.end_amdhsa_kernel
	.section	.text._ZN9rocsparseL19gtsv_LBM_rhs_kernelILj256ELj2ELj2EfEEviiiPKT2_S3_S3_PS1_S3_PKi,"axG",@progbits,_ZN9rocsparseL19gtsv_LBM_rhs_kernelILj256ELj2ELj2EfEEviiiPKT2_S3_S3_PS1_S3_PKi,comdat
.Lfunc_end4:
	.size	_ZN9rocsparseL19gtsv_LBM_rhs_kernelILj256ELj2ELj2EfEEviiiPKT2_S3_S3_PS1_S3_PKi, .Lfunc_end4-_ZN9rocsparseL19gtsv_LBM_rhs_kernelILj256ELj2ELj2EfEEviiiPKT2_S3_S3_PS1_S3_PKi
                                        ; -- End function
	.set _ZN9rocsparseL19gtsv_LBM_rhs_kernelILj256ELj2ELj2EfEEviiiPKT2_S3_S3_PS1_S3_PKi.num_vgpr, 26
	.set _ZN9rocsparseL19gtsv_LBM_rhs_kernelILj256ELj2ELj2EfEEviiiPKT2_S3_S3_PS1_S3_PKi.num_agpr, 0
	.set _ZN9rocsparseL19gtsv_LBM_rhs_kernelILj256ELj2ELj2EfEEviiiPKT2_S3_S3_PS1_S3_PKi.numbered_sgpr, 26
	.set _ZN9rocsparseL19gtsv_LBM_rhs_kernelILj256ELj2ELj2EfEEviiiPKT2_S3_S3_PS1_S3_PKi.num_named_barrier, 0
	.set _ZN9rocsparseL19gtsv_LBM_rhs_kernelILj256ELj2ELj2EfEEviiiPKT2_S3_S3_PS1_S3_PKi.private_seg_size, 0
	.set _ZN9rocsparseL19gtsv_LBM_rhs_kernelILj256ELj2ELj2EfEEviiiPKT2_S3_S3_PS1_S3_PKi.uses_vcc, 1
	.set _ZN9rocsparseL19gtsv_LBM_rhs_kernelILj256ELj2ELj2EfEEviiiPKT2_S3_S3_PS1_S3_PKi.uses_flat_scratch, 0
	.set _ZN9rocsparseL19gtsv_LBM_rhs_kernelILj256ELj2ELj2EfEEviiiPKT2_S3_S3_PS1_S3_PKi.has_dyn_sized_stack, 0
	.set _ZN9rocsparseL19gtsv_LBM_rhs_kernelILj256ELj2ELj2EfEEviiiPKT2_S3_S3_PS1_S3_PKi.has_recursion, 0
	.set _ZN9rocsparseL19gtsv_LBM_rhs_kernelILj256ELj2ELj2EfEEviiiPKT2_S3_S3_PS1_S3_PKi.has_indirect_call, 0
	.section	.AMDGPU.csdata,"",@progbits
; Kernel info:
; codeLenInByte = 1444
; TotalNumSgprs: 32
; NumVgprs: 26
; NumAgprs: 0
; TotalNumVgprs: 26
; ScratchSize: 0
; MemoryBound: 0
; FloatMode: 240
; IeeeMode: 1
; LDSByteSize: 0 bytes/workgroup (compile time only)
; SGPRBlocks: 3
; VGPRBlocks: 3
; NumSGPRsForWavesPerEU: 32
; NumVGPRsForWavesPerEU: 26
; AccumOffset: 28
; Occupancy: 8
; WaveLimiterHint : 0
; COMPUTE_PGM_RSRC2:SCRATCH_EN: 0
; COMPUTE_PGM_RSRC2:USER_SGPR: 2
; COMPUTE_PGM_RSRC2:TRAP_HANDLER: 0
; COMPUTE_PGM_RSRC2:TGID_X_EN: 1
; COMPUTE_PGM_RSRC2:TGID_Y_EN: 1
; COMPUTE_PGM_RSRC2:TGID_Z_EN: 0
; COMPUTE_PGM_RSRC2:TIDIG_COMP_CNT: 0
; COMPUTE_PGM_RSRC3_GFX90A:ACCUM_OFFSET: 6
; COMPUTE_PGM_RSRC3_GFX90A:TG_SPLIT: 0
	.section	.text._ZN9rocsparseL19gtsv_LBM_rhs_kernelILj256ELj2ELj1EfEEviiiPKT2_S3_S3_PS1_S3_PKi,"axG",@progbits,_ZN9rocsparseL19gtsv_LBM_rhs_kernelILj256ELj2ELj1EfEEviiiPKT2_S3_S3_PS1_S3_PKi,comdat
	.globl	_ZN9rocsparseL19gtsv_LBM_rhs_kernelILj256ELj2ELj1EfEEviiiPKT2_S3_S3_PS1_S3_PKi ; -- Begin function _ZN9rocsparseL19gtsv_LBM_rhs_kernelILj256ELj2ELj1EfEEviiiPKT2_S3_S3_PS1_S3_PKi
	.p2align	8
	.type	_ZN9rocsparseL19gtsv_LBM_rhs_kernelILj256ELj2ELj1EfEEviiiPKT2_S3_S3_PS1_S3_PKi,@function
_ZN9rocsparseL19gtsv_LBM_rhs_kernelILj256ELj2ELj1EfEEviiiPKT2_S3_S3_PS1_S3_PKi: ; @_ZN9rocsparseL19gtsv_LBM_rhs_kernelILj256ELj2ELj1EfEEviiiPKT2_S3_S3_PS1_S3_PKi
; %bb.0:
	s_load_dword s22, s[0:1], 0x0
	v_lshl_or_b32 v0, s2, 8, v0
	s_waitcnt lgkmcnt(0)
	s_lshr_b32 s20, s22, 1
	v_cmp_gt_i32_e32 vcc, s20, v0
	s_and_saveexec_b64 s[4:5], vcc
	s_cbranch_execz .LBB5_23
; %bb.1:
	s_load_dwordx4 s[4:7], s[0:1], 0x28
	s_load_dwordx2 s[12:13], s[0:1], 0x38
	s_cmp_lt_i32 s22, 1
	s_mul_i32 s21, s22, s3
	s_cbranch_scc1 .LBB5_15
; %bb.2:
	s_load_dwordx4 s[8:11], s[0:1], 0x10
	s_load_dwordx2 s[14:15], s[0:1], 0x20
	v_ashrrev_i32_e32 v1, 31, v0
	v_add_u32_e32 v8, s20, v0
	v_add_u32_e32 v9, s21, v8
	s_waitcnt lgkmcnt(0)
	v_lshl_add_u64 v[2:3], v[0:1], 2, s[10:11]
	global_load_dword v10, v[2:3], off
	s_and_b32 s23, s22, 0x7ffffffe
	v_mov_b32_e32 v3, 0
	s_mov_b64 s[16:17], 0
	v_mov_b32_e32 v1, 0
	s_branch .LBB5_5
.LBB5_3:                                ;   in Loop: Header=BB5_5 Depth=1
	s_or_b64 exec, exec, s[18:19]
	v_fma_f32 v2, -v10, v6, v7
	v_mov_b32_e32 v12, s20
.LBB5_4:                                ;   in Loop: Header=BB5_5 Depth=1
	s_or_b64 exec, exec, s[2:3]
	v_add_u32_e32 v1, v12, v1
	v_cmp_le_i32_e32 vcc, s22, v1
	s_or_b64 s[16:17], vcc, s[16:17]
	v_mov_b32_e32 v10, v2
	s_andn2_b64 exec, exec, s[16:17]
	s_cbranch_execz .LBB5_14
.LBB5_5:                                ; =>This Inner Loop Header: Depth=1
	v_add_u32_e32 v4, v1, v0
	v_ashrrev_i32_e32 v5, 31, v4
	v_lshl_add_u64 v[6:7], v[4:5], 2, s[14:15]
	global_load_dword v12, v[6:7], off
	v_cmp_gt_u32_e64 s[0:1], s20, v1
	v_add_u32_e32 v6, v8, v1
	v_mov_b32_e32 v11, 0
	s_and_saveexec_b64 s[2:3], s[0:1]
	s_cbranch_execz .LBB5_7
; %bb.6:                                ;   in Loop: Header=BB5_5 Depth=1
	v_ashrrev_i32_e32 v7, 31, v6
	v_lshl_add_u64 v[14:15], v[6:7], 2, s[8:9]
	global_load_dword v11, v[14:15], off
.LBB5_7:                                ;   in Loop: Header=BB5_5 Depth=1
	s_or_b64 exec, exec, s[2:3]
	v_mov_b32_e32 v7, 0
	s_and_saveexec_b64 s[2:3], s[0:1]
	s_cbranch_execz .LBB5_9
; %bb.8:                                ;   in Loop: Header=BB5_5 Depth=1
	v_ashrrev_i32_e32 v7, 31, v6
	v_lshl_add_u64 v[6:7], v[6:7], 2, s[10:11]
	global_load_dword v7, v[6:7], off
.LBB5_9:                                ;   in Loop: Header=BB5_5 Depth=1
	s_or_b64 exec, exec, s[2:3]
	v_lshl_add_u64 v[14:15], v[4:5], 2, s[12:13]
	global_load_dword v6, v[14:15], off
	v_add_u32_e32 v2, s21, v4
	v_lshl_add_u64 v[4:5], v[2:3], 2, s[4:5]
	global_load_dword v13, v[4:5], off
	v_cmp_ne_u32_e32 vcc, s20, v1
	s_waitcnt vmcnt(1)
	v_cmp_ne_u32_e64 s[2:3], 1, v6
	s_and_b64 s[2:3], vcc, s[2:3]
	v_mul_f32_e32 v6, v12, v11
	s_and_saveexec_b64 s[18:19], s[2:3]
	s_xor_b64 s[2:3], exec, s[18:19]
	s_cbranch_execz .LBB5_11
; %bb.10:                               ;   in Loop: Header=BB5_5 Depth=1
	v_add_u32_e32 v2, v9, v1
	v_lshl_add_u64 v[14:15], v[2:3], 2, s[4:5]
	global_load_dword v2, v[14:15], off
	v_fma_f32 v6, v10, v7, -v6
	v_div_scale_f32 v16, s[18:19], v6, v6, 1.0
	v_rcp_f32_e32 v17, v16
	v_div_scale_f32 v18, vcc, 1.0, v6, 1.0
	v_fma_f32 v19, -v16, v17, 1.0
	v_fmac_f32_e32 v17, v19, v17
	v_mul_f32_e32 v19, v18, v17
	v_fma_f32 v20, -v16, v19, v18
	v_fmac_f32_e32 v19, v20, v17
	v_fma_f32 v16, -v16, v19, v18
	v_div_fmas_f32 v16, v16, v17, v19
	v_div_fixup_f32 v6, v16, v6, 1.0
	s_waitcnt vmcnt(1)
	v_mul_f32_e32 v13, v6, v13
	v_mul_f32_e32 v11, v11, v13
	s_waitcnt vmcnt(0)
	v_mul_f32_e32 v2, v6, v2
	v_mul_f32_e32 v6, v12, v2
	v_fma_f32 v6, v7, v13, -v6
	v_fma_f32 v2, v10, v2, -v11
	global_store_dword v[4:5], v6, off
	global_store_dword v[14:15], v2, off
                                        ; implicit-def: $vgpr6
                                        ; implicit-def: $vgpr7
                                        ; implicit-def: $vgpr10
                                        ; implicit-def: $vgpr13
                                        ; implicit-def: $vgpr4_vgpr5
                                        ; implicit-def: $vgpr11
.LBB5_11:                               ;   in Loop: Header=BB5_5 Depth=1
	s_or_saveexec_b64 s[2:3], s[2:3]
	v_mov_b32_e32 v2, 0
	v_mov_b32_e32 v12, s23
	s_xor_b64 exec, exec, s[2:3]
	s_cbranch_execz .LBB5_4
; %bb.12:                               ;   in Loop: Header=BB5_5 Depth=1
	v_div_scale_f32 v2, s[18:19], v10, v10, 1.0
	v_rcp_f32_e32 v12, v2
	v_div_scale_f32 v14, vcc, 1.0, v10, 1.0
	v_fma_f32 v15, -v2, v12, 1.0
	v_fmac_f32_e32 v12, v15, v12
	v_mul_f32_e32 v15, v14, v12
	v_fma_f32 v16, -v2, v15, v14
	v_fmac_f32_e32 v15, v16, v12
	v_fma_f32 v2, -v2, v15, v14
	v_div_fmas_f32 v2, v2, v12, v15
	v_div_fixup_f32 v10, v2, v10, 1.0
	s_waitcnt vmcnt(0)
	v_mul_f32_e32 v12, v10, v13
	global_store_dword v[4:5], v12, off
	s_and_saveexec_b64 s[18:19], s[0:1]
	s_cbranch_execz .LBB5_3
; %bb.13:                               ;   in Loop: Header=BB5_5 Depth=1
	v_add_u32_e32 v2, v9, v1
	v_lshl_add_u64 v[4:5], v[2:3], 2, s[4:5]
	global_load_dword v2, v[4:5], off
	s_waitcnt vmcnt(0)
	v_fma_f32 v2, -v11, v12, v2
	global_store_dword v[4:5], v2, off
	s_branch .LBB5_3
.LBB5_14:
	s_or_b64 exec, exec, s[16:17]
	s_branch .LBB5_16
.LBB5_15:
	v_mov_b32_e32 v1, 0
.LBB5_16:
	v_subrev_u32_e32 v1, s20, v1
	v_add_u32_e32 v2, v1, v0
	v_ashrrev_i32_e32 v3, 31, v2
	s_waitcnt lgkmcnt(0)
	v_lshl_add_u64 v[2:3], v[2:3], 2, s[12:13]
	buffer_wbl2 sc1
	s_waitcnt vmcnt(0)
	buffer_inv sc1
	global_load_dword v2, v[2:3], off
	s_waitcnt vmcnt(0)
	v_mul_lo_u32 v2, v2, s20
	v_sub_u32_e32 v1, v1, v2
	v_cmp_lt_i32_e32 vcc, -1, v1
	s_and_b64 exec, exec, vcc
	s_cbranch_execz .LBB5_23
; %bb.17:
	s_add_i32 s0, s21, s20
	v_add_u32_e32 v6, s0, v0
	s_and_b32 s8, s22, -2
	s_mov_b64 s[0:1], 0
	v_mov_b32_e32 v3, 0
	s_branch .LBB5_19
.LBB5_18:                               ;   in Loop: Header=BB5_19 Depth=1
	s_or_b64 exec, exec, s[2:3]
	v_sub_u32_e32 v1, v1, v2
	v_cmp_gt_i32_e32 vcc, 0, v1
	s_or_b64 s[0:1], vcc, s[0:1]
	s_andn2_b64 exec, exec, s[0:1]
	s_cbranch_execz .LBB5_23
.LBB5_19:                               ; =>This Inner Loop Header: Depth=1
	v_add_u32_e32 v4, v1, v0
	s_waitcnt vmcnt(0)
	v_ashrrev_i32_e32 v5, 31, v4
	v_lshlrev_b64 v[8:9], 2, v[4:5]
	v_lshl_add_u64 v[10:11], s[12:13], 0, v[8:9]
	global_load_dword v2, v[10:11], off
	v_lshl_add_u64 v[8:9], s[6:7], 0, v[8:9]
	global_load_dword v5, v[8:9], off
	s_waitcnt vmcnt(1)
	v_cmp_ne_u32_e32 vcc, 1, v2
	s_and_saveexec_b64 s[2:3], vcc
	s_xor_b64 s[2:3], exec, s[2:3]
	s_cbranch_execz .LBB5_21
; %bb.20:                               ;   in Loop: Header=BB5_19 Depth=1
	v_add_u32_e32 v2, v6, v1
	v_lshl_add_u64 v[8:9], v[2:3], 2, s[4:5]
	v_add_u32_e32 v2, s21, v4
	v_lshl_add_u64 v[10:11], v[2:3], 2, s[4:5]
	global_load_dword v7, v[8:9], off
	global_load_dword v4, v[10:11], off
	v_subrev_u32_e32 v2, s20, v1
	v_add_u32_e32 v8, v2, v0
	v_ashrrev_i32_e32 v9, 31, v8
	v_add_u32_e32 v2, s21, v8
	v_lshl_add_u64 v[8:9], v[8:9], 2, s[6:7]
	global_load_dword v8, v[8:9], off
	s_waitcnt vmcnt(1)
	v_fma_f32 v4, -v5, v7, v4
	global_store_dword v[10:11], v4, off
	v_lshl_add_u64 v[4:5], v[2:3], 2, s[4:5]
	global_load_dword v2, v[4:5], off
	s_waitcnt vmcnt(0)
	v_fma_f32 v2, -v8, v7, v2
	global_store_dword v[4:5], v2, off
                                        ; implicit-def: $vgpr4
                                        ; implicit-def: $vgpr5
.LBB5_21:                               ;   in Loop: Header=BB5_19 Depth=1
	s_or_saveexec_b64 s[2:3], s[2:3]
	v_mov_b32_e32 v2, s8
	s_xor_b64 exec, exec, s[2:3]
	s_cbranch_execz .LBB5_18
; %bb.22:                               ;   in Loop: Header=BB5_19 Depth=1
	v_add_u32_e32 v2, v6, v1
	v_lshl_add_u64 v[8:9], v[2:3], 2, s[4:5]
	v_add_u32_e32 v2, s21, v4
	v_lshl_add_u64 v[10:11], v[2:3], 2, s[4:5]
	global_load_dword v2, v[8:9], off
	global_load_dword v4, v[10:11], off
	s_waitcnt vmcnt(0)
	v_fma_f32 v2, -v5, v2, v4
	global_store_dword v[10:11], v2, off
	v_mov_b32_e32 v2, s20
	s_branch .LBB5_18
.LBB5_23:
	s_endpgm
	.section	.rodata,"a",@progbits
	.p2align	6, 0x0
	.amdhsa_kernel _ZN9rocsparseL19gtsv_LBM_rhs_kernelILj256ELj2ELj1EfEEviiiPKT2_S3_S3_PS1_S3_PKi
		.amdhsa_group_segment_fixed_size 0
		.amdhsa_private_segment_fixed_size 0
		.amdhsa_kernarg_size 64
		.amdhsa_user_sgpr_count 2
		.amdhsa_user_sgpr_dispatch_ptr 0
		.amdhsa_user_sgpr_queue_ptr 0
		.amdhsa_user_sgpr_kernarg_segment_ptr 1
		.amdhsa_user_sgpr_dispatch_id 0
		.amdhsa_user_sgpr_kernarg_preload_length 0
		.amdhsa_user_sgpr_kernarg_preload_offset 0
		.amdhsa_user_sgpr_private_segment_size 0
		.amdhsa_uses_dynamic_stack 0
		.amdhsa_enable_private_segment 0
		.amdhsa_system_sgpr_workgroup_id_x 1
		.amdhsa_system_sgpr_workgroup_id_y 1
		.amdhsa_system_sgpr_workgroup_id_z 0
		.amdhsa_system_sgpr_workgroup_info 0
		.amdhsa_system_vgpr_workitem_id 0
		.amdhsa_next_free_vgpr 21
		.amdhsa_next_free_sgpr 24
		.amdhsa_accum_offset 24
		.amdhsa_reserve_vcc 1
		.amdhsa_float_round_mode_32 0
		.amdhsa_float_round_mode_16_64 0
		.amdhsa_float_denorm_mode_32 3
		.amdhsa_float_denorm_mode_16_64 3
		.amdhsa_dx10_clamp 1
		.amdhsa_ieee_mode 1
		.amdhsa_fp16_overflow 0
		.amdhsa_tg_split 0
		.amdhsa_exception_fp_ieee_invalid_op 0
		.amdhsa_exception_fp_denorm_src 0
		.amdhsa_exception_fp_ieee_div_zero 0
		.amdhsa_exception_fp_ieee_overflow 0
		.amdhsa_exception_fp_ieee_underflow 0
		.amdhsa_exception_fp_ieee_inexact 0
		.amdhsa_exception_int_div_zero 0
	.end_amdhsa_kernel
	.section	.text._ZN9rocsparseL19gtsv_LBM_rhs_kernelILj256ELj2ELj1EfEEviiiPKT2_S3_S3_PS1_S3_PKi,"axG",@progbits,_ZN9rocsparseL19gtsv_LBM_rhs_kernelILj256ELj2ELj1EfEEviiiPKT2_S3_S3_PS1_S3_PKi,comdat
.Lfunc_end5:
	.size	_ZN9rocsparseL19gtsv_LBM_rhs_kernelILj256ELj2ELj1EfEEviiiPKT2_S3_S3_PS1_S3_PKi, .Lfunc_end5-_ZN9rocsparseL19gtsv_LBM_rhs_kernelILj256ELj2ELj1EfEEviiiPKT2_S3_S3_PS1_S3_PKi
                                        ; -- End function
	.set _ZN9rocsparseL19gtsv_LBM_rhs_kernelILj256ELj2ELj1EfEEviiiPKT2_S3_S3_PS1_S3_PKi.num_vgpr, 21
	.set _ZN9rocsparseL19gtsv_LBM_rhs_kernelILj256ELj2ELj1EfEEviiiPKT2_S3_S3_PS1_S3_PKi.num_agpr, 0
	.set _ZN9rocsparseL19gtsv_LBM_rhs_kernelILj256ELj2ELj1EfEEviiiPKT2_S3_S3_PS1_S3_PKi.numbered_sgpr, 24
	.set _ZN9rocsparseL19gtsv_LBM_rhs_kernelILj256ELj2ELj1EfEEviiiPKT2_S3_S3_PS1_S3_PKi.num_named_barrier, 0
	.set _ZN9rocsparseL19gtsv_LBM_rhs_kernelILj256ELj2ELj1EfEEviiiPKT2_S3_S3_PS1_S3_PKi.private_seg_size, 0
	.set _ZN9rocsparseL19gtsv_LBM_rhs_kernelILj256ELj2ELj1EfEEviiiPKT2_S3_S3_PS1_S3_PKi.uses_vcc, 1
	.set _ZN9rocsparseL19gtsv_LBM_rhs_kernelILj256ELj2ELj1EfEEviiiPKT2_S3_S3_PS1_S3_PKi.uses_flat_scratch, 0
	.set _ZN9rocsparseL19gtsv_LBM_rhs_kernelILj256ELj2ELj1EfEEviiiPKT2_S3_S3_PS1_S3_PKi.has_dyn_sized_stack, 0
	.set _ZN9rocsparseL19gtsv_LBM_rhs_kernelILj256ELj2ELj1EfEEviiiPKT2_S3_S3_PS1_S3_PKi.has_recursion, 0
	.set _ZN9rocsparseL19gtsv_LBM_rhs_kernelILj256ELj2ELj1EfEEviiiPKT2_S3_S3_PS1_S3_PKi.has_indirect_call, 0
	.section	.AMDGPU.csdata,"",@progbits
; Kernel info:
; codeLenInByte = 1104
; TotalNumSgprs: 30
; NumVgprs: 21
; NumAgprs: 0
; TotalNumVgprs: 21
; ScratchSize: 0
; MemoryBound: 0
; FloatMode: 240
; IeeeMode: 1
; LDSByteSize: 0 bytes/workgroup (compile time only)
; SGPRBlocks: 3
; VGPRBlocks: 2
; NumSGPRsForWavesPerEU: 30
; NumVGPRsForWavesPerEU: 21
; AccumOffset: 24
; Occupancy: 8
; WaveLimiterHint : 0
; COMPUTE_PGM_RSRC2:SCRATCH_EN: 0
; COMPUTE_PGM_RSRC2:USER_SGPR: 2
; COMPUTE_PGM_RSRC2:TRAP_HANDLER: 0
; COMPUTE_PGM_RSRC2:TGID_X_EN: 1
; COMPUTE_PGM_RSRC2:TGID_Y_EN: 1
; COMPUTE_PGM_RSRC2:TGID_Z_EN: 0
; COMPUTE_PGM_RSRC2:TIDIG_COMP_CNT: 0
; COMPUTE_PGM_RSRC3_GFX90A:ACCUM_OFFSET: 5
; COMPUTE_PGM_RSRC3_GFX90A:TG_SPLIT: 0
	.section	.text._ZN9rocsparseL29gtsv_spike_block_level_kernelILj256ELj2EfEEviiiPT1_PKS1_S4_S2_S2_S2_S2_S2_,"axG",@progbits,_ZN9rocsparseL29gtsv_spike_block_level_kernelILj256ELj2EfEEviiiPT1_PKS1_S4_S2_S2_S2_S2_S2_,comdat
	.globl	_ZN9rocsparseL29gtsv_spike_block_level_kernelILj256ELj2EfEEviiiPT1_PKS1_S4_S2_S2_S2_S2_S2_ ; -- Begin function _ZN9rocsparseL29gtsv_spike_block_level_kernelILj256ELj2EfEEviiiPT1_PKS1_S4_S2_S2_S2_S2_S2_
	.p2align	8
	.type	_ZN9rocsparseL29gtsv_spike_block_level_kernelILj256ELj2EfEEviiiPT1_PKS1_S4_S2_S2_S2_S2_S2_,@function
_ZN9rocsparseL29gtsv_spike_block_level_kernelILj256ELj2EfEEviiiPT1_PKS1_S4_S2_S2_S2_S2_S2_: ; @_ZN9rocsparseL29gtsv_spike_block_level_kernelILj256ELj2EfEEviiiPT1_PKS1_S4_S2_S2_S2_S2_S2_
; %bb.0:
	s_load_dword s19, s[0:1], 0x0
	s_load_dwordx2 s[8:9], s[0:1], 0x18
	v_lshl_or_b32 v2, s2, 8, v0
	v_mov_b32_e32 v6, 0
	v_mov_b32_e32 v3, 0
	s_waitcnt lgkmcnt(0)
	s_lshr_b32 s18, s19, 1
	v_cmp_gt_i32_e64 s[4:5], s18, v2
	s_and_saveexec_b64 s[6:7], s[4:5]
	s_cbranch_execz .LBB6_2
; %bb.1:
	v_ashrrev_i32_e32 v3, 31, v2
	v_lshl_add_u64 v[4:5], v[2:3], 2, s[8:9]
	global_load_dword v3, v[4:5], off
.LBB6_2:
	s_or_b64 exec, exec, s[6:7]
	s_load_dwordx2 s[6:7], s[0:1], 0x20
	v_lshlrev_b32_e32 v1, 2, v0
	v_or_b32_e32 v5, 0x800, v1
	v_add_u32_e32 v4, s18, v2
	s_waitcnt vmcnt(0)
	ds_write_b32 v1, v3 offset:2048
	s_and_saveexec_b64 s[10:11], s[4:5]
	s_cbranch_execz .LBB6_4
; %bb.3:
	v_add_u32_e32 v6, s18, v2
	v_mov_b32_e32 v7, 0
	v_lshl_add_u64 v[6:7], v[6:7], 2, s[8:9]
	global_load_dword v6, v[6:7], off
.LBB6_4:
	s_or_b64 exec, exec, s[10:11]
	s_waitcnt vmcnt(0)
	ds_write_b32 v5, v6 offset:1024
	v_mov_b32_e32 v6, 0
	v_mov_b32_e32 v3, 0
	s_and_saveexec_b64 s[8:9], s[4:5]
	s_cbranch_execz .LBB6_6
; %bb.5:
	v_ashrrev_i32_e32 v3, 31, v2
	s_waitcnt lgkmcnt(0)
	v_lshl_add_u64 v[8:9], v[2:3], 2, s[6:7]
	global_load_dword v3, v[8:9], off
.LBB6_6:
	s_or_b64 exec, exec, s[8:9]
	s_load_dwordx2 s[12:13], s[0:1], 0x10
	s_waitcnt vmcnt(0)
	ds_write_b32 v1, v3
	s_and_saveexec_b64 s[8:9], s[4:5]
	s_cbranch_execz .LBB6_8
; %bb.7:
	v_add_u32_e32 v6, s18, v2
	v_mov_b32_e32 v7, 0
	s_waitcnt lgkmcnt(0)
	v_lshl_add_u64 v[6:7], v[6:7], 2, s[6:7]
	global_load_dword v6, v[6:7], off
.LBB6_8:
	s_or_b64 exec, exec, s[8:9]
	s_mul_i32 s19, s19, s3
	s_waitcnt vmcnt(0)
	ds_write_b32 v1, v6 offset:1024
	v_mov_b32_e32 v3, 0
	v_add_u32_e32 v6, s19, v2
	v_mov_b32_e32 v8, 0
	s_waitcnt lgkmcnt(0)
	s_and_saveexec_b64 s[6:7], s[4:5]
	s_cbranch_execz .LBB6_10
; %bb.9:
	v_ashrrev_i32_e32 v7, 31, v6
	v_lshl_add_u64 v[8:9], v[6:7], 2, s[12:13]
	global_load_dword v8, v[8:9], off
.LBB6_10:
	s_or_b64 exec, exec, s[6:7]
	v_or_b32_e32 v7, 0x1000, v1
	s_waitcnt vmcnt(0)
	ds_write_b32 v1, v8 offset:4096
	s_and_saveexec_b64 s[6:7], s[4:5]
	s_cbranch_execz .LBB6_12
; %bb.11:
	s_add_i32 s8, s19, s18
	v_add_u32_e32 v8, s8, v2
	v_mov_b32_e32 v9, 0
	v_lshl_add_u64 v[8:9], v[8:9], 2, s[12:13]
	global_load_dword v3, v[8:9], off
.LBB6_12:
	s_or_b64 exec, exec, s[6:7]
	s_movk_i32 s6, 0x80
	v_cmp_gt_u32_e32 vcc, s6, v0
	s_waitcnt vmcnt(0)
	ds_write_b32 v7, v3 offset:1024
	s_waitcnt lgkmcnt(0)
	s_barrier
	s_and_saveexec_b64 s[6:7], vcc
	s_cbranch_execz .LBB6_14
; %bb.13:
	v_add_u32_e32 v3, v5, v1
	v_add_u32_e32 v22, v1, v1
	ds_read2st64_b64 v[8:11], v3 offset1:2
	ds_read2st64_b64 v[12:15], v22 offset1:2
	v_add_u32_e32 v23, v7, v1
	ds_read2st64_b64 v[16:19], v23 offset1:2
	s_waitcnt lgkmcnt(1)
	v_fma_f32 v20, -v9, v14, 1.0
	v_div_scale_f32 v21, s[8:9], v20, v20, 1.0
	v_rcp_f32_e32 v24, v21
	v_div_scale_f32 v25, vcc, 1.0, v20, 1.0
	v_fma_f32 v26, -v21, v24, 1.0
	v_fmac_f32_e32 v24, v26, v24
	v_mul_f32_e32 v26, v25, v24
	v_fma_f32 v27, -v21, v26, v25
	v_fmac_f32_e32 v26, v27, v24
	v_fma_f32 v21, -v21, v26, v25
	v_div_fmas_f32 v21, v21, v24, v26
	v_div_fixup_f32 v24, v21, v20, 1.0
	s_waitcnt lgkmcnt(0)
	v_fma_f32 v20, -v14, v17, v18
	v_fma_f32 v17, -v9, v18, v17
	v_mul_f32_e32 v14, v14, v13
	v_mul_f32_e32 v9, v9, v10
	;; [unrolled: 1-line block ×4, first 2 shown]
	v_mul_f32_e64 v14, v14, -v24
	v_mul_f32_e32 v13, v24, v13
	v_mul_f32_e64 v9, v9, -v24
	v_mul_f32_e32 v10, v24, v10
	v_fma_f32 v16, -v17, v12, v16
	v_fma_f32 v21, -v11, v20, v19
	;; [unrolled: 1-line block ×3, first 2 shown]
	v_mul_f32_e64 v12, v13, -v12
	v_fma_f32 v15, -v14, v11, v15
	v_mul_f32_e64 v11, v10, -v11
	ds_write2st64_b64 v23, v[16:17], v[20:21] offset1:2
	ds_write2st64_b64 v22, v[12:13], v[14:15] offset1:2
	;; [unrolled: 1-line block ×3, first 2 shown]
.LBB6_14:
	s_or_b64 exec, exec, s[6:7]
	v_cmp_gt_u32_e32 vcc, 64, v0
	s_waitcnt lgkmcnt(0)
	s_barrier
	s_and_saveexec_b64 s[6:7], vcc
	s_cbranch_execz .LBB6_16
; %bb.15:
	v_lshlrev_b32_e32 v3, 4, v0
	v_add_u32_e32 v20, 0x800, v3
	v_add_u32_e32 v21, 0x400, v3
	ds_read2_b32 v[8:9], v20 offset1:2
	ds_read2_b32 v[10:11], v21 offset0:1 offset1:3
	v_mad_u32_u24 v22, v0, 12, v7
	v_add_u32_e32 v23, 0x400, v22
	v_add_u32_e32 v26, 0xc00, v3
	s_waitcnt lgkmcnt(0)
	v_fma_f32 v16, -v9, v10, 1.0
	v_div_scale_f32 v17, s[8:9], v16, v16, 1.0
	v_rcp_f32_e32 v18, v17
	v_div_scale_f32 v19, vcc, 1.0, v16, 1.0
	v_fma_f32 v12, -v17, v18, 1.0
	v_fmac_f32_e32 v18, v12, v18
	v_mul_f32_e32 v24, v19, v18
	v_fma_f32 v12, -v17, v24, v19
	v_fmac_f32_e32 v24, v12, v18
	ds_read2_b32 v[12:13], v23 offset0:1 offset1:3
	ds_read2_b32 v[14:15], v22 offset1:2
	v_fma_f32 v17, -v17, v24, v19
	v_div_fmas_f32 v17, v17, v18, v24
	v_div_fixup_f32 v24, v17, v16, 1.0
	ds_read2_b32 v[18:19], v26 offset0:1 offset1:3
	s_waitcnt lgkmcnt(1)
	v_fma_f32 v16, -v10, v15, v12
	v_mul_f32_e32 v25, v24, v16
	ds_read2_b32 v[16:17], v3 offset1:2
	v_fma_f32 v12, -v9, v12, v15
	v_mul_f32_e32 v12, v12, v24
	s_waitcnt lgkmcnt(1)
	v_mul_f32_e32 v9, v9, v18
	v_mul_f32_e64 v9, v9, -v24
	s_waitcnt lgkmcnt(0)
	v_fma_f32 v14, -v12, v16, v14
	ds_write2_b32 v22, v14, v12 offset1:2
	v_fma_f32 v12, -v19, v25, v13
	ds_write2_b32 v23, v25, v12 offset0:1 offset1:3
	v_mul_f32_e32 v10, v10, v17
	v_mul_f32_e32 v12, v24, v17
	v_fma_f32 v8, -v9, v16, v8
	v_mul_f32_e64 v10, v10, -v24
	ds_write2_b32 v20, v8, v9 offset1:2
	v_mul_f32_e64 v8, v12, -v16
	v_mul_f32_e32 v13, v24, v18
	ds_write2_b32 v3, v8, v12 offset1:2
	v_fma_f32 v3, -v10, v19, v11
	ds_write2_b32 v21, v10, v3 offset0:1 offset1:3
	v_mul_f32_e64 v3, v13, -v19
	ds_write2_b32 v26, v13, v3 offset0:1 offset1:3
.LBB6_16:
	s_or_b64 exec, exec, s[6:7]
	v_cmp_gt_u32_e32 vcc, 32, v0
	s_waitcnt lgkmcnt(0)
	s_barrier
	s_and_saveexec_b64 s[6:7], vcc
	s_cbranch_execz .LBB6_18
; %bb.17:
	v_lshlrev_b32_e32 v3, 5, v0
	v_add_u32_e32 v20, 0x800, v3
	v_add_u32_e32 v21, 0x400, v3
	ds_read2_b32 v[8:9], v20 offset1:4
	ds_read2_b32 v[10:11], v21 offset0:3 offset1:7
	v_add_u32_e32 v22, 0x1400, v3
	v_add_u32_e32 v24, 0x1000, v3
	ds_read2_b32 v[12:13], v22 offset0:3 offset1:7
	v_add_u32_e32 v26, 0xc00, v3
	s_waitcnt lgkmcnt(1)
	v_fma_f32 v16, -v9, v10, 1.0
	v_div_scale_f32 v17, s[8:9], v16, v16, 1.0
	v_rcp_f32_e32 v18, v17
	v_div_scale_f32 v19, vcc, 1.0, v16, 1.0
	v_fma_f32 v14, -v17, v18, 1.0
	v_fmac_f32_e32 v18, v14, v18
	v_mul_f32_e32 v23, v19, v18
	v_fma_f32 v14, -v17, v23, v19
	v_fmac_f32_e32 v23, v14, v18
	ds_read2_b32 v[14:15], v24 offset1:4
	v_fma_f32 v17, -v17, v23, v19
	v_div_fmas_f32 v17, v17, v18, v23
	v_div_fixup_f32 v23, v17, v16, 1.0
	ds_read2_b32 v[18:19], v26 offset0:3 offset1:7
	s_waitcnt lgkmcnt(1)
	v_fma_f32 v16, -v10, v15, v12
	v_mul_f32_e32 v25, v23, v16
	ds_read2_b32 v[16:17], v3 offset1:4
	v_fma_f32 v12, -v9, v12, v15
	v_mul_f32_e32 v12, v12, v23
	s_waitcnt lgkmcnt(1)
	v_mul_f32_e32 v9, v9, v18
	v_mul_f32_e64 v9, v9, -v23
	s_waitcnt lgkmcnt(0)
	v_fma_f32 v14, -v12, v16, v14
	ds_write2_b32 v24, v14, v12 offset1:4
	v_fma_f32 v12, -v19, v25, v13
	ds_write2_b32 v22, v25, v12 offset0:3 offset1:7
	v_mul_f32_e32 v10, v10, v17
	v_mul_f32_e32 v12, v23, v17
	v_fma_f32 v8, -v9, v16, v8
	v_mul_f32_e64 v10, v10, -v23
	ds_write2_b32 v20, v8, v9 offset1:4
	v_mul_f32_e64 v8, v12, -v16
	v_mul_f32_e32 v13, v23, v18
	ds_write2_b32 v3, v8, v12 offset1:4
	v_fma_f32 v3, -v10, v19, v11
	ds_write2_b32 v21, v10, v3 offset0:3 offset1:7
	v_mul_f32_e64 v3, v13, -v19
	ds_write2_b32 v26, v13, v3 offset0:3 offset1:7
.LBB6_18:
	s_or_b64 exec, exec, s[6:7]
	v_cmp_gt_u32_e32 vcc, 16, v0
	s_waitcnt lgkmcnt(0)
	s_barrier
	s_and_saveexec_b64 s[6:7], vcc
	s_cbranch_execz .LBB6_20
; %bb.19:
	v_lshlrev_b32_e32 v3, 6, v0
	v_add_u32_e32 v20, 0x800, v3
	v_add_u32_e32 v21, 0x400, v3
	ds_read2_b32 v[8:9], v20 offset1:8
	ds_read2_b32 v[10:11], v21 offset0:7 offset1:15
	v_add_u32_e32 v22, 0x1400, v3
	v_add_u32_e32 v24, 0x1000, v3
	ds_read2_b32 v[12:13], v22 offset0:7 offset1:15
	v_add_u32_e32 v26, 0xc00, v3
	s_waitcnt lgkmcnt(1)
	v_fma_f32 v16, -v9, v10, 1.0
	v_div_scale_f32 v17, s[8:9], v16, v16, 1.0
	v_rcp_f32_e32 v18, v17
	v_div_scale_f32 v19, vcc, 1.0, v16, 1.0
	v_fma_f32 v14, -v17, v18, 1.0
	v_fmac_f32_e32 v18, v14, v18
	v_mul_f32_e32 v23, v19, v18
	v_fma_f32 v14, -v17, v23, v19
	v_fmac_f32_e32 v23, v14, v18
	ds_read2_b32 v[14:15], v24 offset1:8
	v_fma_f32 v17, -v17, v23, v19
	v_div_fmas_f32 v17, v17, v18, v23
	v_div_fixup_f32 v23, v17, v16, 1.0
	ds_read2_b32 v[18:19], v26 offset0:7 offset1:15
	s_waitcnt lgkmcnt(1)
	v_fma_f32 v16, -v10, v15, v12
	v_mul_f32_e32 v25, v23, v16
	ds_read2_b32 v[16:17], v3 offset1:8
	v_fma_f32 v12, -v9, v12, v15
	v_mul_f32_e32 v12, v12, v23
	s_waitcnt lgkmcnt(1)
	v_mul_f32_e32 v9, v9, v18
	v_mul_f32_e64 v9, v9, -v23
	s_waitcnt lgkmcnt(0)
	v_fma_f32 v14, -v12, v16, v14
	ds_write2_b32 v24, v14, v12 offset1:8
	v_fma_f32 v12, -v19, v25, v13
	ds_write2_b32 v22, v25, v12 offset0:7 offset1:15
	v_mul_f32_e32 v10, v10, v17
	v_mul_f32_e32 v12, v23, v17
	v_fma_f32 v8, -v9, v16, v8
	v_mul_f32_e64 v10, v10, -v23
	ds_write2_b32 v20, v8, v9 offset1:8
	v_mul_f32_e64 v8, v12, -v16
	v_mul_f32_e32 v13, v23, v18
	ds_write2_b32 v3, v8, v12 offset1:8
	v_fma_f32 v3, -v10, v19, v11
	ds_write2_b32 v21, v10, v3 offset0:7 offset1:15
	v_mul_f32_e64 v3, v13, -v19
	ds_write2_b32 v26, v13, v3 offset0:7 offset1:15
.LBB6_20:
	;; [unrolled: 58-line block ×4, first 2 shown]
	s_or_b64 exec, exec, s[6:7]
	v_cmp_gt_u32_e32 vcc, 2, v0
	s_waitcnt lgkmcnt(0)
	s_barrier
	s_and_saveexec_b64 s[6:7], vcc
	s_cbranch_execz .LBB6_26
; %bb.25:
	v_lshlrev_b32_e32 v3, 9, v0
	v_add_u32_e32 v20, 0xfc, v3
	ds_read2st64_b32 v[8:9], v20 offset0:4 offset1:5
	ds_read2st64_b32 v[10:11], v3 offset0:8 offset1:9
	ds_read2st64_b32 v[12:13], v3 offset0:16 offset1:17
	ds_read2st64_b32 v[14:15], v3 offset1:1
	ds_read2st64_b32 v[16:17], v20 offset0:12 offset1:13
	ds_read2st64_b32 v[18:19], v20 offset0:20 offset1:21
	s_waitcnt lgkmcnt(4)
	v_fma_f32 v21, -v11, v8, 1.0
	v_div_scale_f32 v22, s[8:9], v21, v21, 1.0
	v_rcp_f32_e32 v23, v22
	s_nop 0
	v_fma_f32 v24, -v22, v23, 1.0
	v_fmac_f32_e32 v23, v24, v23
	v_div_scale_f32 v24, vcc, 1.0, v21, 1.0
	v_mul_f32_e32 v25, v24, v23
	v_fma_f32 v26, -v22, v25, v24
	v_fmac_f32_e32 v25, v26, v23
	v_fma_f32 v22, -v22, v25, v24
	v_div_fmas_f32 v22, v22, v23, v25
	v_div_fixup_f32 v21, v22, v21, 1.0
	s_waitcnt lgkmcnt(0)
	v_fma_f32 v22, -v8, v13, v18
	v_fma_f32 v13, -v11, v18, v13
	v_mul_f32_e32 v13, v13, v21
	v_mul_f32_e32 v22, v21, v22
	v_fma_f32 v12, -v13, v14, v12
	v_mul_f32_e32 v11, v11, v16
	ds_write2st64_b32 v3, v12, v13 offset0:16 offset1:17
	v_fma_f32 v12, -v17, v22, v19
	v_mul_f32_e64 v11, v11, -v21
	ds_write2st64_b32 v20, v22, v12 offset0:20 offset1:21
	v_mul_f32_e32 v8, v8, v15
	v_mul_f32_e32 v12, v21, v15
	v_fma_f32 v10, -v11, v14, v10
	v_mul_f32_e64 v8, v8, -v21
	ds_write2st64_b32 v3, v10, v11 offset0:8 offset1:9
	v_mul_f32_e64 v10, v12, -v14
	v_mul_f32_e32 v13, v21, v16
	ds_write2st64_b32 v3, v10, v12 offset1:1
	v_fma_f32 v3, -v8, v17, v9
	ds_write2st64_b32 v20, v8, v3 offset0:4 offset1:5
	v_mul_f32_e64 v3, v13, -v17
	ds_write2st64_b32 v20, v13, v3 offset0:12 offset1:13
.LBB6_26:
	s_or_b64 exec, exec, s[6:7]
	v_cmp_eq_u32_e64 s[6:7], 0, v0
	s_waitcnt lgkmcnt(0)
	s_barrier
	s_and_saveexec_b64 s[8:9], s[6:7]
	s_cbranch_execz .LBB6_28
; %bb.27:
	s_movk_i32 s10, 0xa00
	v_add_u32_e64 v3, s10, 0
	v_mov_b32_e32 v0, 0
	ds_read2_b32 v[8:9], v3 offset1:255
	ds_read_b32 v18, v0 offset:1532
	v_mov_b32_e32 v19, 0x7fc
	ds_read2_b32 v[10:11], v19 offset1:1
	ds_read_b32 v20, v0 offset:6140
	v_mov_b32_e32 v22, 0xffc
	ds_read2_b32 v[12:13], v22 offset1:1
	s_waitcnt lgkmcnt(3)
	v_fma_f32 v16, -v8, v18, 1.0
	v_div_scale_f32 v17, s[10:11], v16, v16, 1.0
	v_rcp_f32_e32 v21, v17
	v_div_scale_f32 v23, vcc, 1.0, v16, 1.0
	s_movk_i32 s10, 0x1200
	v_fma_f32 v14, -v17, v21, 1.0
	v_fmac_f32_e32 v21, v14, v21
	v_mul_f32_e32 v24, v23, v21
	v_fma_f32 v14, -v17, v24, v23
	v_fmac_f32_e32 v24, v14, v21
	v_add_u32_e64 v25, s10, 0
	ds_read2_b32 v[14:15], v25 offset1:255
	v_fma_f32 v17, -v17, v24, v23
	v_div_fmas_f32 v17, v17, v21, v24
	v_div_fixup_f32 v21, v17, v16, 1.0
	ds_read2st64_b32 v[16:17], v0 offset1:2
	s_waitcnt lgkmcnt(1)
	v_fma_f32 v23, -v18, v14, v15
	v_fma_f32 v14, -v8, v15, v14
	v_mul_f32_e32 v23, v21, v23
	v_mul_f32_e32 v14, v14, v21
	ds_write2_b32 v25, v14, v23 offset1:255
	s_waitcnt lgkmcnt(1)
	v_fma_f32 v13, -v14, v16, v13
	v_fma_f32 v14, -v12, v23, v20
	v_mul_f32_e32 v8, v8, v9
	ds_write_b32 v0, v14 offset:6140
	v_mul_f32_e32 v14, v18, v17
	v_mul_f32_e32 v15, v21, v17
	v_mul_f32_e64 v8, v8, -v21
	v_mul_f32_e32 v9, v21, v9
	v_mul_f32_e64 v14, v14, -v21
	ds_write2_b32 v3, v8, v9 offset1:255
	v_fma_f32 v3, -v8, v16, v11
	v_mul_f32_e64 v8, v15, -v16
	ds_write_b32 v0, v14 offset:1532
	ds_write2st64_b32 v0, v8, v15 offset1:2
	v_fma_f32 v0, -v14, v12, v10
	ds_write2_b32 v19, v0, v3 offset1:1
	v_mul_f32_e64 v0, v9, -v12
	ds_write2_b32 v22, v0, v13 offset1:1
.LBB6_28:
	s_or_b64 exec, exec, s[8:9]
	s_load_dwordx2 s[14:15], s[0:1], 0x48
	s_load_dwordx4 s[8:11], s[0:1], 0x38
	s_waitcnt lgkmcnt(0)
	s_barrier
	s_and_saveexec_b64 s[16:17], s[4:5]
	s_cbranch_execnz .LBB6_31
; %bb.29:
	s_or_b64 exec, exec, s[16:17]
	s_and_saveexec_b64 s[4:5], s[6:7]
	s_cbranch_execnz .LBB6_35
.LBB6_30:
	s_endpgm
.LBB6_31:
	s_cmp_eq_u32 s3, 0
	s_cbranch_scc1 .LBB6_39
; %bb.32:
	v_add_u32_e32 v0, s18, v2
	s_cbranch_execnz .LBB6_34
.LBB6_33:
	s_load_dwordx4 s[20:23], s[0:1], 0x28
	ds_read2st64_b32 v[8:9], v5 offset1:4
	ds_read2st64_b32 v[0:1], v1 offset1:4
	v_ashrrev_i32_e32 v3, 31, v2
	v_lshlrev_b64 v[2:3], 2, v[2:3]
	v_mov_b32_e32 v5, 0
	s_waitcnt lgkmcnt(0)
	v_lshl_add_u64 v[10:11], s[20:21], 0, v[2:3]
	global_store_dword v[10:11], v8, off
	v_lshlrev_b64 v[10:11], 2, v[4:5]
	v_lshl_add_u64 v[2:3], s[22:23], 0, v[2:3]
	v_lshl_add_u64 v[12:13], s[20:21], 0, v[10:11]
	global_store_dword v[2:3], v0, off
	v_lshl_add_u64 v[2:3], s[22:23], 0, v[10:11]
	v_mov_b32_e32 v0, v4
	global_store_dword v[12:13], v9, off
	global_store_dword v[2:3], v1, off
.LBB6_34:
	ds_read2st64_b32 v[2:3], v7 offset1:4
	v_ashrrev_i32_e32 v7, 31, v6
	v_add_u32_e32 v0, s19, v0
	v_mov_b32_e32 v1, 0
	v_lshl_add_u64 v[4:5], v[6:7], 2, s[12:13]
	v_lshl_add_u64 v[0:1], v[0:1], 2, s[12:13]
	s_waitcnt lgkmcnt(0)
	global_store_dword v[4:5], v2, off
	global_store_dword v[0:1], v3, off
	s_or_b64 exec, exec, s[16:17]
	s_and_saveexec_b64 s[4:5], s[6:7]
	s_cbranch_execz .LBB6_30
.LBB6_35:
	s_cmp_eq_u32 s3, 0
	s_cbranch_scc1 .LBB6_40
; %bb.36:
	s_load_dword s6, s[0:1], 0x50
	s_cbranch_execnz .LBB6_38
.LBB6_37:
	s_waitcnt lgkmcnt(0)
	s_load_dword s6, s[0:1], 0x50
	v_mov_b32_e32 v0, 0x7fc
	ds_read2_b32 v[0:1], v0 offset1:1
	s_mov_b32 s4, s3
	s_ashr_i32 s3, s2, 31
	s_lshl_b64 s[12:13], s[2:3], 2
	s_mov_b32 s3, s4
	s_add_u32 s4, s10, s12
	v_mov_b32_e32 v2, 0
	s_addc_u32 s5, s11, s13
	ds_read_b32 v3, v2 offset:4092
	ds_read_b32 v4, v2
	s_waitcnt lgkmcnt(0)
	s_add_i32 s0, s6, s2
	s_mov_b32 s1, 0
	s_lshl_b64 s[0:1], s[0:1], 2
	global_store_dword v2, v1, s[4:5]
	s_add_u32 s4, s10, s0
	s_addc_u32 s5, s11, s1
	global_store_dword v2, v3, s[4:5]
	s_add_u32 s4, s14, s12
	s_addc_u32 s5, s15, s13
	s_add_u32 s0, s14, s0
	s_addc_u32 s1, s15, s1
	global_store_dword v2, v4, s[4:5]
	global_store_dword v2, v0, s[0:1]
.LBB6_38:
	s_waitcnt lgkmcnt(0)
	s_mul_i32 s0, s6, s3
	s_lshl_b32 s0, s0, 1
	s_add_i32 s0, s0, s2
	s_mov_b32 s1, 0
	v_mov_b32_e32 v0, 0
	s_lshl_b64 s[2:3], s[0:1], 2
	ds_read_b32 v1, v0 offset:4096
	ds_read_b32 v2, v0 offset:6140
	s_add_u32 s2, s8, s2
	s_addc_u32 s3, s9, s3
	s_add_i32 s0, s0, s6
	s_lshl_b64 s[0:1], s[0:1], 2
	s_add_u32 s0, s8, s0
	s_addc_u32 s1, s9, s1
	s_waitcnt lgkmcnt(1)
	global_store_dword v0, v1, s[2:3]
	s_waitcnt lgkmcnt(0)
	global_store_dword v0, v2, s[0:1]
	s_endpgm
.LBB6_39:
                                        ; implicit-def: $vgpr0
	s_branch .LBB6_33
.LBB6_40:
                                        ; implicit-def: $sgpr6
	s_branch .LBB6_37
	.section	.rodata,"a",@progbits
	.p2align	6, 0x0
	.amdhsa_kernel _ZN9rocsparseL29gtsv_spike_block_level_kernelILj256ELj2EfEEviiiPT1_PKS1_S4_S2_S2_S2_S2_S2_
		.amdhsa_group_segment_fixed_size 6144
		.amdhsa_private_segment_fixed_size 0
		.amdhsa_kernarg_size 336
		.amdhsa_user_sgpr_count 2
		.amdhsa_user_sgpr_dispatch_ptr 0
		.amdhsa_user_sgpr_queue_ptr 0
		.amdhsa_user_sgpr_kernarg_segment_ptr 1
		.amdhsa_user_sgpr_dispatch_id 0
		.amdhsa_user_sgpr_kernarg_preload_length 0
		.amdhsa_user_sgpr_kernarg_preload_offset 0
		.amdhsa_user_sgpr_private_segment_size 0
		.amdhsa_uses_dynamic_stack 0
		.amdhsa_enable_private_segment 0
		.amdhsa_system_sgpr_workgroup_id_x 1
		.amdhsa_system_sgpr_workgroup_id_y 1
		.amdhsa_system_sgpr_workgroup_id_z 0
		.amdhsa_system_sgpr_workgroup_info 0
		.amdhsa_system_vgpr_workitem_id 0
		.amdhsa_next_free_vgpr 28
		.amdhsa_next_free_sgpr 24
		.amdhsa_accum_offset 28
		.amdhsa_reserve_vcc 1
		.amdhsa_float_round_mode_32 0
		.amdhsa_float_round_mode_16_64 0
		.amdhsa_float_denorm_mode_32 3
		.amdhsa_float_denorm_mode_16_64 3
		.amdhsa_dx10_clamp 1
		.amdhsa_ieee_mode 1
		.amdhsa_fp16_overflow 0
		.amdhsa_tg_split 0
		.amdhsa_exception_fp_ieee_invalid_op 0
		.amdhsa_exception_fp_denorm_src 0
		.amdhsa_exception_fp_ieee_div_zero 0
		.amdhsa_exception_fp_ieee_overflow 0
		.amdhsa_exception_fp_ieee_underflow 0
		.amdhsa_exception_fp_ieee_inexact 0
		.amdhsa_exception_int_div_zero 0
	.end_amdhsa_kernel
	.section	.text._ZN9rocsparseL29gtsv_spike_block_level_kernelILj256ELj2EfEEviiiPT1_PKS1_S4_S2_S2_S2_S2_S2_,"axG",@progbits,_ZN9rocsparseL29gtsv_spike_block_level_kernelILj256ELj2EfEEviiiPT1_PKS1_S4_S2_S2_S2_S2_S2_,comdat
.Lfunc_end6:
	.size	_ZN9rocsparseL29gtsv_spike_block_level_kernelILj256ELj2EfEEviiiPT1_PKS1_S4_S2_S2_S2_S2_S2_, .Lfunc_end6-_ZN9rocsparseL29gtsv_spike_block_level_kernelILj256ELj2EfEEviiiPT1_PKS1_S4_S2_S2_S2_S2_S2_
                                        ; -- End function
	.set _ZN9rocsparseL29gtsv_spike_block_level_kernelILj256ELj2EfEEviiiPT1_PKS1_S4_S2_S2_S2_S2_S2_.num_vgpr, 28
	.set _ZN9rocsparseL29gtsv_spike_block_level_kernelILj256ELj2EfEEviiiPT1_PKS1_S4_S2_S2_S2_S2_S2_.num_agpr, 0
	.set _ZN9rocsparseL29gtsv_spike_block_level_kernelILj256ELj2EfEEviiiPT1_PKS1_S4_S2_S2_S2_S2_S2_.numbered_sgpr, 24
	.set _ZN9rocsparseL29gtsv_spike_block_level_kernelILj256ELj2EfEEviiiPT1_PKS1_S4_S2_S2_S2_S2_S2_.num_named_barrier, 0
	.set _ZN9rocsparseL29gtsv_spike_block_level_kernelILj256ELj2EfEEviiiPT1_PKS1_S4_S2_S2_S2_S2_S2_.private_seg_size, 0
	.set _ZN9rocsparseL29gtsv_spike_block_level_kernelILj256ELj2EfEEviiiPT1_PKS1_S4_S2_S2_S2_S2_S2_.uses_vcc, 1
	.set _ZN9rocsparseL29gtsv_spike_block_level_kernelILj256ELj2EfEEviiiPT1_PKS1_S4_S2_S2_S2_S2_S2_.uses_flat_scratch, 0
	.set _ZN9rocsparseL29gtsv_spike_block_level_kernelILj256ELj2EfEEviiiPT1_PKS1_S4_S2_S2_S2_S2_S2_.has_dyn_sized_stack, 0
	.set _ZN9rocsparseL29gtsv_spike_block_level_kernelILj256ELj2EfEEviiiPT1_PKS1_S4_S2_S2_S2_S2_S2_.has_recursion, 0
	.set _ZN9rocsparseL29gtsv_spike_block_level_kernelILj256ELj2EfEEviiiPT1_PKS1_S4_S2_S2_S2_S2_S2_.has_indirect_call, 0
	.section	.AMDGPU.csdata,"",@progbits
; Kernel info:
; codeLenInByte = 3732
; TotalNumSgprs: 30
; NumVgprs: 28
; NumAgprs: 0
; TotalNumVgprs: 28
; ScratchSize: 0
; MemoryBound: 0
; FloatMode: 240
; IeeeMode: 1
; LDSByteSize: 6144 bytes/workgroup (compile time only)
; SGPRBlocks: 3
; VGPRBlocks: 3
; NumSGPRsForWavesPerEU: 30
; NumVGPRsForWavesPerEU: 28
; AccumOffset: 28
; Occupancy: 8
; WaveLimiterHint : 0
; COMPUTE_PGM_RSRC2:SCRATCH_EN: 0
; COMPUTE_PGM_RSRC2:USER_SGPR: 2
; COMPUTE_PGM_RSRC2:TRAP_HANDLER: 0
; COMPUTE_PGM_RSRC2:TGID_X_EN: 1
; COMPUTE_PGM_RSRC2:TGID_Y_EN: 1
; COMPUTE_PGM_RSRC2:TGID_Z_EN: 0
; COMPUTE_PGM_RSRC2:TIDIG_COMP_CNT: 0
; COMPUTE_PGM_RSRC3_GFX90A:ACCUM_OFFSET: 6
; COMPUTE_PGM_RSRC3_GFX90A:TG_SPLIT: 0
	.section	.text._ZN9rocsparseL34gtsv_solve_spike_grid_level_kernelILj2EfEEviiiPT0_PKS1_S4_,"axG",@progbits,_ZN9rocsparseL34gtsv_solve_spike_grid_level_kernelILj2EfEEviiiPT0_PKS1_S4_,comdat
	.globl	_ZN9rocsparseL34gtsv_solve_spike_grid_level_kernelILj2EfEEviiiPT0_PKS1_S4_ ; -- Begin function _ZN9rocsparseL34gtsv_solve_spike_grid_level_kernelILj2EfEEviiiPT0_PKS1_S4_
	.p2align	8
	.type	_ZN9rocsparseL34gtsv_solve_spike_grid_level_kernelILj2EfEEviiiPT0_PKS1_S4_,@function
_ZN9rocsparseL34gtsv_solve_spike_grid_level_kernelILj2EfEEviiiPT0_PKS1_S4_: ; @_ZN9rocsparseL34gtsv_solve_spike_grid_level_kernelILj2EfEEviiiPT0_PKS1_S4_
; %bb.0:
	s_load_dwordx4 s[4:7], s[0:1], 0x10
	s_load_dwordx2 s[8:9], s[0:1], 0x20
	v_lshl_or_b32 v4, s3, 2, v0
	v_mov_b32_e32 v5, 0
	v_lshlrev_b32_e32 v8, 2, v0
	s_waitcnt lgkmcnt(0)
	v_lshl_add_u64 v[2:3], v[4:5], 2, s[4:5]
	v_or_b32_e32 v4, 2, v4
	global_load_dword v9, v8, s[6:7]
	global_load_dword v10, v8, s[6:7] offset:8
	global_load_dword v11, v8, s[8:9]
	global_load_dword v12, v8, s[8:9] offset:8
	v_lshl_add_u64 v[6:7], v[4:5], 2, s[4:5]
	global_load_dword v4, v[2:3], off
	global_load_dword v13, v[6:7], off
	v_or_b32_e32 v1, 32, v8
	v_cmp_eq_u32_e32 vcc, 0, v0
	s_waitcnt vmcnt(4)
	ds_write2_b32 v8, v9, v10 offset0:4 offset1:6
	s_waitcnt vmcnt(2)
	ds_write2_b32 v8, v11, v12 offset1:2
	s_waitcnt vmcnt(0)
	ds_write2_b32 v8, v4, v13 offset0:8 offset1:10
	s_waitcnt lgkmcnt(0)
	; wave barrier
	s_and_saveexec_b64 s[0:1], vcc
	s_cbranch_execz .LBB7_2
; %bb.1:
	ds_read_b128 v[8:11], v5 offset:32
	ds_read_b128 v[12:15], v5
	ds_read_b128 v[16:19], v5 offset:16
	s_waitcnt lgkmcnt(2)
	v_mov_b32_e32 v20, v9
	v_mov_b32_e32 v21, v10
	s_waitcnt lgkmcnt(0)
	v_fma_f32 v0, -v17, v14, 1.0
	v_div_scale_f32 v4, s[2:3], v0, v0, 1.0
	v_rcp_f32_e32 v9, v4
	v_mov_b32_e32 v22, v13
	v_mov_b32_e32 v23, v14
	v_pk_mul_f32 v[22:23], v[22:23], v[12:13]
	v_fma_f32 v10, -v4, v9, 1.0
	v_fmac_f32_e32 v9, v10, v9
	v_div_scale_f32 v10, vcc, 1.0, v0, 1.0
	v_mul_f32_e32 v22, v10, v9
	v_fma_f32 v26, -v4, v22, v10
	v_fmac_f32_e32 v22, v26, v9
	v_fma_f32 v4, -v4, v22, v10
	v_div_fmas_f32 v4, v4, v9, v22
	v_mov_b32_e32 v26, v17
	v_mov_b32_e32 v27, v14
	v_div_fixup_f32 v22, v4, v0, 1.0
	v_pk_fma_f32 v[20:21], v[26:27], v[20:21], v[20:21] op_sel:[0,1,0] op_sel_hi:[1,0,1] neg_lo:[1,0,0] neg_hi:[1,0,0]
	v_mov_b32_e32 v24, v17
	v_pk_mul_f32 v[20:21], v[20:21], v[22:23] op_sel_hi:[1,0]
	v_mov_b32_e32 v25, v18
	v_fma_f32 v8, -v20, v12, v8
	v_fma_f32 v11, -v21, v19, v11
	v_mov_b32_e32 v9, v20
	v_mov_b32_e32 v10, v21
	ds_write_b128 v5, v[8:11] offset:32
	v_xor_b32_e32 v9, 0x80000000, v22
	v_mov_b32_e32 v8, v13
	v_pk_mul_f32 v[10:11], v[24:25], v[18:19]
	v_pk_mul_f32 v[20:21], v[22:23], v[8:9]
	v_mov_b32_e32 v11, v22
	v_mov_b32_e32 v8, v9
	;; [unrolled: 1-line block ×3, first 2 shown]
	v_pk_mul_f32 v[22:23], v[10:11], v[8:9]
	v_mul_f32_e64 v10, v20, -v12
	v_fma_f32 v8, -v12, v22, v16
	v_fma_f32 v13, -v19, v21, v15
	v_mov_b32_e32 v11, v20
	v_mov_b32_e32 v12, v21
	ds_write_b128 v5, v[10:13]
	v_mul_f32_e64 v11, v23, -v19
	v_mov_b32_e32 v9, v22
	v_mov_b32_e32 v10, v23
	ds_write_b128 v5, v[8:11] offset:16
.LBB7_2:
	s_or_b64 exec, exec, s[0:1]
	s_waitcnt lgkmcnt(0)
	; wave barrier
	ds_read2_b32 v[0:1], v1 offset1:2
	s_waitcnt lgkmcnt(0)
	global_store_dword v[2:3], v0, off
	global_store_dword v[6:7], v1, off
	s_endpgm
	.section	.rodata,"a",@progbits
	.p2align	6, 0x0
	.amdhsa_kernel _ZN9rocsparseL34gtsv_solve_spike_grid_level_kernelILj2EfEEviiiPT0_PKS1_S4_
		.amdhsa_group_segment_fixed_size 48
		.amdhsa_private_segment_fixed_size 0
		.amdhsa_kernarg_size 40
		.amdhsa_user_sgpr_count 2
		.amdhsa_user_sgpr_dispatch_ptr 0
		.amdhsa_user_sgpr_queue_ptr 0
		.amdhsa_user_sgpr_kernarg_segment_ptr 1
		.amdhsa_user_sgpr_dispatch_id 0
		.amdhsa_user_sgpr_kernarg_preload_length 0
		.amdhsa_user_sgpr_kernarg_preload_offset 0
		.amdhsa_user_sgpr_private_segment_size 0
		.amdhsa_uses_dynamic_stack 0
		.amdhsa_enable_private_segment 0
		.amdhsa_system_sgpr_workgroup_id_x 1
		.amdhsa_system_sgpr_workgroup_id_y 1
		.amdhsa_system_sgpr_workgroup_id_z 0
		.amdhsa_system_sgpr_workgroup_info 0
		.amdhsa_system_vgpr_workitem_id 0
		.amdhsa_next_free_vgpr 28
		.amdhsa_next_free_sgpr 10
		.amdhsa_accum_offset 28
		.amdhsa_reserve_vcc 1
		.amdhsa_float_round_mode_32 0
		.amdhsa_float_round_mode_16_64 0
		.amdhsa_float_denorm_mode_32 3
		.amdhsa_float_denorm_mode_16_64 3
		.amdhsa_dx10_clamp 1
		.amdhsa_ieee_mode 1
		.amdhsa_fp16_overflow 0
		.amdhsa_tg_split 0
		.amdhsa_exception_fp_ieee_invalid_op 0
		.amdhsa_exception_fp_denorm_src 0
		.amdhsa_exception_fp_ieee_div_zero 0
		.amdhsa_exception_fp_ieee_overflow 0
		.amdhsa_exception_fp_ieee_underflow 0
		.amdhsa_exception_fp_ieee_inexact 0
		.amdhsa_exception_int_div_zero 0
	.end_amdhsa_kernel
	.section	.text._ZN9rocsparseL34gtsv_solve_spike_grid_level_kernelILj2EfEEviiiPT0_PKS1_S4_,"axG",@progbits,_ZN9rocsparseL34gtsv_solve_spike_grid_level_kernelILj2EfEEviiiPT0_PKS1_S4_,comdat
.Lfunc_end7:
	.size	_ZN9rocsparseL34gtsv_solve_spike_grid_level_kernelILj2EfEEviiiPT0_PKS1_S4_, .Lfunc_end7-_ZN9rocsparseL34gtsv_solve_spike_grid_level_kernelILj2EfEEviiiPT0_PKS1_S4_
                                        ; -- End function
	.set _ZN9rocsparseL34gtsv_solve_spike_grid_level_kernelILj2EfEEviiiPT0_PKS1_S4_.num_vgpr, 28
	.set _ZN9rocsparseL34gtsv_solve_spike_grid_level_kernelILj2EfEEviiiPT0_PKS1_S4_.num_agpr, 0
	.set _ZN9rocsparseL34gtsv_solve_spike_grid_level_kernelILj2EfEEviiiPT0_PKS1_S4_.numbered_sgpr, 10
	.set _ZN9rocsparseL34gtsv_solve_spike_grid_level_kernelILj2EfEEviiiPT0_PKS1_S4_.num_named_barrier, 0
	.set _ZN9rocsparseL34gtsv_solve_spike_grid_level_kernelILj2EfEEviiiPT0_PKS1_S4_.private_seg_size, 0
	.set _ZN9rocsparseL34gtsv_solve_spike_grid_level_kernelILj2EfEEviiiPT0_PKS1_S4_.uses_vcc, 1
	.set _ZN9rocsparseL34gtsv_solve_spike_grid_level_kernelILj2EfEEviiiPT0_PKS1_S4_.uses_flat_scratch, 0
	.set _ZN9rocsparseL34gtsv_solve_spike_grid_level_kernelILj2EfEEviiiPT0_PKS1_S4_.has_dyn_sized_stack, 0
	.set _ZN9rocsparseL34gtsv_solve_spike_grid_level_kernelILj2EfEEviiiPT0_PKS1_S4_.has_recursion, 0
	.set _ZN9rocsparseL34gtsv_solve_spike_grid_level_kernelILj2EfEEviiiPT0_PKS1_S4_.has_indirect_call, 0
	.section	.AMDGPU.csdata,"",@progbits
; Kernel info:
; codeLenInByte = 512
; TotalNumSgprs: 16
; NumVgprs: 28
; NumAgprs: 0
; TotalNumVgprs: 28
; ScratchSize: 0
; MemoryBound: 0
; FloatMode: 240
; IeeeMode: 1
; LDSByteSize: 48 bytes/workgroup (compile time only)
; SGPRBlocks: 1
; VGPRBlocks: 3
; NumSGPRsForWavesPerEU: 16
; NumVGPRsForWavesPerEU: 28
; AccumOffset: 28
; Occupancy: 8
; WaveLimiterHint : 0
; COMPUTE_PGM_RSRC2:SCRATCH_EN: 0
; COMPUTE_PGM_RSRC2:USER_SGPR: 2
; COMPUTE_PGM_RSRC2:TRAP_HANDLER: 0
; COMPUTE_PGM_RSRC2:TGID_X_EN: 1
; COMPUTE_PGM_RSRC2:TGID_Y_EN: 1
; COMPUTE_PGM_RSRC2:TGID_Z_EN: 0
; COMPUTE_PGM_RSRC2:TIDIG_COMP_CNT: 0
; COMPUTE_PGM_RSRC3_GFX90A:ACCUM_OFFSET: 6
; COMPUTE_PGM_RSRC3_GFX90A:TG_SPLIT: 0
	.section	.text._ZN9rocsparseL34gtsv_solve_spike_grid_level_kernelILj4EfEEviiiPT0_PKS1_S4_,"axG",@progbits,_ZN9rocsparseL34gtsv_solve_spike_grid_level_kernelILj4EfEEviiiPT0_PKS1_S4_,comdat
	.globl	_ZN9rocsparseL34gtsv_solve_spike_grid_level_kernelILj4EfEEviiiPT0_PKS1_S4_ ; -- Begin function _ZN9rocsparseL34gtsv_solve_spike_grid_level_kernelILj4EfEEviiiPT0_PKS1_S4_
	.p2align	8
	.type	_ZN9rocsparseL34gtsv_solve_spike_grid_level_kernelILj4EfEEviiiPT0_PKS1_S4_,@function
_ZN9rocsparseL34gtsv_solve_spike_grid_level_kernelILj4EfEEviiiPT0_PKS1_S4_: ; @_ZN9rocsparseL34gtsv_solve_spike_grid_level_kernelILj4EfEEviiiPT0_PKS1_S4_
; %bb.0:
	s_load_dwordx4 s[4:7], s[0:1], 0x10
	s_load_dwordx2 s[8:9], s[0:1], 0x20
	v_lshl_or_b32 v4, s3, 3, v0
	v_mov_b32_e32 v5, 0
	v_lshlrev_b32_e32 v6, 2, v0
	s_waitcnt lgkmcnt(0)
	v_lshl_add_u64 v[2:3], v[4:5], 2, s[4:5]
	v_or_b32_e32 v4, 4, v4
	global_load_dword v7, v6, s[6:7]
	global_load_dword v8, v6, s[6:7] offset:16
	global_load_dword v9, v6, s[8:9]
	global_load_dword v10, v6, s[8:9] offset:16
	v_lshl_add_u64 v[4:5], v[4:5], 2, s[4:5]
	global_load_dword v11, v[2:3], off
	global_load_dword v12, v[4:5], off
	v_or_b32_e32 v1, 64, v6
	v_cmp_gt_u32_e64 s[0:1], 2, v0
	s_waitcnt vmcnt(4)
	ds_write2_b32 v6, v7, v8 offset0:8 offset1:12
	s_waitcnt vmcnt(2)
	ds_write2_b32 v6, v9, v10 offset1:4
	s_waitcnt vmcnt(0)
	ds_write2_b32 v6, v11, v12 offset0:16 offset1:20
	s_waitcnt lgkmcnt(0)
	; wave barrier
	s_and_saveexec_b64 s[2:3], s[0:1]
	s_cbranch_execz .LBB8_2
; %bb.1:
	v_or_b32_e32 v7, 32, v6
	v_add_u32_e32 v21, v6, v6
	v_add_u32_e32 v20, v7, v6
	ds_read2_b64 v[8:11], v21 offset1:2
	ds_read2_b64 v[12:15], v20 offset1:2
	v_add_u32_e32 v22, v1, v6
	ds_read2_b64 v[16:19], v22 offset1:2
	s_waitcnt lgkmcnt(1)
	v_fma_f32 v6, -v13, v10, 1.0
	v_div_scale_f32 v7, s[4:5], v6, v6, 1.0
	v_rcp_f32_e32 v23, v7
	v_div_scale_f32 v24, vcc, 1.0, v6, 1.0
	v_fma_f32 v25, -v7, v23, 1.0
	v_fmac_f32_e32 v23, v25, v23
	v_mul_f32_e32 v25, v24, v23
	v_fma_f32 v26, -v7, v25, v24
	v_fmac_f32_e32 v25, v26, v23
	v_fma_f32 v7, -v7, v25, v24
	v_div_fmas_f32 v7, v7, v23, v25
	v_div_fixup_f32 v23, v7, v6, 1.0
	s_waitcnt lgkmcnt(0)
	v_fma_f32 v6, -v10, v17, v18
	v_fma_f32 v7, -v13, v18, v17
	v_mul_f32_e32 v6, v23, v6
	v_mul_f32_e32 v17, v7, v23
	v_fma_f32 v16, -v17, v8, v16
	v_fma_f32 v7, -v15, v6, v19
	ds_write2_b64 v22, v[16:17], v[6:7] offset1:2
	v_mul_f32_e32 v6, v10, v9
	v_mul_f32_e32 v7, v13, v14
	v_mul_f32_e64 v6, v6, -v23
	v_mul_f32_e32 v9, v23, v9
	v_mul_f32_e64 v13, v7, -v23
	v_mul_f32_e32 v10, v23, v14
	v_fma_f32 v12, -v13, v8, v12
	v_mul_f32_e64 v8, v9, -v8
	v_fma_f32 v7, -v6, v15, v11
	v_mul_f32_e64 v11, v10, -v15
	ds_write2_b64 v21, v[8:9], v[6:7] offset1:2
	ds_write2_b64 v20, v[12:13], v[10:11] offset1:2
.LBB8_2:
	s_or_b64 exec, exec, s[2:3]
	v_cmp_eq_u32_e64 s[2:3], 0, v0
	s_waitcnt lgkmcnt(0)
	; wave barrier
	s_and_saveexec_b64 s[4:5], s[2:3]
	s_cbranch_execz .LBB8_4
; %bb.3:
	v_mov_b32_e32 v18, 0
	ds_read2_b32 v[6:7], v18 offset0:5 offset1:10
	ds_read2_b32 v[8:9], v18 offset1:2
	ds_read2_b32 v[10:11], v18 offset0:13 offset1:18
	ds_read2_b32 v[12:13], v18 offset0:21 offset1:23
	s_waitcnt lgkmcnt(3)
	v_fma_f32 v14, -v7, v6, 1.0
	v_div_scale_f32 v15, s[6:7], v14, v14, 1.0
	v_rcp_f32_e32 v16, v15
	v_div_scale_f32 v17, vcc, 1.0, v14, 1.0
	v_fma_f32 v19, -v15, v16, 1.0
	v_fmac_f32_e32 v16, v19, v16
	v_mul_f32_e32 v19, v17, v16
	v_fma_f32 v20, -v15, v19, v17
	v_fmac_f32_e32 v19, v20, v16
	v_fma_f32 v15, -v15, v19, v17
	v_div_fmas_f32 v15, v15, v16, v19
	v_div_fixup_f32 v19, v15, v14, 1.0
	s_waitcnt lgkmcnt(0)
	v_fma_f32 v16, -v6, v11, v12
	ds_read2_b32 v[14:15], v18 offset0:15 offset1:16
	v_mul_f32_e32 v20, v19, v16
	ds_read2_b32 v[16:17], v18 offset0:7 offset1:8
	v_fma_f32 v11, -v7, v12, v11
	v_mul_f32_e32 v6, v6, v9
	v_mul_f32_e32 v7, v7, v10
	v_mul_f32_e64 v6, v6, -v19
	v_mul_f32_e64 v7, v7, -v19
	v_mul_f32_e32 v11, v11, v19
	v_mul_f32_e32 v9, v19, v9
	ds_write2_b32 v18, v6, v7 offset0:5 offset1:10
	v_mul_f32_e32 v10, v19, v10
	s_waitcnt lgkmcnt(1)
	v_fma_f32 v7, -v7, v8, v17
	v_fma_f32 v6, -v6, v14, v16
	;; [unrolled: 1-line block ×4, first 2 shown]
	v_mul_f32_e64 v8, v9, -v8
	ds_write2_b32 v18, v6, v7 offset0:7 offset1:8
	v_mul_f32_e64 v6, v10, -v14
	ds_write2_b32 v18, v20, v13 offset0:21 offset1:23
	ds_write2_b32 v18, v10, v11 offset0:13 offset1:18
	ds_write2_b32 v18, v8, v9 offset1:2
	ds_write2_b32 v18, v6, v12 offset0:15 offset1:16
.LBB8_4:
	s_or_b64 exec, exec, s[4:5]
	s_waitcnt lgkmcnt(0)
	; wave barrier
	s_and_saveexec_b64 s[4:5], s[0:1]
	s_cbranch_execz .LBB8_6
; %bb.5:
	v_lshlrev_b32_e32 v6, 1, v0
	v_lshlrev_b32_e32 v0, 3, v0
	v_mov_b32_e32 v7, 0x4c
	v_mov_b32_e32 v8, 0x48
	v_max_u32_e32 v6, 1, v6
	v_cndmask_b32_e64 v12, v7, v8, s[2:3]
	v_lshlrev_b32_e32 v13, 2, v6
	ds_read2_b32 v[6:7], v0 offset0:17 offset1:20
	ds_read2_b32 v[8:9], v0 offset0:1 offset1:4
	;; [unrolled: 1-line block ×3, first 2 shown]
	ds_read_b32 v14, v13 offset:76
	ds_read_b32 v15, v12
	s_waitcnt lgkmcnt(1)
	v_fma_f32 v7, -v11, v14, v7
	s_waitcnt lgkmcnt(0)
	v_fma_f32 v7, -v9, v15, v7
	ds_write_b32 v0, v7 offset:80
	ds_read_b32 v7, v13 offset:76
	s_waitcnt lgkmcnt(0)
	v_fma_f32 v6, -v10, v7, v6
	ds_write_b32 v0, v6 offset:68
	ds_read_b32 v7, v12
	s_waitcnt lgkmcnt(0)
	v_fma_f32 v6, -v8, v7, v6
	ds_write_b32 v0, v6 offset:68
.LBB8_6:
	s_or_b64 exec, exec, s[4:5]
	s_waitcnt lgkmcnt(0)
	; wave barrier
	ds_read2_b32 v[0:1], v1 offset1:4
	s_waitcnt lgkmcnt(0)
	global_store_dword v[2:3], v0, off
	global_store_dword v[4:5], v1, off
	s_endpgm
	.section	.rodata,"a",@progbits
	.p2align	6, 0x0
	.amdhsa_kernel _ZN9rocsparseL34gtsv_solve_spike_grid_level_kernelILj4EfEEviiiPT0_PKS1_S4_
		.amdhsa_group_segment_fixed_size 96
		.amdhsa_private_segment_fixed_size 0
		.amdhsa_kernarg_size 40
		.amdhsa_user_sgpr_count 2
		.amdhsa_user_sgpr_dispatch_ptr 0
		.amdhsa_user_sgpr_queue_ptr 0
		.amdhsa_user_sgpr_kernarg_segment_ptr 1
		.amdhsa_user_sgpr_dispatch_id 0
		.amdhsa_user_sgpr_kernarg_preload_length 0
		.amdhsa_user_sgpr_kernarg_preload_offset 0
		.amdhsa_user_sgpr_private_segment_size 0
		.amdhsa_uses_dynamic_stack 0
		.amdhsa_enable_private_segment 0
		.amdhsa_system_sgpr_workgroup_id_x 1
		.amdhsa_system_sgpr_workgroup_id_y 1
		.amdhsa_system_sgpr_workgroup_id_z 0
		.amdhsa_system_sgpr_workgroup_info 0
		.amdhsa_system_vgpr_workitem_id 0
		.amdhsa_next_free_vgpr 27
		.amdhsa_next_free_sgpr 10
		.amdhsa_accum_offset 28
		.amdhsa_reserve_vcc 1
		.amdhsa_float_round_mode_32 0
		.amdhsa_float_round_mode_16_64 0
		.amdhsa_float_denorm_mode_32 3
		.amdhsa_float_denorm_mode_16_64 3
		.amdhsa_dx10_clamp 1
		.amdhsa_ieee_mode 1
		.amdhsa_fp16_overflow 0
		.amdhsa_tg_split 0
		.amdhsa_exception_fp_ieee_invalid_op 0
		.amdhsa_exception_fp_denorm_src 0
		.amdhsa_exception_fp_ieee_div_zero 0
		.amdhsa_exception_fp_ieee_overflow 0
		.amdhsa_exception_fp_ieee_underflow 0
		.amdhsa_exception_fp_ieee_inexact 0
		.amdhsa_exception_int_div_zero 0
	.end_amdhsa_kernel
	.section	.text._ZN9rocsparseL34gtsv_solve_spike_grid_level_kernelILj4EfEEviiiPT0_PKS1_S4_,"axG",@progbits,_ZN9rocsparseL34gtsv_solve_spike_grid_level_kernelILj4EfEEviiiPT0_PKS1_S4_,comdat
.Lfunc_end8:
	.size	_ZN9rocsparseL34gtsv_solve_spike_grid_level_kernelILj4EfEEviiiPT0_PKS1_S4_, .Lfunc_end8-_ZN9rocsparseL34gtsv_solve_spike_grid_level_kernelILj4EfEEviiiPT0_PKS1_S4_
                                        ; -- End function
	.set _ZN9rocsparseL34gtsv_solve_spike_grid_level_kernelILj4EfEEviiiPT0_PKS1_S4_.num_vgpr, 27
	.set _ZN9rocsparseL34gtsv_solve_spike_grid_level_kernelILj4EfEEviiiPT0_PKS1_S4_.num_agpr, 0
	.set _ZN9rocsparseL34gtsv_solve_spike_grid_level_kernelILj4EfEEviiiPT0_PKS1_S4_.numbered_sgpr, 10
	.set _ZN9rocsparseL34gtsv_solve_spike_grid_level_kernelILj4EfEEviiiPT0_PKS1_S4_.num_named_barrier, 0
	.set _ZN9rocsparseL34gtsv_solve_spike_grid_level_kernelILj4EfEEviiiPT0_PKS1_S4_.private_seg_size, 0
	.set _ZN9rocsparseL34gtsv_solve_spike_grid_level_kernelILj4EfEEviiiPT0_PKS1_S4_.uses_vcc, 1
	.set _ZN9rocsparseL34gtsv_solve_spike_grid_level_kernelILj4EfEEviiiPT0_PKS1_S4_.uses_flat_scratch, 0
	.set _ZN9rocsparseL34gtsv_solve_spike_grid_level_kernelILj4EfEEviiiPT0_PKS1_S4_.has_dyn_sized_stack, 0
	.set _ZN9rocsparseL34gtsv_solve_spike_grid_level_kernelILj4EfEEviiiPT0_PKS1_S4_.has_recursion, 0
	.set _ZN9rocsparseL34gtsv_solve_spike_grid_level_kernelILj4EfEEviiiPT0_PKS1_S4_.has_indirect_call, 0
	.section	.AMDGPU.csdata,"",@progbits
; Kernel info:
; codeLenInByte = 964
; TotalNumSgprs: 16
; NumVgprs: 27
; NumAgprs: 0
; TotalNumVgprs: 27
; ScratchSize: 0
; MemoryBound: 0
; FloatMode: 240
; IeeeMode: 1
; LDSByteSize: 96 bytes/workgroup (compile time only)
; SGPRBlocks: 1
; VGPRBlocks: 3
; NumSGPRsForWavesPerEU: 16
; NumVGPRsForWavesPerEU: 27
; AccumOffset: 28
; Occupancy: 8
; WaveLimiterHint : 0
; COMPUTE_PGM_RSRC2:SCRATCH_EN: 0
; COMPUTE_PGM_RSRC2:USER_SGPR: 2
; COMPUTE_PGM_RSRC2:TRAP_HANDLER: 0
; COMPUTE_PGM_RSRC2:TGID_X_EN: 1
; COMPUTE_PGM_RSRC2:TGID_Y_EN: 1
; COMPUTE_PGM_RSRC2:TGID_Z_EN: 0
; COMPUTE_PGM_RSRC2:TIDIG_COMP_CNT: 0
; COMPUTE_PGM_RSRC3_GFX90A:ACCUM_OFFSET: 6
; COMPUTE_PGM_RSRC3_GFX90A:TG_SPLIT: 0
	.section	.text._ZN9rocsparseL34gtsv_solve_spike_grid_level_kernelILj8EfEEviiiPT0_PKS1_S4_,"axG",@progbits,_ZN9rocsparseL34gtsv_solve_spike_grid_level_kernelILj8EfEEviiiPT0_PKS1_S4_,comdat
	.globl	_ZN9rocsparseL34gtsv_solve_spike_grid_level_kernelILj8EfEEviiiPT0_PKS1_S4_ ; -- Begin function _ZN9rocsparseL34gtsv_solve_spike_grid_level_kernelILj8EfEEviiiPT0_PKS1_S4_
	.p2align	8
	.type	_ZN9rocsparseL34gtsv_solve_spike_grid_level_kernelILj8EfEEviiiPT0_PKS1_S4_,@function
_ZN9rocsparseL34gtsv_solve_spike_grid_level_kernelILj8EfEEviiiPT0_PKS1_S4_: ; @_ZN9rocsparseL34gtsv_solve_spike_grid_level_kernelILj8EfEEviiiPT0_PKS1_S4_
; %bb.0:
	s_load_dwordx4 s[4:7], s[0:1], 0x10
	s_load_dwordx2 s[8:9], s[0:1], 0x20
	v_lshl_or_b32 v4, s3, 4, v0
	v_mov_b32_e32 v5, 0
	v_lshlrev_b32_e32 v6, 2, v0
	s_waitcnt lgkmcnt(0)
	v_lshl_add_u64 v[2:3], v[4:5], 2, s[4:5]
	v_or_b32_e32 v4, 8, v4
	global_load_dword v7, v6, s[6:7]
	global_load_dword v8, v6, s[6:7] offset:32
	global_load_dword v9, v6, s[8:9]
	global_load_dword v10, v6, s[8:9] offset:32
	v_lshl_add_u64 v[4:5], v[4:5], 2, s[4:5]
	global_load_dword v11, v[2:3], off
	global_load_dword v12, v[4:5], off
	v_or_b32_e32 v1, 0x80, v6
	v_cmp_gt_u32_e64 s[0:1], 4, v0
	s_waitcnt vmcnt(4)
	ds_write2_b32 v6, v7, v8 offset0:16 offset1:24
	s_waitcnt vmcnt(2)
	ds_write2_b32 v6, v9, v10 offset1:8
	s_waitcnt vmcnt(0)
	ds_write2_b32 v6, v11, v12 offset0:32 offset1:40
	s_waitcnt lgkmcnt(0)
	; wave barrier
	s_and_saveexec_b64 s[2:3], s[0:1]
	s_cbranch_execz .LBB9_2
; %bb.1:
	v_or_b32_e32 v7, 64, v6
	v_add_u32_e32 v22, v6, v6
	v_add_u32_e32 v7, v7, v6
	ds_read2_b64 v[8:11], v22 offset1:4
	ds_read2_b64 v[12:15], v7 offset1:4
	v_add_u32_e32 v23, v1, v6
	ds_read2_b64 v[16:19], v23 offset1:4
	s_waitcnt lgkmcnt(1)
	v_fma_f32 v20, -v13, v10, 1.0
	v_div_scale_f32 v21, s[4:5], v20, v20, 1.0
	v_rcp_f32_e32 v24, v21
	v_div_scale_f32 v25, vcc, 1.0, v20, 1.0
	v_fma_f32 v26, -v21, v24, 1.0
	v_fmac_f32_e32 v24, v26, v24
	v_mul_f32_e32 v26, v25, v24
	v_fma_f32 v27, -v21, v26, v25
	v_fmac_f32_e32 v26, v27, v24
	v_fma_f32 v21, -v21, v26, v25
	v_div_fmas_f32 v21, v21, v24, v26
	v_div_fixup_f32 v24, v21, v20, 1.0
	s_waitcnt lgkmcnt(0)
	v_fma_f32 v20, -v10, v17, v18
	v_fma_f32 v17, -v13, v18, v17
	v_mul_f32_e32 v10, v10, v9
	v_mul_f32_e32 v13, v13, v14
	;; [unrolled: 1-line block ×4, first 2 shown]
	v_mul_f32_e64 v10, v10, -v24
	v_mul_f32_e32 v9, v24, v9
	v_mul_f32_e64 v13, v13, -v24
	v_mul_f32_e32 v14, v24, v14
	v_fma_f32 v16, -v17, v8, v16
	v_fma_f32 v21, -v15, v20, v19
	;; [unrolled: 1-line block ×3, first 2 shown]
	v_mul_f32_e64 v8, v9, -v8
	v_fma_f32 v11, -v10, v15, v11
	v_mul_f32_e64 v15, v14, -v15
	ds_write2_b64 v23, v[16:17], v[20:21] offset1:4
	ds_write2_b64 v22, v[8:9], v[10:11] offset1:4
	;; [unrolled: 1-line block ×3, first 2 shown]
.LBB9_2:
	s_or_b64 exec, exec, s[2:3]
	v_cmp_gt_u32_e64 s[2:3], 2, v0
	v_lshlrev_b32_e32 v7, 4, v0
	s_waitcnt lgkmcnt(0)
	; wave barrier
	s_and_saveexec_b64 s[4:5], s[2:3]
	s_cbranch_execz .LBB9_4
; %bb.3:
	v_mad_u32_u24 v20, v0, 12, v6
	ds_read2_b32 v[8:9], v7 offset0:16 offset1:18
	ds_read2_b32 v[10:11], v20 offset0:9 offset1:11
	;; [unrolled: 1-line block ×3, first 2 shown]
	v_mad_u32_u24 v21, v0, 12, v1
	ds_read2_b32 v[14:15], v20 offset1:2
	s_waitcnt lgkmcnt(2)
	v_fma_f32 v22, -v9, v10, 1.0
	v_div_scale_f32 v23, s[6:7], v22, v22, 1.0
	v_rcp_f32_e32 v24, v23
	v_div_scale_f32 v25, vcc, 1.0, v22, 1.0
	v_fma_f32 v16, -v23, v24, 1.0
	v_fmac_f32_e32 v24, v16, v24
	v_mul_f32_e32 v26, v25, v24
	v_fma_f32 v16, -v23, v26, v25
	v_fmac_f32_e32 v26, v16, v24
	ds_read2_b32 v[16:17], v21 offset1:2
	ds_read2_b32 v[18:19], v21 offset0:9 offset1:11
	v_fma_f32 v23, -v23, v26, v25
	v_div_fmas_f32 v23, v23, v24, v26
	v_div_fixup_f32 v22, v23, v22, 1.0
	s_waitcnt lgkmcnt(0)
	v_fma_f32 v23, -v10, v17, v18
	v_fma_f32 v17, -v9, v18, v17
	v_mul_f32_e32 v9, v9, v12
	v_mul_f32_e64 v9, v9, -v22
	v_mul_f32_e32 v10, v10, v15
	v_mul_f32_e32 v15, v22, v15
	v_fma_f32 v8, -v9, v14, v8
	v_mul_f32_e32 v17, v17, v22
	v_mul_f32_e64 v10, v10, -v22
	ds_write2_b32 v7, v8, v9 offset0:16 offset1:18
	v_mul_f32_e64 v8, v15, -v14
	v_mul_f32_e32 v23, v22, v23
	v_fma_f32 v16, -v17, v14, v16
	v_mul_f32_e32 v12, v22, v12
	ds_write2_b32 v20, v8, v15 offset1:2
	v_fma_f32 v8, -v10, v13, v11
	ds_write2_b32 v21, v16, v17 offset1:2
	v_fma_f32 v16, -v13, v23, v19
	ds_write2_b32 v20, v10, v8 offset0:9 offset1:11
	v_mul_f32_e64 v8, v12, -v13
	ds_write2_b32 v21, v23, v16 offset0:9 offset1:11
	ds_write2_b32 v7, v12, v8 offset0:25 offset1:27
.LBB9_4:
	s_or_b64 exec, exec, s[4:5]
	v_cmp_eq_u32_e32 vcc, 0, v0
	s_waitcnt lgkmcnt(0)
	; wave barrier
	s_and_saveexec_b64 s[4:5], vcc
	s_cbranch_execz .LBB9_6
; %bb.5:
	v_mov_b32_e32 v20, 0
	ds_read2_b32 v[8:9], v20 offset0:11 offset1:20
	ds_read2_b32 v[10:11], v20 offset1:4
	ds_read2_b32 v[12:13], v20 offset0:43 offset1:47
	ds_read2_b32 v[14:15], v20 offset0:27 offset1:36
	s_waitcnt lgkmcnt(3)
	v_fma_f32 v16, -v9, v8, 1.0
	v_div_scale_f32 v17, s[6:7], v16, v16, 1.0
	v_rcp_f32_e32 v18, v17
	v_div_scale_f32 v19, vcc, 1.0, v16, 1.0
	v_fma_f32 v21, -v17, v18, 1.0
	v_fmac_f32_e32 v18, v21, v18
	v_mul_f32_e32 v21, v19, v18
	v_fma_f32 v22, -v17, v21, v19
	v_fmac_f32_e32 v21, v22, v18
	v_fma_f32 v17, -v17, v21, v19
	v_div_fmas_f32 v17, v17, v18, v21
	v_div_fixup_f32 v21, v17, v16, 1.0
	s_waitcnt lgkmcnt(0)
	v_fma_f32 v18, -v8, v15, v12
	ds_read2_b32 v[16:17], v20 offset0:31 offset1:32
	v_mul_f32_e32 v22, v21, v18
	ds_read2_b32 v[18:19], v20 offset0:15 offset1:16
	v_fma_f32 v12, -v9, v12, v15
	v_mul_f32_e32 v8, v8, v11
	v_mul_f32_e32 v9, v9, v14
	s_waitcnt lgkmcnt(1)
	v_fma_f32 v13, -v16, v22, v13
	v_mul_f32_e64 v8, v8, -v21
	v_mul_f32_e64 v9, v9, -v21
	v_mul_f32_e32 v12, v12, v21
	ds_write2_b32 v20, v22, v13 offset0:43 offset1:47
	v_mul_f32_e32 v11, v21, v11
	ds_write2_b32 v20, v8, v9 offset0:11 offset1:20
	v_mul_f32_e32 v13, v21, v14
	s_waitcnt lgkmcnt(2)
	v_fma_f32 v9, -v9, v10, v19
	v_fma_f32 v8, -v8, v16, v18
	;; [unrolled: 1-line block ×3, first 2 shown]
	v_mul_f32_e64 v10, v11, -v10
	ds_write2_b32 v20, v8, v9 offset0:15 offset1:16
	v_mul_f32_e64 v8, v13, -v16
	ds_write2_b32 v20, v13, v12 offset0:27 offset1:36
	ds_write2_b32 v20, v10, v11 offset1:4
	ds_write2_b32 v20, v8, v15 offset0:31 offset1:32
.LBB9_6:
	s_or_b64 exec, exec, s[4:5]
	s_waitcnt lgkmcnt(0)
	; wave barrier
	s_and_saveexec_b64 s[4:5], s[2:3]
	s_cbranch_execz .LBB9_8
; %bb.7:
	v_max_u32_e32 v12, 1, v6
	v_min_u32_e32 v6, 3, v6
	ds_read2_b32 v[8:9], v7 offset0:34 offset1:41
	ds_read2_b32 v[10:11], v7 offset0:18 offset1:25
	v_lshlrev_b32_e32 v14, 2, v12
	ds_read2_b32 v[12:13], v7 offset0:2 offset1:9
	v_lshlrev_b32_e32 v6, 2, v6
	ds_read_b32 v15, v14 offset:156
	ds_read_b32 v16, v6 offset:144
	s_waitcnt lgkmcnt(1)
	v_fma_f32 v9, -v11, v15, v9
	s_waitcnt lgkmcnt(0)
	v_fma_f32 v9, -v13, v16, v9
	ds_write_b32 v7, v9 offset:164
	ds_read_b32 v9, v14 offset:156
	s_waitcnt lgkmcnt(0)
	v_fma_f32 v8, -v10, v9, v8
	ds_write_b32 v7, v8 offset:136
	ds_read_b32 v6, v6 offset:144
	s_waitcnt lgkmcnt(0)
	v_fma_f32 v6, -v12, v6, v8
	ds_write_b32 v7, v6 offset:136
.LBB9_8:
	s_or_b64 exec, exec, s[4:5]
	s_waitcnt lgkmcnt(0)
	; wave barrier
	s_and_saveexec_b64 s[2:3], s[0:1]
	s_cbranch_execz .LBB9_10
; %bb.9:
	v_lshlrev_b32_e32 v6, 1, v0
	v_max_u32_e32 v10, 1, v6
	v_lshlrev_b32_e32 v0, 3, v0
	v_min_u32_e32 v12, 5, v6
	ds_read2_b32 v[6:7], v0 offset0:33 offset1:40
	ds_read2_b32 v[8:9], v0 offset0:17 offset1:24
	v_lshlrev_b32_e32 v13, 2, v10
	ds_read2_b32 v[10:11], v0 offset0:1 offset1:8
	v_lshlrev_b32_e32 v12, 2, v12
	ds_read_b32 v14, v13 offset:156
	ds_read_b32 v15, v12 offset:136
	s_waitcnt lgkmcnt(1)
	v_fma_f32 v7, -v9, v14, v7
	s_waitcnt lgkmcnt(0)
	v_fma_f32 v7, -v11, v15, v7
	ds_write_b32 v0, v7 offset:160
	ds_read_b32 v7, v13 offset:156
	s_waitcnt lgkmcnt(0)
	v_fma_f32 v6, -v8, v7, v6
	ds_write_b32 v0, v6 offset:132
	ds_read_b32 v7, v12 offset:136
	s_waitcnt lgkmcnt(0)
	v_fma_f32 v6, -v10, v7, v6
	ds_write_b32 v0, v6 offset:132
.LBB9_10:
	s_or_b64 exec, exec, s[2:3]
	s_waitcnt lgkmcnt(0)
	; wave barrier
	ds_read2_b32 v[0:1], v1 offset1:8
	s_waitcnt lgkmcnt(0)
	global_store_dword v[2:3], v0, off
	global_store_dword v[4:5], v1, off
	s_endpgm
	.section	.rodata,"a",@progbits
	.p2align	6, 0x0
	.amdhsa_kernel _ZN9rocsparseL34gtsv_solve_spike_grid_level_kernelILj8EfEEviiiPT0_PKS1_S4_
		.amdhsa_group_segment_fixed_size 192
		.amdhsa_private_segment_fixed_size 0
		.amdhsa_kernarg_size 40
		.amdhsa_user_sgpr_count 2
		.amdhsa_user_sgpr_dispatch_ptr 0
		.amdhsa_user_sgpr_queue_ptr 0
		.amdhsa_user_sgpr_kernarg_segment_ptr 1
		.amdhsa_user_sgpr_dispatch_id 0
		.amdhsa_user_sgpr_kernarg_preload_length 0
		.amdhsa_user_sgpr_kernarg_preload_offset 0
		.amdhsa_user_sgpr_private_segment_size 0
		.amdhsa_uses_dynamic_stack 0
		.amdhsa_enable_private_segment 0
		.amdhsa_system_sgpr_workgroup_id_x 1
		.amdhsa_system_sgpr_workgroup_id_y 1
		.amdhsa_system_sgpr_workgroup_id_z 0
		.amdhsa_system_sgpr_workgroup_info 0
		.amdhsa_system_vgpr_workitem_id 0
		.amdhsa_next_free_vgpr 28
		.amdhsa_next_free_sgpr 10
		.amdhsa_accum_offset 28
		.amdhsa_reserve_vcc 1
		.amdhsa_float_round_mode_32 0
		.amdhsa_float_round_mode_16_64 0
		.amdhsa_float_denorm_mode_32 3
		.amdhsa_float_denorm_mode_16_64 3
		.amdhsa_dx10_clamp 1
		.amdhsa_ieee_mode 1
		.amdhsa_fp16_overflow 0
		.amdhsa_tg_split 0
		.amdhsa_exception_fp_ieee_invalid_op 0
		.amdhsa_exception_fp_denorm_src 0
		.amdhsa_exception_fp_ieee_div_zero 0
		.amdhsa_exception_fp_ieee_overflow 0
		.amdhsa_exception_fp_ieee_underflow 0
		.amdhsa_exception_fp_ieee_inexact 0
		.amdhsa_exception_int_div_zero 0
	.end_amdhsa_kernel
	.section	.text._ZN9rocsparseL34gtsv_solve_spike_grid_level_kernelILj8EfEEviiiPT0_PKS1_S4_,"axG",@progbits,_ZN9rocsparseL34gtsv_solve_spike_grid_level_kernelILj8EfEEviiiPT0_PKS1_S4_,comdat
.Lfunc_end9:
	.size	_ZN9rocsparseL34gtsv_solve_spike_grid_level_kernelILj8EfEEviiiPT0_PKS1_S4_, .Lfunc_end9-_ZN9rocsparseL34gtsv_solve_spike_grid_level_kernelILj8EfEEviiiPT0_PKS1_S4_
                                        ; -- End function
	.set _ZN9rocsparseL34gtsv_solve_spike_grid_level_kernelILj8EfEEviiiPT0_PKS1_S4_.num_vgpr, 28
	.set _ZN9rocsparseL34gtsv_solve_spike_grid_level_kernelILj8EfEEviiiPT0_PKS1_S4_.num_agpr, 0
	.set _ZN9rocsparseL34gtsv_solve_spike_grid_level_kernelILj8EfEEviiiPT0_PKS1_S4_.numbered_sgpr, 10
	.set _ZN9rocsparseL34gtsv_solve_spike_grid_level_kernelILj8EfEEviiiPT0_PKS1_S4_.num_named_barrier, 0
	.set _ZN9rocsparseL34gtsv_solve_spike_grid_level_kernelILj8EfEEviiiPT0_PKS1_S4_.private_seg_size, 0
	.set _ZN9rocsparseL34gtsv_solve_spike_grid_level_kernelILj8EfEEviiiPT0_PKS1_S4_.uses_vcc, 1
	.set _ZN9rocsparseL34gtsv_solve_spike_grid_level_kernelILj8EfEEviiiPT0_PKS1_S4_.uses_flat_scratch, 0
	.set _ZN9rocsparseL34gtsv_solve_spike_grid_level_kernelILj8EfEEviiiPT0_PKS1_S4_.has_dyn_sized_stack, 0
	.set _ZN9rocsparseL34gtsv_solve_spike_grid_level_kernelILj8EfEEviiiPT0_PKS1_S4_.has_recursion, 0
	.set _ZN9rocsparseL34gtsv_solve_spike_grid_level_kernelILj8EfEEviiiPT0_PKS1_S4_.has_indirect_call, 0
	.section	.AMDGPU.csdata,"",@progbits
; Kernel info:
; codeLenInByte = 1444
; TotalNumSgprs: 16
; NumVgprs: 28
; NumAgprs: 0
; TotalNumVgprs: 28
; ScratchSize: 0
; MemoryBound: 0
; FloatMode: 240
; IeeeMode: 1
; LDSByteSize: 192 bytes/workgroup (compile time only)
; SGPRBlocks: 1
; VGPRBlocks: 3
; NumSGPRsForWavesPerEU: 16
; NumVGPRsForWavesPerEU: 28
; AccumOffset: 28
; Occupancy: 8
; WaveLimiterHint : 0
; COMPUTE_PGM_RSRC2:SCRATCH_EN: 0
; COMPUTE_PGM_RSRC2:USER_SGPR: 2
; COMPUTE_PGM_RSRC2:TRAP_HANDLER: 0
; COMPUTE_PGM_RSRC2:TGID_X_EN: 1
; COMPUTE_PGM_RSRC2:TGID_Y_EN: 1
; COMPUTE_PGM_RSRC2:TGID_Z_EN: 0
; COMPUTE_PGM_RSRC2:TIDIG_COMP_CNT: 0
; COMPUTE_PGM_RSRC3_GFX90A:ACCUM_OFFSET: 6
; COMPUTE_PGM_RSRC3_GFX90A:TG_SPLIT: 0
	.section	.text._ZN9rocsparseL34gtsv_solve_spike_grid_level_kernelILj16EfEEviiiPT0_PKS1_S4_,"axG",@progbits,_ZN9rocsparseL34gtsv_solve_spike_grid_level_kernelILj16EfEEviiiPT0_PKS1_S4_,comdat
	.globl	_ZN9rocsparseL34gtsv_solve_spike_grid_level_kernelILj16EfEEviiiPT0_PKS1_S4_ ; -- Begin function _ZN9rocsparseL34gtsv_solve_spike_grid_level_kernelILj16EfEEviiiPT0_PKS1_S4_
	.p2align	8
	.type	_ZN9rocsparseL34gtsv_solve_spike_grid_level_kernelILj16EfEEviiiPT0_PKS1_S4_,@function
_ZN9rocsparseL34gtsv_solve_spike_grid_level_kernelILj16EfEEviiiPT0_PKS1_S4_: ; @_ZN9rocsparseL34gtsv_solve_spike_grid_level_kernelILj16EfEEviiiPT0_PKS1_S4_
; %bb.0:
	s_load_dwordx4 s[4:7], s[0:1], 0x10
	s_load_dwordx2 s[8:9], s[0:1], 0x20
	v_lshl_or_b32 v4, s3, 5, v0
	v_mov_b32_e32 v5, 0
	v_lshlrev_b32_e32 v6, 2, v0
	s_waitcnt lgkmcnt(0)
	v_lshl_add_u64 v[2:3], v[4:5], 2, s[4:5]
	v_or_b32_e32 v4, 16, v4
	global_load_dword v7, v6, s[6:7]
	global_load_dword v8, v6, s[6:7] offset:64
	global_load_dword v9, v6, s[8:9]
	global_load_dword v10, v6, s[8:9] offset:64
	v_lshl_add_u64 v[4:5], v[4:5], 2, s[4:5]
	global_load_dword v11, v[2:3], off
	global_load_dword v12, v[4:5], off
	v_or_b32_e32 v1, 0x100, v6
	v_cmp_gt_u32_e64 s[0:1], 8, v0
	s_waitcnt vmcnt(4)
	ds_write2_b32 v6, v7, v8 offset0:32 offset1:48
	s_waitcnt vmcnt(2)
	ds_write2_b32 v6, v9, v10 offset1:16
	s_waitcnt vmcnt(0)
	ds_write2_b32 v6, v11, v12 offset0:64 offset1:80
	s_waitcnt lgkmcnt(0)
	; wave barrier
	s_and_saveexec_b64 s[2:3], s[0:1]
	s_cbranch_execz .LBB10_2
; %bb.1:
	v_or_b32_e32 v7, 0x80, v6
	v_add_u32_e32 v22, v6, v6
	v_add_u32_e32 v7, v7, v6
	ds_read2_b64 v[8:11], v22 offset1:8
	ds_read2_b64 v[12:15], v7 offset1:8
	v_add_u32_e32 v23, v1, v6
	ds_read2_b64 v[16:19], v23 offset1:8
	s_waitcnt lgkmcnt(1)
	v_fma_f32 v20, -v13, v10, 1.0
	v_div_scale_f32 v21, s[4:5], v20, v20, 1.0
	v_rcp_f32_e32 v24, v21
	v_div_scale_f32 v25, vcc, 1.0, v20, 1.0
	v_fma_f32 v26, -v21, v24, 1.0
	v_fmac_f32_e32 v24, v26, v24
	v_mul_f32_e32 v26, v25, v24
	v_fma_f32 v27, -v21, v26, v25
	v_fmac_f32_e32 v26, v27, v24
	v_fma_f32 v21, -v21, v26, v25
	v_div_fmas_f32 v21, v21, v24, v26
	v_div_fixup_f32 v24, v21, v20, 1.0
	s_waitcnt lgkmcnt(0)
	v_fma_f32 v20, -v10, v17, v18
	v_fma_f32 v17, -v13, v18, v17
	v_mul_f32_e32 v10, v10, v9
	v_mul_f32_e32 v13, v13, v14
	;; [unrolled: 1-line block ×4, first 2 shown]
	v_mul_f32_e64 v10, v10, -v24
	v_mul_f32_e32 v9, v24, v9
	v_mul_f32_e64 v13, v13, -v24
	v_mul_f32_e32 v14, v24, v14
	v_fma_f32 v16, -v17, v8, v16
	v_fma_f32 v21, -v15, v20, v19
	;; [unrolled: 1-line block ×3, first 2 shown]
	v_mul_f32_e64 v8, v9, -v8
	v_fma_f32 v11, -v10, v15, v11
	v_mul_f32_e64 v15, v14, -v15
	ds_write2_b64 v23, v[16:17], v[20:21] offset1:8
	ds_write2_b64 v22, v[8:9], v[10:11] offset1:8
	;; [unrolled: 1-line block ×3, first 2 shown]
.LBB10_2:
	s_or_b64 exec, exec, s[2:3]
	v_cmp_gt_u32_e64 s[2:3], 4, v0
	v_lshlrev_b32_e32 v7, 4, v0
	s_waitcnt lgkmcnt(0)
	; wave barrier
	s_and_saveexec_b64 s[4:5], s[2:3]
	s_cbranch_execz .LBB10_4
; %bb.3:
	v_mad_u32_u24 v20, v0, 12, v6
	ds_read2_b32 v[8:9], v7 offset0:32 offset1:34
	ds_read2_b32 v[10:11], v20 offset0:17 offset1:19
	;; [unrolled: 1-line block ×3, first 2 shown]
	v_mad_u32_u24 v21, v0, 12, v1
	ds_read2_b32 v[14:15], v21 offset0:17 offset1:19
	s_waitcnt lgkmcnt(2)
	v_fma_f32 v18, -v9, v10, 1.0
	v_div_scale_f32 v16, s[6:7], v18, v18, 1.0
	v_rcp_f32_e32 v19, v16
	v_div_scale_f32 v17, vcc, 1.0, v18, 1.0
	v_fma_f32 v22, -v16, v19, 1.0
	v_fmac_f32_e32 v19, v22, v19
	v_mul_f32_e32 v22, v17, v19
	v_fma_f32 v23, -v16, v22, v17
	v_fmac_f32_e32 v22, v23, v19
	v_fma_f32 v23, -v16, v22, v17
	ds_read2_b32 v[16:17], v21 offset1:2
	v_div_fmas_f32 v19, v23, v19, v22
	v_div_fixup_f32 v22, v19, v18, 1.0
	ds_read2_b32 v[18:19], v20 offset1:2
	s_waitcnt lgkmcnt(1)
	v_fma_f32 v23, -v10, v17, v14
	v_fma_f32 v14, -v9, v14, v17
	v_mul_f32_e32 v14, v14, v22
	v_mul_f32_e32 v23, v22, v23
	s_waitcnt lgkmcnt(0)
	v_fma_f32 v16, -v14, v18, v16
	v_mul_f32_e32 v9, v9, v12
	ds_write2_b32 v21, v16, v14 offset1:2
	v_fma_f32 v14, -v13, v23, v15
	v_mul_f32_e64 v9, v9, -v22
	ds_write2_b32 v21, v23, v14 offset0:17 offset1:19
	v_mul_f32_e32 v10, v10, v19
	v_mul_f32_e32 v14, v22, v19
	v_fma_f32 v8, -v9, v18, v8
	v_mul_f32_e64 v10, v10, -v22
	ds_write2_b32 v7, v8, v9 offset0:32 offset1:34
	v_mul_f32_e64 v8, v14, -v18
	v_mul_f32_e32 v12, v22, v12
	ds_write2_b32 v20, v8, v14 offset1:2
	v_fma_f32 v8, -v10, v13, v11
	ds_write2_b32 v20, v10, v8 offset0:17 offset1:19
	v_mul_f32_e64 v8, v12, -v13
	ds_write2_b32 v7, v12, v8 offset0:49 offset1:51
.LBB10_4:
	s_or_b64 exec, exec, s[4:5]
	v_cmp_gt_u32_e64 s[4:5], 2, v0
	v_lshlrev_b32_e32 v8, 5, v0
	s_waitcnt lgkmcnt(0)
	; wave barrier
	s_and_saveexec_b64 s[6:7], s[4:5]
	s_cbranch_execz .LBB10_6
; %bb.5:
	ds_read2_b32 v[10:11], v8 offset0:32 offset1:36
	ds_read2_b32 v[12:13], v8 offset0:19 offset1:23
	;; [unrolled: 1-line block ×4, first 2 shown]
	s_waitcnt lgkmcnt(2)
	v_fma_f32 v9, -v11, v12, 1.0
	v_div_scale_f32 v18, s[8:9], v9, v9, 1.0
	v_rcp_f32_e32 v19, v18
	v_div_scale_f32 v20, vcc, 1.0, v9, 1.0
	v_fma_f32 v21, -v18, v19, 1.0
	v_fmac_f32_e32 v19, v21, v19
	v_mul_f32_e32 v21, v20, v19
	v_fma_f32 v22, -v18, v21, v20
	v_fmac_f32_e32 v21, v22, v19
	v_fma_f32 v18, -v18, v21, v20
	v_div_fmas_f32 v18, v18, v19, v21
	v_div_fixup_f32 v9, v18, v9, 1.0
	s_waitcnt lgkmcnt(0)
	v_fma_f32 v20, -v12, v17, v14
	ds_read2_b32 v[18:19], v8 offset1:4
	v_mul_f32_e32 v22, v9, v20
	ds_read2_b32 v[20:21], v8 offset0:51 offset1:55
	v_fma_f32 v14, -v11, v14, v17
	v_mul_f32_e32 v14, v14, v9
	s_waitcnt lgkmcnt(1)
	v_fma_f32 v16, -v14, v18, v16
	ds_write2_b32 v8, v16, v14 offset0:64 offset1:68
	s_waitcnt lgkmcnt(1)
	v_mul_f32_e32 v11, v11, v20
	v_fma_f32 v14, -v21, v22, v15
	v_mul_f32_e64 v11, v11, -v9
	ds_write2_b32 v8, v22, v14 offset0:83 offset1:87
	v_mul_f32_e32 v12, v12, v19
	v_mul_f32_e32 v14, v9, v19
	v_fma_f32 v10, -v11, v18, v10
	v_mul_f32_e64 v12, v12, -v9
	ds_write2_b32 v8, v10, v11 offset0:32 offset1:36
	v_mul_f32_e64 v10, v14, -v18
	v_mul_f32_e32 v9, v9, v20
	ds_write2_b32 v8, v10, v14 offset1:4
	v_fma_f32 v10, -v12, v21, v13
	ds_write2_b32 v8, v12, v10 offset0:19 offset1:23
	v_mul_f32_e64 v10, v9, -v21
	ds_write2_b32 v8, v9, v10 offset0:51 offset1:55
.LBB10_6:
	s_or_b64 exec, exec, s[6:7]
	v_cmp_eq_u32_e32 vcc, 0, v0
	s_waitcnt lgkmcnt(0)
	; wave barrier
	s_and_saveexec_b64 s[6:7], vcc
	s_cbranch_execz .LBB10_8
; %bb.7:
	v_mov_b32_e32 v9, 0
	ds_read2_b32 v[10:11], v9 offset0:23 offset1:40
	ds_read2_b32 v[12:13], v9 offset0:87 offset1:95
	;; [unrolled: 1-line block ×3, first 2 shown]
	s_waitcnt lgkmcnt(2)
	v_fma_f32 v16, -v11, v10, 1.0
	v_div_scale_f32 v17, s[8:9], v16, v16, 1.0
	v_rcp_f32_e32 v18, v17
	v_div_scale_f32 v19, vcc, 1.0, v16, 1.0
	s_waitcnt lgkmcnt(0)
	v_fma_f32 v20, -v10, v15, v12
	v_fma_f32 v21, -v17, v18, 1.0
	v_fmac_f32_e32 v18, v21, v18
	v_mul_f32_e32 v21, v19, v18
	v_fma_f32 v22, -v17, v21, v19
	v_fmac_f32_e32 v21, v22, v18
	v_fma_f32 v17, -v17, v21, v19
	v_div_fmas_f32 v17, v17, v18, v21
	v_div_fixup_f32 v22, v17, v16, 1.0
	ds_read2_b32 v[16:17], v9 offset0:63 offset1:64
	ds_read2_b32 v[18:19], v9 offset1:8
	v_mul_f32_e32 v23, v22, v20
	ds_read2_b32 v[20:21], v9 offset0:31 offset1:32
	v_fma_f32 v12, -v11, v12, v15
	v_mul_f32_e32 v11, v11, v14
	s_waitcnt lgkmcnt(1)
	v_mul_f32_e32 v10, v10, v19
	v_fma_f32 v13, -v16, v23, v13
	v_mul_f32_e64 v10, v10, -v22
	v_mul_f32_e64 v11, v11, -v22
	v_mul_f32_e32 v12, v12, v22
	ds_write2_b32 v9, v23, v13 offset0:87 offset1:95
	v_mul_f32_e32 v13, v22, v19
	ds_write2_b32 v9, v10, v11 offset0:23 offset1:40
	v_mul_f32_e32 v14, v22, v14
	s_waitcnt lgkmcnt(2)
	v_fma_f32 v11, -v11, v18, v21
	v_fma_f32 v10, -v10, v16, v20
	;; [unrolled: 1-line block ×3, first 2 shown]
	ds_write2_b32 v9, v14, v12 offset0:55 offset1:72
	v_mul_f32_e64 v12, v13, -v18
	ds_write2_b32 v9, v10, v11 offset0:31 offset1:32
	v_mul_f32_e64 v10, v14, -v16
	ds_write2_b32 v9, v12, v13 offset1:8
	ds_write2_b32 v9, v10, v15 offset0:63 offset1:64
.LBB10_8:
	s_or_b64 exec, exec, s[6:7]
	v_lshlrev_b32_e32 v9, 3, v0
	s_waitcnt lgkmcnt(0)
	; wave barrier
	s_and_saveexec_b64 s[6:7], s[4:5]
	s_cbranch_execz .LBB10_10
; %bb.9:
	v_max_u32_e32 v14, 1, v9
	v_min_u32_e32 v16, 7, v9
	ds_read2_b32 v[10:11], v8 offset0:68 offset1:83
	ds_read2_b32 v[12:13], v8 offset0:36 offset1:51
	v_lshlrev_b32_e32 v17, 2, v14
	ds_read2_b32 v[14:15], v8 offset0:4 offset1:19
	v_lshlrev_b32_e32 v16, 2, v16
	ds_read_b32 v18, v17 offset:316
	ds_read_b32 v19, v16 offset:288
	s_waitcnt lgkmcnt(1)
	v_fma_f32 v11, -v13, v18, v11
	s_waitcnt lgkmcnt(0)
	v_fma_f32 v11, -v15, v19, v11
	ds_write_b32 v8, v11 offset:332
	ds_read_b32 v11, v17 offset:316
	s_waitcnt lgkmcnt(0)
	v_fma_f32 v10, -v12, v11, v10
	ds_write_b32 v8, v10 offset:272
	ds_read_b32 v11, v16 offset:288
	s_waitcnt lgkmcnt(0)
	v_fma_f32 v10, -v14, v11, v10
	ds_write_b32 v8, v10 offset:272
.LBB10_10:
	s_or_b64 exec, exec, s[6:7]
	s_waitcnt lgkmcnt(0)
	; wave barrier
	s_and_saveexec_b64 s[4:5], s[2:3]
	s_cbranch_execz .LBB10_12
; %bb.11:
	v_max_u32_e32 v8, 1, v6
	v_min_u32_e32 v6, 11, v6
	ds_read2_b32 v[10:11], v7 offset0:66 offset1:81
	ds_read2_b32 v[12:13], v7 offset0:34 offset1:49
	v_lshlrev_b32_e32 v8, 2, v8
	ds_read2_b32 v[14:15], v7 offset0:2 offset1:17
	v_lshlrev_b32_e32 v6, 2, v6
	ds_read_b32 v16, v8 offset:316
	ds_read_b32 v17, v6 offset:272
	s_waitcnt lgkmcnt(1)
	v_fma_f32 v11, -v13, v16, v11
	s_waitcnt lgkmcnt(0)
	v_fma_f32 v11, -v15, v17, v11
	ds_write_b32 v7, v11 offset:324
	ds_read_b32 v8, v8 offset:316
	s_waitcnt lgkmcnt(0)
	v_fma_f32 v8, -v12, v8, v10
	ds_write_b32 v7, v8 offset:264
	ds_read_b32 v6, v6 offset:272
	s_waitcnt lgkmcnt(0)
	v_fma_f32 v6, -v14, v6, v8
	ds_write_b32 v7, v6 offset:264
.LBB10_12:
	s_or_b64 exec, exec, s[4:5]
	s_waitcnt lgkmcnt(0)
	; wave barrier
	s_and_saveexec_b64 s[2:3], s[0:1]
	s_cbranch_execz .LBB10_14
; %bb.13:
	v_lshlrev_b32_e32 v0, 1, v0
	v_max_u32_e32 v8, 1, v0
	v_min_u32_e32 v0, 13, v0
	ds_read2_b32 v[6:7], v9 offset0:65 offset1:80
	ds_read2_b32 v[10:11], v9 offset0:33 offset1:48
	v_lshlrev_b32_e32 v8, 2, v8
	ds_read2_b32 v[12:13], v9 offset0:1 offset1:16
	v_lshlrev_b32_e32 v0, 2, v0
	ds_read_b32 v14, v8 offset:316
	ds_read_b32 v15, v0 offset:264
	s_waitcnt lgkmcnt(1)
	v_fma_f32 v7, -v11, v14, v7
	s_waitcnt lgkmcnt(0)
	v_fma_f32 v7, -v13, v15, v7
	ds_write_b32 v9, v7 offset:320
	ds_read_b32 v7, v8 offset:316
	s_waitcnt lgkmcnt(0)
	v_fma_f32 v6, -v10, v7, v6
	ds_write_b32 v9, v6 offset:260
	ds_read_b32 v0, v0 offset:264
	s_waitcnt lgkmcnt(0)
	v_fma_f32 v0, -v12, v0, v6
	ds_write_b32 v9, v0 offset:260
.LBB10_14:
	s_or_b64 exec, exec, s[2:3]
	s_waitcnt lgkmcnt(0)
	; wave barrier
	ds_read2_b32 v[0:1], v1 offset1:16
	s_waitcnt lgkmcnt(0)
	global_store_dword v[2:3], v0, off
	global_store_dword v[4:5], v1, off
	s_endpgm
	.section	.rodata,"a",@progbits
	.p2align	6, 0x0
	.amdhsa_kernel _ZN9rocsparseL34gtsv_solve_spike_grid_level_kernelILj16EfEEviiiPT0_PKS1_S4_
		.amdhsa_group_segment_fixed_size 384
		.amdhsa_private_segment_fixed_size 0
		.amdhsa_kernarg_size 40
		.amdhsa_user_sgpr_count 2
		.amdhsa_user_sgpr_dispatch_ptr 0
		.amdhsa_user_sgpr_queue_ptr 0
		.amdhsa_user_sgpr_kernarg_segment_ptr 1
		.amdhsa_user_sgpr_dispatch_id 0
		.amdhsa_user_sgpr_kernarg_preload_length 0
		.amdhsa_user_sgpr_kernarg_preload_offset 0
		.amdhsa_user_sgpr_private_segment_size 0
		.amdhsa_uses_dynamic_stack 0
		.amdhsa_enable_private_segment 0
		.amdhsa_system_sgpr_workgroup_id_x 1
		.amdhsa_system_sgpr_workgroup_id_y 1
		.amdhsa_system_sgpr_workgroup_id_z 0
		.amdhsa_system_sgpr_workgroup_info 0
		.amdhsa_system_vgpr_workitem_id 0
		.amdhsa_next_free_vgpr 28
		.amdhsa_next_free_sgpr 10
		.amdhsa_accum_offset 28
		.amdhsa_reserve_vcc 1
		.amdhsa_float_round_mode_32 0
		.amdhsa_float_round_mode_16_64 0
		.amdhsa_float_denorm_mode_32 3
		.amdhsa_float_denorm_mode_16_64 3
		.amdhsa_dx10_clamp 1
		.amdhsa_ieee_mode 1
		.amdhsa_fp16_overflow 0
		.amdhsa_tg_split 0
		.amdhsa_exception_fp_ieee_invalid_op 0
		.amdhsa_exception_fp_denorm_src 0
		.amdhsa_exception_fp_ieee_div_zero 0
		.amdhsa_exception_fp_ieee_overflow 0
		.amdhsa_exception_fp_ieee_underflow 0
		.amdhsa_exception_fp_ieee_inexact 0
		.amdhsa_exception_int_div_zero 0
	.end_amdhsa_kernel
	.section	.text._ZN9rocsparseL34gtsv_solve_spike_grid_level_kernelILj16EfEEviiiPT0_PKS1_S4_,"axG",@progbits,_ZN9rocsparseL34gtsv_solve_spike_grid_level_kernelILj16EfEEviiiPT0_PKS1_S4_,comdat
.Lfunc_end10:
	.size	_ZN9rocsparseL34gtsv_solve_spike_grid_level_kernelILj16EfEEviiiPT0_PKS1_S4_, .Lfunc_end10-_ZN9rocsparseL34gtsv_solve_spike_grid_level_kernelILj16EfEEviiiPT0_PKS1_S4_
                                        ; -- End function
	.set _ZN9rocsparseL34gtsv_solve_spike_grid_level_kernelILj16EfEEviiiPT0_PKS1_S4_.num_vgpr, 28
	.set _ZN9rocsparseL34gtsv_solve_spike_grid_level_kernelILj16EfEEviiiPT0_PKS1_S4_.num_agpr, 0
	.set _ZN9rocsparseL34gtsv_solve_spike_grid_level_kernelILj16EfEEviiiPT0_PKS1_S4_.numbered_sgpr, 10
	.set _ZN9rocsparseL34gtsv_solve_spike_grid_level_kernelILj16EfEEviiiPT0_PKS1_S4_.num_named_barrier, 0
	.set _ZN9rocsparseL34gtsv_solve_spike_grid_level_kernelILj16EfEEviiiPT0_PKS1_S4_.private_seg_size, 0
	.set _ZN9rocsparseL34gtsv_solve_spike_grid_level_kernelILj16EfEEviiiPT0_PKS1_S4_.uses_vcc, 1
	.set _ZN9rocsparseL34gtsv_solve_spike_grid_level_kernelILj16EfEEviiiPT0_PKS1_S4_.uses_flat_scratch, 0
	.set _ZN9rocsparseL34gtsv_solve_spike_grid_level_kernelILj16EfEEviiiPT0_PKS1_S4_.has_dyn_sized_stack, 0
	.set _ZN9rocsparseL34gtsv_solve_spike_grid_level_kernelILj16EfEEviiiPT0_PKS1_S4_.has_recursion, 0
	.set _ZN9rocsparseL34gtsv_solve_spike_grid_level_kernelILj16EfEEviiiPT0_PKS1_S4_.has_indirect_call, 0
	.section	.AMDGPU.csdata,"",@progbits
; Kernel info:
; codeLenInByte = 1936
; TotalNumSgprs: 16
; NumVgprs: 28
; NumAgprs: 0
; TotalNumVgprs: 28
; ScratchSize: 0
; MemoryBound: 0
; FloatMode: 240
; IeeeMode: 1
; LDSByteSize: 384 bytes/workgroup (compile time only)
; SGPRBlocks: 1
; VGPRBlocks: 3
; NumSGPRsForWavesPerEU: 16
; NumVGPRsForWavesPerEU: 28
; AccumOffset: 28
; Occupancy: 8
; WaveLimiterHint : 0
; COMPUTE_PGM_RSRC2:SCRATCH_EN: 0
; COMPUTE_PGM_RSRC2:USER_SGPR: 2
; COMPUTE_PGM_RSRC2:TRAP_HANDLER: 0
; COMPUTE_PGM_RSRC2:TGID_X_EN: 1
; COMPUTE_PGM_RSRC2:TGID_Y_EN: 1
; COMPUTE_PGM_RSRC2:TGID_Z_EN: 0
; COMPUTE_PGM_RSRC2:TIDIG_COMP_CNT: 0
; COMPUTE_PGM_RSRC3_GFX90A:ACCUM_OFFSET: 6
; COMPUTE_PGM_RSRC3_GFX90A:TG_SPLIT: 0
	.section	.text._ZN9rocsparseL34gtsv_solve_spike_grid_level_kernelILj32EfEEviiiPT0_PKS1_S4_,"axG",@progbits,_ZN9rocsparseL34gtsv_solve_spike_grid_level_kernelILj32EfEEviiiPT0_PKS1_S4_,comdat
	.globl	_ZN9rocsparseL34gtsv_solve_spike_grid_level_kernelILj32EfEEviiiPT0_PKS1_S4_ ; -- Begin function _ZN9rocsparseL34gtsv_solve_spike_grid_level_kernelILj32EfEEviiiPT0_PKS1_S4_
	.p2align	8
	.type	_ZN9rocsparseL34gtsv_solve_spike_grid_level_kernelILj32EfEEviiiPT0_PKS1_S4_,@function
_ZN9rocsparseL34gtsv_solve_spike_grid_level_kernelILj32EfEEviiiPT0_PKS1_S4_: ; @_ZN9rocsparseL34gtsv_solve_spike_grid_level_kernelILj32EfEEviiiPT0_PKS1_S4_
; %bb.0:
	s_load_dwordx4 s[4:7], s[0:1], 0x10
	s_load_dwordx2 s[8:9], s[0:1], 0x20
	v_lshl_or_b32 v4, s3, 6, v0
	v_mov_b32_e32 v5, 0
	v_lshlrev_b32_e32 v6, 2, v0
	s_waitcnt lgkmcnt(0)
	v_lshl_add_u64 v[2:3], v[4:5], 2, s[4:5]
	v_or_b32_e32 v4, 32, v4
	global_load_dword v7, v6, s[6:7]
	global_load_dword v8, v6, s[6:7] offset:128
	global_load_dword v9, v6, s[8:9]
	global_load_dword v10, v6, s[8:9] offset:128
	v_lshl_add_u64 v[4:5], v[4:5], 2, s[4:5]
	global_load_dword v11, v[2:3], off
	global_load_dword v12, v[4:5], off
	v_or_b32_e32 v1, 0x200, v6
	v_cmp_gt_u32_e64 s[0:1], 16, v0
	s_waitcnt vmcnt(4)
	ds_write2_b32 v6, v7, v8 offset0:64 offset1:96
	s_waitcnt vmcnt(2)
	ds_write2_b32 v6, v9, v10 offset1:32
	s_waitcnt vmcnt(0)
	ds_write2_b32 v6, v11, v12 offset0:128 offset1:160
	s_waitcnt lgkmcnt(0)
	; wave barrier
	s_and_saveexec_b64 s[2:3], s[0:1]
	s_cbranch_execz .LBB11_2
; %bb.1:
	v_or_b32_e32 v7, 0x100, v6
	v_add_u32_e32 v22, v6, v6
	v_add_u32_e32 v7, v7, v6
	ds_read2_b64 v[8:11], v22 offset1:16
	ds_read2_b64 v[12:15], v7 offset1:16
	v_add_u32_e32 v23, v1, v6
	ds_read2_b64 v[16:19], v23 offset1:16
	s_waitcnt lgkmcnt(1)
	v_fma_f32 v20, -v13, v10, 1.0
	v_div_scale_f32 v21, s[4:5], v20, v20, 1.0
	v_rcp_f32_e32 v24, v21
	v_div_scale_f32 v25, vcc, 1.0, v20, 1.0
	v_fma_f32 v26, -v21, v24, 1.0
	v_fmac_f32_e32 v24, v26, v24
	v_mul_f32_e32 v26, v25, v24
	v_fma_f32 v27, -v21, v26, v25
	v_fmac_f32_e32 v26, v27, v24
	v_fma_f32 v21, -v21, v26, v25
	v_div_fmas_f32 v21, v21, v24, v26
	v_div_fixup_f32 v24, v21, v20, 1.0
	s_waitcnt lgkmcnt(0)
	v_fma_f32 v20, -v10, v17, v18
	v_fma_f32 v17, -v13, v18, v17
	v_mul_f32_e32 v10, v10, v9
	v_mul_f32_e32 v13, v13, v14
	;; [unrolled: 1-line block ×4, first 2 shown]
	v_mul_f32_e64 v10, v10, -v24
	v_mul_f32_e32 v9, v24, v9
	v_mul_f32_e64 v13, v13, -v24
	v_mul_f32_e32 v14, v24, v14
	v_fma_f32 v16, -v17, v8, v16
	v_fma_f32 v21, -v15, v20, v19
	v_fma_f32 v12, -v13, v8, v12
	v_mul_f32_e64 v8, v9, -v8
	v_fma_f32 v11, -v10, v15, v11
	v_mul_f32_e64 v15, v14, -v15
	ds_write2_b64 v23, v[16:17], v[20:21] offset1:16
	ds_write2_b64 v22, v[8:9], v[10:11] offset1:16
	;; [unrolled: 1-line block ×3, first 2 shown]
.LBB11_2:
	s_or_b64 exec, exec, s[2:3]
	v_cmp_gt_u32_e64 s[2:3], 8, v0
	v_lshlrev_b32_e32 v7, 4, v0
	s_waitcnt lgkmcnt(0)
	; wave barrier
	s_and_saveexec_b64 s[4:5], s[2:3]
	s_cbranch_execz .LBB11_4
; %bb.3:
	v_mad_u32_u24 v20, v0, 12, v6
	ds_read2_b32 v[8:9], v7 offset0:64 offset1:66
	ds_read2_b32 v[10:11], v20 offset0:33 offset1:35
	v_mad_u32_u24 v21, v0, 12, v1
	ds_read2_b32 v[12:13], v21 offset0:33 offset1:35
	ds_read2_b32 v[14:15], v21 offset1:2
	s_waitcnt lgkmcnt(2)
	v_fma_f32 v16, -v9, v10, 1.0
	v_div_scale_f32 v17, s[6:7], v16, v16, 1.0
	v_rcp_f32_e32 v18, v17
	v_div_scale_f32 v19, vcc, 1.0, v16, 1.0
	v_fma_f32 v22, -v17, v18, 1.0
	v_fmac_f32_e32 v18, v22, v18
	v_mul_f32_e32 v22, v19, v18
	v_fma_f32 v23, -v17, v22, v19
	v_fmac_f32_e32 v22, v23, v18
	v_fma_f32 v17, -v17, v22, v19
	v_div_fmas_f32 v17, v17, v18, v22
	v_div_fixup_f32 v22, v17, v16, 1.0
	s_waitcnt lgkmcnt(0)
	v_fma_f32 v18, -v10, v15, v12
	ds_read2_b32 v[16:17], v20 offset1:2
	v_mul_f32_e32 v23, v22, v18
	ds_read2_b32 v[18:19], v7 offset0:97 offset1:99
	v_fma_f32 v12, -v9, v12, v15
	v_mul_f32_e32 v12, v12, v22
	s_waitcnt lgkmcnt(1)
	v_fma_f32 v14, -v12, v16, v14
	ds_write2_b32 v21, v14, v12 offset1:2
	s_waitcnt lgkmcnt(1)
	v_mul_f32_e32 v9, v9, v18
	v_fma_f32 v12, -v19, v23, v13
	v_mul_f32_e64 v9, v9, -v22
	ds_write2_b32 v21, v23, v12 offset0:33 offset1:35
	v_mul_f32_e32 v10, v10, v17
	v_mul_f32_e32 v12, v22, v17
	v_fma_f32 v8, -v9, v16, v8
	v_mul_f32_e64 v10, v10, -v22
	ds_write2_b32 v7, v8, v9 offset0:64 offset1:66
	v_mul_f32_e64 v8, v12, -v16
	v_mul_f32_e32 v13, v22, v18
	ds_write2_b32 v20, v8, v12 offset1:2
	v_fma_f32 v8, -v10, v19, v11
	ds_write2_b32 v20, v10, v8 offset0:33 offset1:35
	v_mul_f32_e64 v8, v13, -v19
	ds_write2_b32 v7, v13, v8 offset0:97 offset1:99
.LBB11_4:
	s_or_b64 exec, exec, s[4:5]
	v_cmp_gt_u32_e64 s[4:5], 4, v0
	v_lshlrev_b32_e32 v8, 5, v0
	s_waitcnt lgkmcnt(0)
	; wave barrier
	s_and_saveexec_b64 s[6:7], s[4:5]
	s_cbranch_execz .LBB11_6
; %bb.5:
	ds_read2_b32 v[10:11], v8 offset0:64 offset1:68
	ds_read2_b32 v[12:13], v8 offset0:35 offset1:39
	;; [unrolled: 1-line block ×4, first 2 shown]
	s_waitcnt lgkmcnt(2)
	v_fma_f32 v9, -v11, v12, 1.0
	v_div_scale_f32 v18, s[8:9], v9, v9, 1.0
	v_rcp_f32_e32 v19, v18
	v_div_scale_f32 v20, vcc, 1.0, v9, 1.0
	v_fma_f32 v21, -v18, v19, 1.0
	v_fmac_f32_e32 v19, v21, v19
	v_mul_f32_e32 v21, v20, v19
	v_fma_f32 v22, -v18, v21, v20
	v_fmac_f32_e32 v21, v22, v19
	v_fma_f32 v18, -v18, v21, v20
	v_div_fmas_f32 v18, v18, v19, v21
	v_div_fixup_f32 v9, v18, v9, 1.0
	s_waitcnt lgkmcnt(0)
	v_fma_f32 v20, -v12, v17, v14
	ds_read2_b32 v[18:19], v8 offset1:4
	v_mul_f32_e32 v22, v9, v20
	ds_read2_b32 v[20:21], v8 offset0:99 offset1:103
	v_fma_f32 v14, -v11, v14, v17
	v_mul_f32_e32 v14, v14, v9
	s_waitcnt lgkmcnt(1)
	v_fma_f32 v16, -v14, v18, v16
	ds_write2_b32 v8, v16, v14 offset0:128 offset1:132
	s_waitcnt lgkmcnt(1)
	v_mul_f32_e32 v11, v11, v20
	v_fma_f32 v14, -v21, v22, v15
	v_mul_f32_e64 v11, v11, -v9
	ds_write2_b32 v8, v22, v14 offset0:163 offset1:167
	v_mul_f32_e32 v12, v12, v19
	v_mul_f32_e32 v14, v9, v19
	v_fma_f32 v10, -v11, v18, v10
	v_mul_f32_e64 v12, v12, -v9
	ds_write2_b32 v8, v10, v11 offset0:64 offset1:68
	v_mul_f32_e64 v10, v14, -v18
	v_mul_f32_e32 v9, v9, v20
	ds_write2_b32 v8, v10, v14 offset1:4
	v_fma_f32 v10, -v12, v21, v13
	ds_write2_b32 v8, v12, v10 offset0:35 offset1:39
	v_mul_f32_e64 v10, v9, -v21
	ds_write2_b32 v8, v9, v10 offset0:99 offset1:103
.LBB11_6:
	s_or_b64 exec, exec, s[6:7]
	v_cmp_gt_u32_e64 s[6:7], 2, v0
	v_lshlrev_b32_e32 v9, 6, v0
	s_waitcnt lgkmcnt(0)
	; wave barrier
	s_and_saveexec_b64 s[8:9], s[6:7]
	s_cbranch_execz .LBB11_8
; %bb.7:
	ds_read2_b32 v[10:11], v9 offset0:64 offset1:72
	ds_read2_b32 v[12:13], v9 offset0:39 offset1:47
	ds_read2_b32 v[14:15], v9 offset0:167 offset1:175
	ds_read2_b32 v[16:17], v9 offset0:128 offset1:136
	s_waitcnt lgkmcnt(2)
	v_fma_f32 v18, -v11, v12, 1.0
	v_div_scale_f32 v19, s[10:11], v18, v18, 1.0
	v_rcp_f32_e32 v20, v19
	v_div_scale_f32 v21, vcc, 1.0, v18, 1.0
	v_fma_f32 v22, -v19, v20, 1.0
	v_fmac_f32_e32 v20, v22, v20
	v_mul_f32_e32 v22, v21, v20
	v_fma_f32 v23, -v19, v22, v21
	v_fmac_f32_e32 v22, v23, v20
	v_fma_f32 v19, -v19, v22, v21
	v_div_fmas_f32 v19, v19, v20, v22
	v_div_fixup_f32 v22, v19, v18, 1.0
	s_waitcnt lgkmcnt(0)
	v_fma_f32 v20, -v12, v17, v14
	ds_read2_b32 v[18:19], v9 offset1:8
	v_mul_f32_e32 v23, v22, v20
	ds_read2_b32 v[20:21], v9 offset0:103 offset1:111
	v_fma_f32 v14, -v11, v14, v17
	v_mul_f32_e32 v14, v14, v22
	s_waitcnt lgkmcnt(1)
	v_fma_f32 v16, -v14, v18, v16
	ds_write2_b32 v9, v16, v14 offset0:128 offset1:136
	s_waitcnt lgkmcnt(1)
	v_mul_f32_e32 v11, v11, v20
	v_fma_f32 v14, -v21, v23, v15
	v_mul_f32_e64 v11, v11, -v22
	ds_write2_b32 v9, v23, v14 offset0:167 offset1:175
	v_mul_f32_e32 v12, v12, v19
	v_mul_f32_e32 v14, v22, v19
	v_fma_f32 v10, -v11, v18, v10
	v_mul_f32_e64 v12, v12, -v22
	ds_write2_b32 v9, v10, v11 offset0:64 offset1:72
	v_mul_f32_e64 v10, v14, -v18
	v_mul_f32_e32 v15, v22, v20
	ds_write2_b32 v9, v10, v14 offset1:8
	v_fma_f32 v10, -v12, v21, v13
	ds_write2_b32 v9, v12, v10 offset0:39 offset1:47
	v_mul_f32_e64 v10, v15, -v21
	ds_write2_b32 v9, v15, v10 offset0:103 offset1:111
.LBB11_8:
	s_or_b64 exec, exec, s[8:9]
	v_cmp_eq_u32_e32 vcc, 0, v0
	s_waitcnt lgkmcnt(0)
	; wave barrier
	s_and_saveexec_b64 s[8:9], vcc
	s_cbranch_execz .LBB11_10
; %bb.9:
	v_mov_b32_e32 v22, 0
	ds_read2_b32 v[10:11], v22 offset0:47 offset1:80
	ds_read2_b32 v[12:13], v22 offset0:175 offset1:191
	ds_read2_b32 v[14:15], v22 offset0:111 offset1:144
	s_waitcnt lgkmcnt(2)
	v_fma_f32 v16, -v11, v10, 1.0
	v_div_scale_f32 v17, s[10:11], v16, v16, 1.0
	v_rcp_f32_e32 v18, v17
	v_div_scale_f32 v19, vcc, 1.0, v16, 1.0
	s_waitcnt lgkmcnt(0)
	v_fma_f32 v20, -v10, v15, v12
	v_fma_f32 v21, -v17, v18, 1.0
	v_fmac_f32_e32 v18, v21, v18
	v_mul_f32_e32 v21, v19, v18
	v_fma_f32 v23, -v17, v21, v19
	v_fmac_f32_e32 v21, v23, v18
	v_fma_f32 v17, -v17, v21, v19
	v_div_fmas_f32 v17, v17, v18, v21
	v_div_fixup_f32 v23, v17, v16, 1.0
	ds_read2_b32 v[16:17], v22 offset0:127 offset1:128
	ds_read2_b32 v[18:19], v22 offset1:16
	v_mul_f32_e32 v24, v23, v20
	ds_read2_b32 v[20:21], v22 offset0:63 offset1:64
	v_fma_f32 v12, -v11, v12, v15
	v_mul_f32_e32 v11, v11, v14
	s_waitcnt lgkmcnt(1)
	v_mul_f32_e32 v10, v10, v19
	v_fma_f32 v13, -v16, v24, v13
	v_mul_f32_e64 v10, v10, -v23
	v_mul_f32_e64 v11, v11, -v23
	v_mul_f32_e32 v12, v12, v23
	ds_write2_b32 v22, v24, v13 offset0:175 offset1:191
	v_mul_f32_e32 v13, v23, v19
	ds_write2_b32 v22, v10, v11 offset0:47 offset1:80
	v_mul_f32_e32 v14, v23, v14
	s_waitcnt lgkmcnt(2)
	v_fma_f32 v11, -v11, v18, v21
	v_fma_f32 v10, -v10, v16, v20
	;; [unrolled: 1-line block ×3, first 2 shown]
	ds_write2_b32 v22, v14, v12 offset0:111 offset1:144
	v_mul_f32_e64 v12, v13, -v18
	ds_write2_b32 v22, v10, v11 offset0:63 offset1:64
	v_mul_f32_e64 v10, v14, -v16
	ds_write2_b32 v22, v12, v13 offset1:16
	ds_write2_b32 v22, v10, v15 offset0:127 offset1:128
.LBB11_10:
	s_or_b64 exec, exec, s[8:9]
	s_waitcnt lgkmcnt(0)
	; wave barrier
	s_and_saveexec_b64 s[8:9], s[6:7]
	s_cbranch_execz .LBB11_12
; %bb.11:
	v_max_u32_e32 v14, 1, v7
	v_min_u32_e32 v16, 15, v7
	ds_read2_b32 v[10:11], v9 offset0:136 offset1:167
	ds_read2_b32 v[12:13], v9 offset0:72 offset1:103
	v_lshlrev_b32_e32 v17, 2, v14
	ds_read2_b32 v[14:15], v9 offset0:8 offset1:39
	v_lshlrev_b32_e32 v16, 2, v16
	ds_read_b32 v18, v17 offset:636
	ds_read_b32 v19, v16 offset:576
	s_waitcnt lgkmcnt(1)
	v_fma_f32 v11, -v13, v18, v11
	s_waitcnt lgkmcnt(0)
	v_fma_f32 v11, -v15, v19, v11
	ds_write_b32 v9, v11 offset:668
	ds_read_b32 v11, v17 offset:636
	s_waitcnt lgkmcnt(0)
	v_fma_f32 v10, -v12, v11, v10
	ds_write_b32 v9, v10 offset:544
	ds_read_b32 v11, v16 offset:576
	s_waitcnt lgkmcnt(0)
	v_fma_f32 v10, -v14, v11, v10
	ds_write_b32 v9, v10 offset:544
.LBB11_12:
	s_or_b64 exec, exec, s[8:9]
	v_lshlrev_b32_e32 v9, 3, v0
	s_waitcnt lgkmcnt(0)
	; wave barrier
	s_and_saveexec_b64 s[6:7], s[4:5]
	s_cbranch_execz .LBB11_14
; %bb.13:
	v_max_u32_e32 v14, 1, v9
	v_min_u32_e32 v16, 23, v9
	ds_read2_b32 v[10:11], v8 offset0:132 offset1:163
	ds_read2_b32 v[12:13], v8 offset0:68 offset1:99
	v_lshlrev_b32_e32 v17, 2, v14
	ds_read2_b32 v[14:15], v8 offset0:4 offset1:35
	v_lshlrev_b32_e32 v16, 2, v16
	ds_read_b32 v18, v17 offset:636
	ds_read_b32 v19, v16 offset:544
	s_waitcnt lgkmcnt(1)
	v_fma_f32 v11, -v13, v18, v11
	s_waitcnt lgkmcnt(0)
	v_fma_f32 v11, -v15, v19, v11
	ds_write_b32 v8, v11 offset:652
	ds_read_b32 v11, v17 offset:636
	s_waitcnt lgkmcnt(0)
	v_fma_f32 v10, -v12, v11, v10
	ds_write_b32 v8, v10 offset:528
	ds_read_b32 v11, v16 offset:544
	s_waitcnt lgkmcnt(0)
	v_fma_f32 v10, -v14, v11, v10
	ds_write_b32 v8, v10 offset:528
.LBB11_14:
	s_or_b64 exec, exec, s[6:7]
	s_waitcnt lgkmcnt(0)
	; wave barrier
	s_and_saveexec_b64 s[4:5], s[2:3]
	s_cbranch_execz .LBB11_16
; %bb.15:
	v_max_u32_e32 v8, 1, v6
	v_min_u32_e32 v6, 27, v6
	ds_read2_b32 v[10:11], v7 offset0:130 offset1:161
	ds_read2_b32 v[12:13], v7 offset0:66 offset1:97
	v_lshlrev_b32_e32 v8, 2, v8
	ds_read2_b32 v[14:15], v7 offset0:2 offset1:33
	v_lshlrev_b32_e32 v6, 2, v6
	ds_read_b32 v16, v8 offset:636
	ds_read_b32 v17, v6 offset:528
	s_waitcnt lgkmcnt(1)
	v_fma_f32 v11, -v13, v16, v11
	s_waitcnt lgkmcnt(0)
	v_fma_f32 v11, -v15, v17, v11
	ds_write_b32 v7, v11 offset:644
	ds_read_b32 v8, v8 offset:636
	s_waitcnt lgkmcnt(0)
	v_fma_f32 v8, -v12, v8, v10
	ds_write_b32 v7, v8 offset:520
	ds_read_b32 v6, v6 offset:528
	s_waitcnt lgkmcnt(0)
	v_fma_f32 v6, -v14, v6, v8
	ds_write_b32 v7, v6 offset:520
.LBB11_16:
	s_or_b64 exec, exec, s[4:5]
	s_waitcnt lgkmcnt(0)
	; wave barrier
	s_and_saveexec_b64 s[2:3], s[0:1]
	s_cbranch_execz .LBB11_18
; %bb.17:
	v_lshlrev_b32_e32 v0, 1, v0
	v_max_u32_e32 v8, 1, v0
	v_min_u32_e32 v0, 29, v0
	ds_read2_b32 v[6:7], v9 offset0:129 offset1:160
	ds_read2_b32 v[10:11], v9 offset0:65 offset1:96
	v_lshlrev_b32_e32 v8, 2, v8
	ds_read2_b32 v[12:13], v9 offset0:1 offset1:32
	v_lshlrev_b32_e32 v0, 2, v0
	ds_read_b32 v14, v8 offset:636
	ds_read_b32 v15, v0 offset:520
	s_waitcnt lgkmcnt(1)
	v_fma_f32 v7, -v11, v14, v7
	s_waitcnt lgkmcnt(0)
	v_fma_f32 v7, -v13, v15, v7
	ds_write_b32 v9, v7 offset:640
	ds_read_b32 v7, v8 offset:636
	s_waitcnt lgkmcnt(0)
	v_fma_f32 v6, -v10, v7, v6
	ds_write_b32 v9, v6 offset:516
	ds_read_b32 v0, v0 offset:520
	s_waitcnt lgkmcnt(0)
	v_fma_f32 v0, -v12, v0, v6
	ds_write_b32 v9, v0 offset:516
.LBB11_18:
	s_or_b64 exec, exec, s[2:3]
	s_waitcnt lgkmcnt(0)
	; wave barrier
	ds_read2_b32 v[0:1], v1 offset1:32
	s_waitcnt lgkmcnt(0)
	global_store_dword v[2:3], v0, off
	global_store_dword v[4:5], v1, off
	s_endpgm
	.section	.rodata,"a",@progbits
	.p2align	6, 0x0
	.amdhsa_kernel _ZN9rocsparseL34gtsv_solve_spike_grid_level_kernelILj32EfEEviiiPT0_PKS1_S4_
		.amdhsa_group_segment_fixed_size 768
		.amdhsa_private_segment_fixed_size 0
		.amdhsa_kernarg_size 40
		.amdhsa_user_sgpr_count 2
		.amdhsa_user_sgpr_dispatch_ptr 0
		.amdhsa_user_sgpr_queue_ptr 0
		.amdhsa_user_sgpr_kernarg_segment_ptr 1
		.amdhsa_user_sgpr_dispatch_id 0
		.amdhsa_user_sgpr_kernarg_preload_length 0
		.amdhsa_user_sgpr_kernarg_preload_offset 0
		.amdhsa_user_sgpr_private_segment_size 0
		.amdhsa_uses_dynamic_stack 0
		.amdhsa_enable_private_segment 0
		.amdhsa_system_sgpr_workgroup_id_x 1
		.amdhsa_system_sgpr_workgroup_id_y 1
		.amdhsa_system_sgpr_workgroup_id_z 0
		.amdhsa_system_sgpr_workgroup_info 0
		.amdhsa_system_vgpr_workitem_id 0
		.amdhsa_next_free_vgpr 28
		.amdhsa_next_free_sgpr 12
		.amdhsa_accum_offset 28
		.amdhsa_reserve_vcc 1
		.amdhsa_float_round_mode_32 0
		.amdhsa_float_round_mode_16_64 0
		.amdhsa_float_denorm_mode_32 3
		.amdhsa_float_denorm_mode_16_64 3
		.amdhsa_dx10_clamp 1
		.amdhsa_ieee_mode 1
		.amdhsa_fp16_overflow 0
		.amdhsa_tg_split 0
		.amdhsa_exception_fp_ieee_invalid_op 0
		.amdhsa_exception_fp_denorm_src 0
		.amdhsa_exception_fp_ieee_div_zero 0
		.amdhsa_exception_fp_ieee_overflow 0
		.amdhsa_exception_fp_ieee_underflow 0
		.amdhsa_exception_fp_ieee_inexact 0
		.amdhsa_exception_int_div_zero 0
	.end_amdhsa_kernel
	.section	.text._ZN9rocsparseL34gtsv_solve_spike_grid_level_kernelILj32EfEEviiiPT0_PKS1_S4_,"axG",@progbits,_ZN9rocsparseL34gtsv_solve_spike_grid_level_kernelILj32EfEEviiiPT0_PKS1_S4_,comdat
.Lfunc_end11:
	.size	_ZN9rocsparseL34gtsv_solve_spike_grid_level_kernelILj32EfEEviiiPT0_PKS1_S4_, .Lfunc_end11-_ZN9rocsparseL34gtsv_solve_spike_grid_level_kernelILj32EfEEviiiPT0_PKS1_S4_
                                        ; -- End function
	.set _ZN9rocsparseL34gtsv_solve_spike_grid_level_kernelILj32EfEEviiiPT0_PKS1_S4_.num_vgpr, 28
	.set _ZN9rocsparseL34gtsv_solve_spike_grid_level_kernelILj32EfEEviiiPT0_PKS1_S4_.num_agpr, 0
	.set _ZN9rocsparseL34gtsv_solve_spike_grid_level_kernelILj32EfEEviiiPT0_PKS1_S4_.numbered_sgpr, 12
	.set _ZN9rocsparseL34gtsv_solve_spike_grid_level_kernelILj32EfEEviiiPT0_PKS1_S4_.num_named_barrier, 0
	.set _ZN9rocsparseL34gtsv_solve_spike_grid_level_kernelILj32EfEEviiiPT0_PKS1_S4_.private_seg_size, 0
	.set _ZN9rocsparseL34gtsv_solve_spike_grid_level_kernelILj32EfEEviiiPT0_PKS1_S4_.uses_vcc, 1
	.set _ZN9rocsparseL34gtsv_solve_spike_grid_level_kernelILj32EfEEviiiPT0_PKS1_S4_.uses_flat_scratch, 0
	.set _ZN9rocsparseL34gtsv_solve_spike_grid_level_kernelILj32EfEEviiiPT0_PKS1_S4_.has_dyn_sized_stack, 0
	.set _ZN9rocsparseL34gtsv_solve_spike_grid_level_kernelILj32EfEEviiiPT0_PKS1_S4_.has_recursion, 0
	.set _ZN9rocsparseL34gtsv_solve_spike_grid_level_kernelILj32EfEEviiiPT0_PKS1_S4_.has_indirect_call, 0
	.section	.AMDGPU.csdata,"",@progbits
; Kernel info:
; codeLenInByte = 2424
; TotalNumSgprs: 18
; NumVgprs: 28
; NumAgprs: 0
; TotalNumVgprs: 28
; ScratchSize: 0
; MemoryBound: 0
; FloatMode: 240
; IeeeMode: 1
; LDSByteSize: 768 bytes/workgroup (compile time only)
; SGPRBlocks: 2
; VGPRBlocks: 3
; NumSGPRsForWavesPerEU: 18
; NumVGPRsForWavesPerEU: 28
; AccumOffset: 28
; Occupancy: 8
; WaveLimiterHint : 1
; COMPUTE_PGM_RSRC2:SCRATCH_EN: 0
; COMPUTE_PGM_RSRC2:USER_SGPR: 2
; COMPUTE_PGM_RSRC2:TRAP_HANDLER: 0
; COMPUTE_PGM_RSRC2:TGID_X_EN: 1
; COMPUTE_PGM_RSRC2:TGID_Y_EN: 1
; COMPUTE_PGM_RSRC2:TGID_Z_EN: 0
; COMPUTE_PGM_RSRC2:TIDIG_COMP_CNT: 0
; COMPUTE_PGM_RSRC3_GFX90A:ACCUM_OFFSET: 6
; COMPUTE_PGM_RSRC3_GFX90A:TG_SPLIT: 0
	.section	.text._ZN9rocsparseL34gtsv_solve_spike_grid_level_kernelILj64EfEEviiiPT0_PKS1_S4_,"axG",@progbits,_ZN9rocsparseL34gtsv_solve_spike_grid_level_kernelILj64EfEEviiiPT0_PKS1_S4_,comdat
	.globl	_ZN9rocsparseL34gtsv_solve_spike_grid_level_kernelILj64EfEEviiiPT0_PKS1_S4_ ; -- Begin function _ZN9rocsparseL34gtsv_solve_spike_grid_level_kernelILj64EfEEviiiPT0_PKS1_S4_
	.p2align	8
	.type	_ZN9rocsparseL34gtsv_solve_spike_grid_level_kernelILj64EfEEviiiPT0_PKS1_S4_,@function
_ZN9rocsparseL34gtsv_solve_spike_grid_level_kernelILj64EfEEviiiPT0_PKS1_S4_: ; @_ZN9rocsparseL34gtsv_solve_spike_grid_level_kernelILj64EfEEviiiPT0_PKS1_S4_
; %bb.0:
	s_load_dwordx4 s[4:7], s[0:1], 0x10
	s_load_dwordx2 s[8:9], s[0:1], 0x20
	v_lshl_or_b32 v4, s3, 7, v0
	v_mov_b32_e32 v5, 0
	v_lshlrev_b32_e32 v6, 2, v0
	s_waitcnt lgkmcnt(0)
	v_lshl_add_u64 v[2:3], v[4:5], 2, s[4:5]
	v_or_b32_e32 v4, 64, v4
	global_load_dword v7, v6, s[6:7]
	global_load_dword v8, v6, s[6:7] offset:256
	global_load_dword v9, v6, s[8:9]
	global_load_dword v10, v6, s[8:9] offset:256
	v_lshl_add_u64 v[4:5], v[4:5], 2, s[4:5]
	global_load_dword v11, v[2:3], off
	global_load_dword v12, v[4:5], off
	v_or_b32_e32 v1, 0x400, v6
	v_cmp_gt_u32_e64 s[0:1], 32, v0
	s_waitcnt vmcnt(4)
	ds_write2st64_b32 v6, v7, v8 offset0:2 offset1:3
	s_waitcnt vmcnt(2)
	ds_write2st64_b32 v6, v9, v10 offset1:1
	s_waitcnt vmcnt(0)
	ds_write2st64_b32 v6, v11, v12 offset0:4 offset1:5
	s_waitcnt lgkmcnt(0)
	; wave barrier
	s_and_saveexec_b64 s[2:3], s[0:1]
	s_cbranch_execz .LBB12_2
; %bb.1:
	v_or_b32_e32 v7, 0x200, v6
	v_add_u32_e32 v22, v6, v6
	v_add_u32_e32 v7, v7, v6
	ds_read2_b64 v[8:11], v22 offset1:32
	ds_read2_b64 v[12:15], v7 offset1:32
	v_add_u32_e32 v23, v1, v6
	ds_read2_b64 v[16:19], v23 offset1:32
	s_waitcnt lgkmcnt(1)
	v_fma_f32 v20, -v13, v10, 1.0
	v_div_scale_f32 v21, s[4:5], v20, v20, 1.0
	v_rcp_f32_e32 v24, v21
	v_div_scale_f32 v25, vcc, 1.0, v20, 1.0
	v_fma_f32 v26, -v21, v24, 1.0
	v_fmac_f32_e32 v24, v26, v24
	v_mul_f32_e32 v26, v25, v24
	v_fma_f32 v27, -v21, v26, v25
	v_fmac_f32_e32 v26, v27, v24
	v_fma_f32 v21, -v21, v26, v25
	v_div_fmas_f32 v21, v21, v24, v26
	v_div_fixup_f32 v24, v21, v20, 1.0
	s_waitcnt lgkmcnt(0)
	v_fma_f32 v20, -v10, v17, v18
	v_fma_f32 v17, -v13, v18, v17
	v_mul_f32_e32 v10, v10, v9
	v_mul_f32_e32 v13, v13, v14
	;; [unrolled: 1-line block ×4, first 2 shown]
	v_mul_f32_e64 v10, v10, -v24
	v_mul_f32_e32 v9, v24, v9
	v_mul_f32_e64 v13, v13, -v24
	v_mul_f32_e32 v14, v24, v14
	v_fma_f32 v16, -v17, v8, v16
	v_fma_f32 v21, -v15, v20, v19
	;; [unrolled: 1-line block ×3, first 2 shown]
	v_mul_f32_e64 v8, v9, -v8
	v_fma_f32 v11, -v10, v15, v11
	v_mul_f32_e64 v15, v14, -v15
	ds_write2_b64 v23, v[16:17], v[20:21] offset1:32
	ds_write2_b64 v22, v[8:9], v[10:11] offset1:32
	;; [unrolled: 1-line block ×3, first 2 shown]
.LBB12_2:
	s_or_b64 exec, exec, s[2:3]
	v_cmp_gt_u32_e64 s[2:3], 16, v0
	v_lshlrev_b32_e32 v7, 4, v0
	s_waitcnt lgkmcnt(0)
	; wave barrier
	s_and_saveexec_b64 s[4:5], s[2:3]
	s_cbranch_execz .LBB12_4
; %bb.3:
	v_mad_u32_u24 v20, v0, 12, v6
	ds_read2_b32 v[8:9], v7 offset0:128 offset1:130
	ds_read2_b32 v[10:11], v20 offset0:65 offset1:67
	v_mad_u32_u24 v21, v0, 12, v1
	ds_read2_b32 v[12:13], v21 offset0:65 offset1:67
	ds_read2_b32 v[14:15], v21 offset1:2
	s_waitcnt lgkmcnt(2)
	v_fma_f32 v16, -v9, v10, 1.0
	v_div_scale_f32 v17, s[6:7], v16, v16, 1.0
	v_rcp_f32_e32 v18, v17
	v_div_scale_f32 v19, vcc, 1.0, v16, 1.0
	v_fma_f32 v22, -v17, v18, 1.0
	v_fmac_f32_e32 v18, v22, v18
	v_mul_f32_e32 v22, v19, v18
	v_fma_f32 v23, -v17, v22, v19
	v_fmac_f32_e32 v22, v23, v18
	v_fma_f32 v17, -v17, v22, v19
	v_div_fmas_f32 v17, v17, v18, v22
	v_div_fixup_f32 v22, v17, v16, 1.0
	s_waitcnt lgkmcnt(0)
	v_fma_f32 v18, -v10, v15, v12
	ds_read2_b32 v[16:17], v20 offset1:2
	v_mul_f32_e32 v23, v22, v18
	ds_read2_b32 v[18:19], v7 offset0:193 offset1:195
	v_fma_f32 v12, -v9, v12, v15
	v_mul_f32_e32 v12, v12, v22
	s_waitcnt lgkmcnt(1)
	v_fma_f32 v14, -v12, v16, v14
	ds_write2_b32 v21, v14, v12 offset1:2
	s_waitcnt lgkmcnt(1)
	v_mul_f32_e32 v9, v9, v18
	v_fma_f32 v12, -v19, v23, v13
	v_mul_f32_e64 v9, v9, -v22
	ds_write2_b32 v21, v23, v12 offset0:65 offset1:67
	v_mul_f32_e32 v10, v10, v17
	v_mul_f32_e32 v12, v22, v17
	v_fma_f32 v8, -v9, v16, v8
	v_mul_f32_e64 v10, v10, -v22
	ds_write2_b32 v7, v8, v9 offset0:128 offset1:130
	v_mul_f32_e64 v8, v12, -v16
	v_mul_f32_e32 v13, v22, v18
	ds_write2_b32 v20, v8, v12 offset1:2
	v_fma_f32 v8, -v10, v19, v11
	ds_write2_b32 v20, v10, v8 offset0:65 offset1:67
	v_mul_f32_e64 v8, v13, -v19
	ds_write2_b32 v7, v13, v8 offset0:193 offset1:195
.LBB12_4:
	s_or_b64 exec, exec, s[4:5]
	v_cmp_gt_u32_e64 s[4:5], 8, v0
	v_lshlrev_b32_e32 v8, 5, v0
	s_waitcnt lgkmcnt(0)
	; wave barrier
	s_and_saveexec_b64 s[6:7], s[4:5]
	s_cbranch_execz .LBB12_6
; %bb.5:
	ds_read2_b32 v[10:11], v8 offset0:128 offset1:132
	ds_read2_b32 v[12:13], v8 offset0:67 offset1:71
	v_add_u32_e32 v9, 0x400, v8
	ds_read2_b32 v[14:15], v9 offset0:67 offset1:71
	ds_read2_b32 v[16:17], v9 offset1:4
	s_waitcnt lgkmcnt(2)
	v_fma_f32 v18, -v11, v12, 1.0
	v_div_scale_f32 v19, s[8:9], v18, v18, 1.0
	v_rcp_f32_e32 v20, v19
	v_div_scale_f32 v21, vcc, 1.0, v18, 1.0
	v_fma_f32 v22, -v19, v20, 1.0
	v_fmac_f32_e32 v20, v22, v20
	v_mul_f32_e32 v22, v21, v20
	v_fma_f32 v23, -v19, v22, v21
	v_fmac_f32_e32 v22, v23, v20
	v_fma_f32 v19, -v19, v22, v21
	v_div_fmas_f32 v19, v19, v20, v22
	v_div_fixup_f32 v22, v19, v18, 1.0
	s_waitcnt lgkmcnt(0)
	v_fma_f32 v20, -v12, v17, v14
	ds_read2_b32 v[18:19], v8 offset1:4
	v_mul_f32_e32 v23, v22, v20
	ds_read2_b32 v[20:21], v8 offset0:195 offset1:199
	v_fma_f32 v14, -v11, v14, v17
	v_mul_f32_e32 v14, v14, v22
	s_waitcnt lgkmcnt(1)
	v_fma_f32 v16, -v14, v18, v16
	ds_write2_b32 v9, v16, v14 offset1:4
	s_waitcnt lgkmcnt(1)
	v_mul_f32_e32 v11, v11, v20
	v_fma_f32 v14, -v21, v23, v15
	v_mul_f32_e64 v11, v11, -v22
	ds_write2_b32 v9, v23, v14 offset0:67 offset1:71
	v_mul_f32_e32 v9, v12, v19
	v_mul_f32_e32 v12, v22, v19
	v_fma_f32 v10, -v11, v18, v10
	v_mul_f32_e64 v9, v9, -v22
	ds_write2_b32 v8, v10, v11 offset0:128 offset1:132
	v_mul_f32_e64 v10, v12, -v18
	v_mul_f32_e32 v14, v22, v20
	ds_write2_b32 v8, v10, v12 offset1:4
	v_fma_f32 v10, -v9, v21, v13
	ds_write2_b32 v8, v9, v10 offset0:67 offset1:71
	v_mul_f32_e64 v9, v14, -v21
	ds_write2_b32 v8, v14, v9 offset0:195 offset1:199
.LBB12_6:
	s_or_b64 exec, exec, s[6:7]
	v_cmp_gt_u32_e64 s[6:7], 4, v0
	v_lshlrev_b32_e32 v9, 6, v0
	s_waitcnt lgkmcnt(0)
	; wave barrier
	s_and_saveexec_b64 s[8:9], s[6:7]
	s_cbranch_execz .LBB12_8
; %bb.7:
	ds_read2_b32 v[10:11], v9 offset0:128 offset1:136
	ds_read2_b32 v[12:13], v9 offset0:71 offset1:79
	v_add_u32_e32 v22, 0x400, v9
	ds_read2_b32 v[14:15], v22 offset0:71 offset1:79
	ds_read2_b32 v[16:17], v22 offset1:8
	s_waitcnt lgkmcnt(2)
	v_fma_f32 v18, -v11, v12, 1.0
	v_div_scale_f32 v19, s[10:11], v18, v18, 1.0
	v_rcp_f32_e32 v20, v19
	v_div_scale_f32 v21, vcc, 1.0, v18, 1.0
	v_fma_f32 v23, -v19, v20, 1.0
	v_fmac_f32_e32 v20, v23, v20
	v_mul_f32_e32 v23, v21, v20
	v_fma_f32 v24, -v19, v23, v21
	v_fmac_f32_e32 v23, v24, v20
	v_fma_f32 v19, -v19, v23, v21
	v_div_fmas_f32 v19, v19, v20, v23
	v_div_fixup_f32 v23, v19, v18, 1.0
	s_waitcnt lgkmcnt(0)
	v_fma_f32 v20, -v12, v17, v14
	ds_read2_b32 v[18:19], v9 offset1:8
	v_mul_f32_e32 v24, v23, v20
	ds_read2_b32 v[20:21], v9 offset0:199 offset1:207
	v_fma_f32 v14, -v11, v14, v17
	v_mul_f32_e32 v14, v14, v23
	s_waitcnt lgkmcnt(1)
	v_fma_f32 v16, -v14, v18, v16
	ds_write2_b32 v22, v16, v14 offset1:8
	s_waitcnt lgkmcnt(1)
	v_mul_f32_e32 v11, v11, v20
	v_fma_f32 v14, -v21, v24, v15
	v_mul_f32_e64 v11, v11, -v23
	ds_write2_b32 v22, v24, v14 offset0:71 offset1:79
	v_mul_f32_e32 v12, v12, v19
	v_mul_f32_e32 v14, v23, v19
	v_fma_f32 v10, -v11, v18, v10
	v_mul_f32_e64 v12, v12, -v23
	ds_write2_b32 v9, v10, v11 offset0:128 offset1:136
	v_mul_f32_e64 v10, v14, -v18
	v_mul_f32_e32 v15, v23, v20
	ds_write2_b32 v9, v10, v14 offset1:8
	v_fma_f32 v10, -v12, v21, v13
	ds_write2_b32 v9, v12, v10 offset0:71 offset1:79
	v_mul_f32_e64 v10, v15, -v21
	ds_write2_b32 v9, v15, v10 offset0:199 offset1:207
.LBB12_8:
	;; [unrolled: 54-line block ×3, first 2 shown]
	s_or_b64 exec, exec, s[10:11]
	v_cmp_eq_u32_e32 vcc, 0, v0
	s_waitcnt lgkmcnt(0)
	; wave barrier
	s_and_saveexec_b64 s[10:11], vcc
	s_cbranch_execz .LBB12_12
; %bb.11:
	v_mov_b32_e32 v11, 0
	ds_read2_b32 v[12:13], v11 offset0:95 offset1:160
	s_movk_i32 s12, 0x400
	v_add_u32_e64 v24, s12, 0
	s_movk_i32 s14, 0x200
	v_add_u32_e64 v25, s14, 0
	s_waitcnt lgkmcnt(0)
	v_fma_f32 v18, -v13, v12, 1.0
	v_div_scale_f32 v19, s[12:13], v18, v18, 1.0
	v_rcp_f32_e32 v20, v19
	v_div_scale_f32 v21, vcc, 1.0, v18, 1.0
	ds_read2_b32 v[14:15], v24 offset0:95 offset1:127
	v_fma_f32 v16, -v19, v20, 1.0
	v_fmac_f32_e32 v20, v16, v20
	v_mul_f32_e32 v22, v21, v20
	v_fma_f32 v16, -v19, v22, v21
	v_fmac_f32_e32 v22, v16, v20
	ds_read2_b32 v[16:17], v25 offset0:95 offset1:160
	v_fma_f32 v19, -v19, v22, v21
	v_div_fmas_f32 v19, v19, v20, v22
	v_mov_b32_e32 v27, 0x3fc
	v_div_fixup_f32 v26, v19, v18, 1.0
	ds_read2_b32 v[18:19], v27 offset1:1
	ds_read2_b32 v[20:21], v11 offset1:32
	s_waitcnt lgkmcnt(2)
	v_fma_f32 v22, -v12, v17, v14
	v_mul_f32_e32 v28, v26, v22
	ds_read2_b32 v[22:23], v11 offset0:127 offset1:128
	v_fma_f32 v14, -v13, v14, v17
	s_waitcnt lgkmcnt(2)
	v_fma_f32 v15, -v18, v28, v15
	s_waitcnt lgkmcnt(1)
	v_mul_f32_e32 v12, v12, v21
	v_mul_f32_e32 v13, v13, v16
	;; [unrolled: 1-line block ×3, first 2 shown]
	ds_write2_b32 v24, v28, v15 offset0:95 offset1:127
	v_mul_f32_e64 v12, v12, -v26
	v_mul_f32_e32 v15, v26, v21
	v_mul_f32_e64 v13, v13, -v26
	v_mul_f32_e32 v16, v26, v16
	v_fma_f32 v17, -v14, v20, v19
	ds_write2_b32 v11, v12, v13 offset0:95 offset1:160
	ds_write2_b32 v25, v16, v14 offset0:95 offset1:160
	s_waitcnt lgkmcnt(3)
	v_fma_f32 v13, -v13, v20, v23
	v_mul_f32_e64 v14, v15, -v20
	v_fma_f32 v12, -v12, v18, v22
	ds_write2_b32 v11, v14, v15 offset1:32
	ds_write2_b32 v11, v12, v13 offset0:127 offset1:128
	v_mul_f32_e64 v11, v16, -v18
	ds_write2_b32 v27, v11, v17 offset1:1
.LBB12_12:
	s_or_b64 exec, exec, s[10:11]
	s_waitcnt lgkmcnt(0)
	; wave barrier
	s_and_saveexec_b64 s[10:11], s[8:9]
	s_cbranch_execz .LBB12_14
; %bb.13:
	v_max_u32_e32 v11, 1, v8
	v_add_u32_e32 v12, 0x400, v10
	v_min_u32_e32 v18, 31, v8
	ds_read2_b32 v[12:13], v12 offset0:16 offset1:79
	ds_read2_b32 v[14:15], v10 offset0:144 offset1:207
	v_lshlrev_b32_e32 v11, 2, v11
	ds_read2_b32 v[16:17], v10 offset0:16 offset1:79
	v_lshlrev_b32_e32 v18, 2, v18
	ds_read_b32 v19, v11 offset:1276
	ds_read_b32 v20, v18 offset:1152
	s_waitcnt lgkmcnt(1)
	v_fma_f32 v13, -v15, v19, v13
	s_waitcnt lgkmcnt(0)
	v_fma_f32 v13, -v17, v20, v13
	ds_write_b32 v10, v13 offset:1340
	ds_read_b32 v11, v11 offset:1276
	s_waitcnt lgkmcnt(0)
	v_fma_f32 v11, -v14, v11, v12
	ds_write_b32 v10, v11 offset:1088
	ds_read_b32 v12, v18 offset:1152
	s_waitcnt lgkmcnt(0)
	v_fma_f32 v11, -v16, v12, v11
	ds_write_b32 v10, v11 offset:1088
.LBB12_14:
	s_or_b64 exec, exec, s[10:11]
	s_waitcnt lgkmcnt(0)
	; wave barrier
	s_and_saveexec_b64 s[8:9], s[6:7]
	s_cbranch_execz .LBB12_16
; %bb.15:
	v_max_u32_e32 v14, 1, v7
	v_add_u32_e32 v10, 0x400, v9
	v_min_u32_e32 v16, 47, v7
	ds_read2_b32 v[10:11], v10 offset0:8 offset1:71
	ds_read2_b32 v[12:13], v9 offset0:136 offset1:199
	v_lshlrev_b32_e32 v17, 2, v14
	ds_read2_b32 v[14:15], v9 offset0:8 offset1:71
	v_lshlrev_b32_e32 v16, 2, v16
	ds_read_b32 v18, v17 offset:1276
	ds_read_b32 v19, v16 offset:1088
	s_waitcnt lgkmcnt(1)
	v_fma_f32 v11, -v13, v18, v11
	s_waitcnt lgkmcnt(0)
	v_fma_f32 v11, -v15, v19, v11
	ds_write_b32 v9, v11 offset:1308
	ds_read_b32 v11, v17 offset:1276
	s_waitcnt lgkmcnt(0)
	v_fma_f32 v10, -v12, v11, v10
	ds_write_b32 v9, v10 offset:1056
	ds_read_b32 v11, v16 offset:1088
	s_waitcnt lgkmcnt(0)
	v_fma_f32 v10, -v14, v11, v10
	ds_write_b32 v9, v10 offset:1056
.LBB12_16:
	s_or_b64 exec, exec, s[8:9]
	v_lshlrev_b32_e32 v9, 3, v0
	s_waitcnt lgkmcnt(0)
	; wave barrier
	s_and_saveexec_b64 s[6:7], s[4:5]
	s_cbranch_execz .LBB12_18
; %bb.17:
	v_max_u32_e32 v14, 1, v9
	v_add_u32_e32 v10, 0x400, v8
	v_min_u32_e32 v16, 55, v9
	ds_read2_b32 v[10:11], v10 offset0:4 offset1:67
	ds_read2_b32 v[12:13], v8 offset0:132 offset1:195
	v_lshlrev_b32_e32 v17, 2, v14
	ds_read2_b32 v[14:15], v8 offset0:4 offset1:67
	v_lshlrev_b32_e32 v16, 2, v16
	ds_read_b32 v18, v17 offset:1276
	ds_read_b32 v19, v16 offset:1056
	s_waitcnt lgkmcnt(1)
	v_fma_f32 v11, -v13, v18, v11
	s_waitcnt lgkmcnt(0)
	v_fma_f32 v11, -v15, v19, v11
	ds_write_b32 v8, v11 offset:1292
	ds_read_b32 v11, v17 offset:1276
	s_waitcnt lgkmcnt(0)
	v_fma_f32 v10, -v12, v11, v10
	ds_write_b32 v8, v10 offset:1040
	ds_read_b32 v11, v16 offset:1056
	s_waitcnt lgkmcnt(0)
	v_fma_f32 v10, -v14, v11, v10
	ds_write_b32 v8, v10 offset:1040
.LBB12_18:
	s_or_b64 exec, exec, s[6:7]
	s_waitcnt lgkmcnt(0)
	; wave barrier
	s_and_saveexec_b64 s[4:5], s[2:3]
	s_cbranch_execz .LBB12_20
; %bb.19:
	v_max_u32_e32 v8, 1, v6
	v_add_u32_e32 v10, 0x400, v7
	v_min_u32_e32 v6, 59, v6
	ds_read2_b32 v[10:11], v10 offset0:2 offset1:65
	ds_read2_b32 v[12:13], v7 offset0:130 offset1:193
	v_lshlrev_b32_e32 v8, 2, v8
	ds_read2_b32 v[14:15], v7 offset0:2 offset1:65
	v_lshlrev_b32_e32 v6, 2, v6
	ds_read_b32 v16, v8 offset:1276
	ds_read_b32 v17, v6 offset:1040
	s_waitcnt lgkmcnt(1)
	v_fma_f32 v11, -v13, v16, v11
	s_waitcnt lgkmcnt(0)
	v_fma_f32 v11, -v15, v17, v11
	ds_write_b32 v7, v11 offset:1284
	ds_read_b32 v8, v8 offset:1276
	s_waitcnt lgkmcnt(0)
	v_fma_f32 v8, -v12, v8, v10
	ds_write_b32 v7, v8 offset:1032
	ds_read_b32 v6, v6 offset:1040
	s_waitcnt lgkmcnt(0)
	v_fma_f32 v6, -v14, v6, v8
	ds_write_b32 v7, v6 offset:1032
.LBB12_20:
	s_or_b64 exec, exec, s[4:5]
	s_waitcnt lgkmcnt(0)
	; wave barrier
	s_and_saveexec_b64 s[2:3], s[0:1]
	s_cbranch_execz .LBB12_22
; %bb.21:
	v_lshlrev_b32_e32 v0, 1, v0
	v_max_u32_e32 v8, 1, v0
	v_add_u32_e32 v6, 0x400, v9
	v_min_u32_e32 v0, 61, v0
	ds_read2_b32 v[6:7], v6 offset0:1 offset1:64
	ds_read2_b32 v[10:11], v9 offset0:129 offset1:192
	v_lshlrev_b32_e32 v8, 2, v8
	ds_read2_b32 v[12:13], v9 offset0:1 offset1:64
	v_lshlrev_b32_e32 v0, 2, v0
	ds_read_b32 v14, v8 offset:1276
	ds_read_b32 v15, v0 offset:1032
	s_waitcnt lgkmcnt(1)
	v_fma_f32 v7, -v11, v14, v7
	s_waitcnt lgkmcnt(0)
	v_fma_f32 v7, -v13, v15, v7
	ds_write_b32 v9, v7 offset:1280
	ds_read_b32 v7, v8 offset:1276
	s_waitcnt lgkmcnt(0)
	v_fma_f32 v6, -v10, v7, v6
	ds_write_b32 v9, v6 offset:1028
	ds_read_b32 v0, v0 offset:1032
	s_waitcnt lgkmcnt(0)
	v_fma_f32 v0, -v12, v0, v6
	ds_write_b32 v9, v0 offset:1028
.LBB12_22:
	s_or_b64 exec, exec, s[2:3]
	s_waitcnt lgkmcnt(0)
	; wave barrier
	ds_read2st64_b32 v[0:1], v1 offset1:1
	s_waitcnt lgkmcnt(0)
	global_store_dword v[2:3], v0, off
	global_store_dword v[4:5], v1, off
	s_endpgm
	.section	.rodata,"a",@progbits
	.p2align	6, 0x0
	.amdhsa_kernel _ZN9rocsparseL34gtsv_solve_spike_grid_level_kernelILj64EfEEviiiPT0_PKS1_S4_
		.amdhsa_group_segment_fixed_size 1536
		.amdhsa_private_segment_fixed_size 0
		.amdhsa_kernarg_size 40
		.amdhsa_user_sgpr_count 2
		.amdhsa_user_sgpr_dispatch_ptr 0
		.amdhsa_user_sgpr_queue_ptr 0
		.amdhsa_user_sgpr_kernarg_segment_ptr 1
		.amdhsa_user_sgpr_dispatch_id 0
		.amdhsa_user_sgpr_kernarg_preload_length 0
		.amdhsa_user_sgpr_kernarg_preload_offset 0
		.amdhsa_user_sgpr_private_segment_size 0
		.amdhsa_uses_dynamic_stack 0
		.amdhsa_enable_private_segment 0
		.amdhsa_system_sgpr_workgroup_id_x 1
		.amdhsa_system_sgpr_workgroup_id_y 1
		.amdhsa_system_sgpr_workgroup_id_z 0
		.amdhsa_system_sgpr_workgroup_info 0
		.amdhsa_system_vgpr_workitem_id 0
		.amdhsa_next_free_vgpr 29
		.amdhsa_next_free_sgpr 15
		.amdhsa_accum_offset 32
		.amdhsa_reserve_vcc 1
		.amdhsa_float_round_mode_32 0
		.amdhsa_float_round_mode_16_64 0
		.amdhsa_float_denorm_mode_32 3
		.amdhsa_float_denorm_mode_16_64 3
		.amdhsa_dx10_clamp 1
		.amdhsa_ieee_mode 1
		.amdhsa_fp16_overflow 0
		.amdhsa_tg_split 0
		.amdhsa_exception_fp_ieee_invalid_op 0
		.amdhsa_exception_fp_denorm_src 0
		.amdhsa_exception_fp_ieee_div_zero 0
		.amdhsa_exception_fp_ieee_overflow 0
		.amdhsa_exception_fp_ieee_underflow 0
		.amdhsa_exception_fp_ieee_inexact 0
		.amdhsa_exception_int_div_zero 0
	.end_amdhsa_kernel
	.section	.text._ZN9rocsparseL34gtsv_solve_spike_grid_level_kernelILj64EfEEviiiPT0_PKS1_S4_,"axG",@progbits,_ZN9rocsparseL34gtsv_solve_spike_grid_level_kernelILj64EfEEviiiPT0_PKS1_S4_,comdat
.Lfunc_end12:
	.size	_ZN9rocsparseL34gtsv_solve_spike_grid_level_kernelILj64EfEEviiiPT0_PKS1_S4_, .Lfunc_end12-_ZN9rocsparseL34gtsv_solve_spike_grid_level_kernelILj64EfEEviiiPT0_PKS1_S4_
                                        ; -- End function
	.set _ZN9rocsparseL34gtsv_solve_spike_grid_level_kernelILj64EfEEviiiPT0_PKS1_S4_.num_vgpr, 29
	.set _ZN9rocsparseL34gtsv_solve_spike_grid_level_kernelILj64EfEEviiiPT0_PKS1_S4_.num_agpr, 0
	.set _ZN9rocsparseL34gtsv_solve_spike_grid_level_kernelILj64EfEEviiiPT0_PKS1_S4_.numbered_sgpr, 15
	.set _ZN9rocsparseL34gtsv_solve_spike_grid_level_kernelILj64EfEEviiiPT0_PKS1_S4_.num_named_barrier, 0
	.set _ZN9rocsparseL34gtsv_solve_spike_grid_level_kernelILj64EfEEviiiPT0_PKS1_S4_.private_seg_size, 0
	.set _ZN9rocsparseL34gtsv_solve_spike_grid_level_kernelILj64EfEEviiiPT0_PKS1_S4_.uses_vcc, 1
	.set _ZN9rocsparseL34gtsv_solve_spike_grid_level_kernelILj64EfEEviiiPT0_PKS1_S4_.uses_flat_scratch, 0
	.set _ZN9rocsparseL34gtsv_solve_spike_grid_level_kernelILj64EfEEviiiPT0_PKS1_S4_.has_dyn_sized_stack, 0
	.set _ZN9rocsparseL34gtsv_solve_spike_grid_level_kernelILj64EfEEviiiPT0_PKS1_S4_.has_recursion, 0
	.set _ZN9rocsparseL34gtsv_solve_spike_grid_level_kernelILj64EfEEviiiPT0_PKS1_S4_.has_indirect_call, 0
	.section	.AMDGPU.csdata,"",@progbits
; Kernel info:
; codeLenInByte = 3008
; TotalNumSgprs: 21
; NumVgprs: 29
; NumAgprs: 0
; TotalNumVgprs: 29
; ScratchSize: 0
; MemoryBound: 0
; FloatMode: 240
; IeeeMode: 1
; LDSByteSize: 1536 bytes/workgroup (compile time only)
; SGPRBlocks: 2
; VGPRBlocks: 3
; NumSGPRsForWavesPerEU: 21
; NumVGPRsForWavesPerEU: 29
; AccumOffset: 32
; Occupancy: 8
; WaveLimiterHint : 1
; COMPUTE_PGM_RSRC2:SCRATCH_EN: 0
; COMPUTE_PGM_RSRC2:USER_SGPR: 2
; COMPUTE_PGM_RSRC2:TRAP_HANDLER: 0
; COMPUTE_PGM_RSRC2:TGID_X_EN: 1
; COMPUTE_PGM_RSRC2:TGID_Y_EN: 1
; COMPUTE_PGM_RSRC2:TGID_Z_EN: 0
; COMPUTE_PGM_RSRC2:TIDIG_COMP_CNT: 0
; COMPUTE_PGM_RSRC3_GFX90A:ACCUM_OFFSET: 7
; COMPUTE_PGM_RSRC3_GFX90A:TG_SPLIT: 0
	.section	.text._ZN9rocsparseL34gtsv_solve_spike_grid_level_kernelILj128EfEEviiiPT0_PKS1_S4_,"axG",@progbits,_ZN9rocsparseL34gtsv_solve_spike_grid_level_kernelILj128EfEEviiiPT0_PKS1_S4_,comdat
	.globl	_ZN9rocsparseL34gtsv_solve_spike_grid_level_kernelILj128EfEEviiiPT0_PKS1_S4_ ; -- Begin function _ZN9rocsparseL34gtsv_solve_spike_grid_level_kernelILj128EfEEviiiPT0_PKS1_S4_
	.p2align	8
	.type	_ZN9rocsparseL34gtsv_solve_spike_grid_level_kernelILj128EfEEviiiPT0_PKS1_S4_,@function
_ZN9rocsparseL34gtsv_solve_spike_grid_level_kernelILj128EfEEviiiPT0_PKS1_S4_: ; @_ZN9rocsparseL34gtsv_solve_spike_grid_level_kernelILj128EfEEviiiPT0_PKS1_S4_
; %bb.0:
	s_load_dwordx4 s[4:7], s[0:1], 0x10
	s_load_dwordx2 s[8:9], s[0:1], 0x20
	v_lshl_or_b32 v4, s3, 8, v0
	v_mov_b32_e32 v5, 0
	v_lshlrev_b32_e32 v6, 2, v0
	s_waitcnt lgkmcnt(0)
	v_lshl_add_u64 v[2:3], v[4:5], 2, s[4:5]
	v_or_b32_e32 v4, 0x80, v4
	global_load_dword v7, v6, s[6:7]
	global_load_dword v8, v6, s[6:7] offset:512
	global_load_dword v9, v6, s[8:9]
	global_load_dword v10, v6, s[8:9] offset:512
	v_lshl_add_u64 v[4:5], v[4:5], 2, s[4:5]
	global_load_dword v11, v[2:3], off
	global_load_dword v12, v[4:5], off
	v_or_b32_e32 v1, 0x800, v6
	v_cmp_gt_u32_e64 s[0:1], 64, v0
	s_waitcnt vmcnt(4)
	ds_write2st64_b32 v6, v7, v8 offset0:4 offset1:6
	s_waitcnt vmcnt(2)
	ds_write2st64_b32 v6, v9, v10 offset1:2
	s_waitcnt vmcnt(0)
	ds_write2st64_b32 v6, v11, v12 offset0:8 offset1:10
	s_waitcnt lgkmcnt(0)
	s_barrier
	s_and_saveexec_b64 s[2:3], s[0:1]
	s_cbranch_execz .LBB13_2
; %bb.1:
	v_or_b32_e32 v7, 0x400, v6
	v_add_u32_e32 v22, v6, v6
	v_add_u32_e32 v7, v7, v6
	ds_read2st64_b64 v[8:11], v22 offset1:1
	ds_read2st64_b64 v[12:15], v7 offset1:1
	v_add_u32_e32 v23, v1, v6
	ds_read2st64_b64 v[16:19], v23 offset1:1
	s_waitcnt lgkmcnt(1)
	v_fma_f32 v20, -v13, v10, 1.0
	v_div_scale_f32 v21, s[4:5], v20, v20, 1.0
	v_rcp_f32_e32 v24, v21
	v_div_scale_f32 v25, vcc, 1.0, v20, 1.0
	v_fma_f32 v26, -v21, v24, 1.0
	v_fmac_f32_e32 v24, v26, v24
	v_mul_f32_e32 v26, v25, v24
	v_fma_f32 v27, -v21, v26, v25
	v_fmac_f32_e32 v26, v27, v24
	v_fma_f32 v21, -v21, v26, v25
	v_div_fmas_f32 v21, v21, v24, v26
	v_div_fixup_f32 v24, v21, v20, 1.0
	s_waitcnt lgkmcnt(0)
	v_fma_f32 v20, -v10, v17, v18
	v_fma_f32 v17, -v13, v18, v17
	v_mul_f32_e32 v10, v10, v9
	v_mul_f32_e32 v13, v13, v14
	;; [unrolled: 1-line block ×4, first 2 shown]
	v_mul_f32_e64 v10, v10, -v24
	v_mul_f32_e32 v9, v24, v9
	v_mul_f32_e64 v13, v13, -v24
	v_mul_f32_e32 v14, v24, v14
	v_fma_f32 v16, -v17, v8, v16
	v_fma_f32 v21, -v15, v20, v19
	;; [unrolled: 1-line block ×3, first 2 shown]
	v_mul_f32_e64 v8, v9, -v8
	v_fma_f32 v11, -v10, v15, v11
	v_mul_f32_e64 v15, v14, -v15
	ds_write2st64_b64 v23, v[16:17], v[20:21] offset1:1
	ds_write2st64_b64 v22, v[8:9], v[10:11] offset1:1
	;; [unrolled: 1-line block ×3, first 2 shown]
.LBB13_2:
	s_or_b64 exec, exec, s[2:3]
	v_cmp_gt_u32_e64 s[2:3], 32, v0
	v_lshlrev_b32_e32 v7, 4, v0
	s_waitcnt lgkmcnt(0)
	s_barrier
	s_and_saveexec_b64 s[4:5], s[2:3]
	s_cbranch_execz .LBB13_4
; %bb.3:
	v_add_u32_e32 v20, 0x400, v7
	v_mad_u32_u24 v21, v0, 12, v6
	ds_read2_b32 v[8:9], v20 offset1:2
	ds_read2_b32 v[10:11], v21 offset0:129 offset1:131
	v_mad_u32_u24 v22, v0, 12, v1
	ds_read2_b32 v[12:13], v22 offset0:129 offset1:131
	s_waitcnt lgkmcnt(1)
	v_fma_f32 v16, -v9, v10, 1.0
	v_div_scale_f32 v17, s[6:7], v16, v16, 1.0
	v_rcp_f32_e32 v18, v17
	v_div_scale_f32 v19, vcc, 1.0, v16, 1.0
	v_fma_f32 v14, -v17, v18, 1.0
	v_fmac_f32_e32 v18, v14, v18
	v_mul_f32_e32 v23, v19, v18
	v_fma_f32 v14, -v17, v23, v19
	v_fmac_f32_e32 v23, v14, v18
	ds_read2_b32 v[14:15], v22 offset1:2
	v_fma_f32 v17, -v17, v23, v19
	v_div_fmas_f32 v17, v17, v18, v23
	v_div_fixup_f32 v23, v17, v16, 1.0
	ds_read2_b32 v[16:17], v21 offset1:2
	s_waitcnt lgkmcnt(1)
	v_fma_f32 v18, -v10, v15, v12
	v_mul_f32_e32 v24, v23, v18
	ds_read2_b32 v[18:19], v20 offset0:129 offset1:131
	v_fma_f32 v12, -v9, v12, v15
	v_mul_f32_e32 v12, v12, v23
	s_waitcnt lgkmcnt(1)
	v_fma_f32 v14, -v12, v16, v14
	ds_write2_b32 v22, v14, v12 offset1:2
	s_waitcnt lgkmcnt(1)
	v_mul_f32_e32 v9, v9, v18
	v_fma_f32 v12, -v19, v24, v13
	v_mul_f32_e64 v9, v9, -v23
	ds_write2_b32 v22, v24, v12 offset0:129 offset1:131
	v_mul_f32_e32 v10, v10, v17
	v_mul_f32_e32 v12, v23, v17
	v_fma_f32 v8, -v9, v16, v8
	v_mul_f32_e64 v10, v10, -v23
	ds_write2_b32 v20, v8, v9 offset1:2
	v_mul_f32_e64 v8, v12, -v16
	v_mul_f32_e32 v13, v23, v18
	ds_write2_b32 v21, v8, v12 offset1:2
	v_fma_f32 v8, -v10, v19, v11
	ds_write2_b32 v21, v10, v8 offset0:129 offset1:131
	v_mul_f32_e64 v8, v13, -v19
	ds_write2_b32 v20, v13, v8 offset0:129 offset1:131
.LBB13_4:
	s_or_b64 exec, exec, s[4:5]
	v_cmp_gt_u32_e64 s[4:5], 16, v0
	v_lshlrev_b32_e32 v8, 5, v0
	s_waitcnt lgkmcnt(0)
	s_barrier
	s_and_saveexec_b64 s[6:7], s[4:5]
	s_cbranch_execz .LBB13_6
; %bb.5:
	v_add_u32_e32 v9, 0x400, v8
	ds_read2_b32 v[10:11], v8 offset0:131 offset1:135
	ds_read2_b32 v[12:13], v9 offset1:4
	v_add_u32_e32 v22, 0x800, v8
	ds_read2_b32 v[14:15], v22 offset0:131 offset1:135
	ds_read2_b32 v[16:17], v22 offset1:4
	s_waitcnt lgkmcnt(2)
	v_fma_f32 v18, -v13, v10, 1.0
	v_div_scale_f32 v19, s[8:9], v18, v18, 1.0
	v_rcp_f32_e32 v20, v19
	v_div_scale_f32 v21, vcc, 1.0, v18, 1.0
	v_fma_f32 v23, -v19, v20, 1.0
	v_fmac_f32_e32 v20, v23, v20
	v_mul_f32_e32 v23, v21, v20
	v_fma_f32 v24, -v19, v23, v21
	v_fmac_f32_e32 v23, v24, v20
	v_fma_f32 v19, -v19, v23, v21
	v_div_fmas_f32 v19, v19, v20, v23
	v_div_fixup_f32 v23, v19, v18, 1.0
	s_waitcnt lgkmcnt(0)
	v_fma_f32 v20, -v10, v17, v14
	ds_read2_b32 v[18:19], v8 offset1:4
	v_mul_f32_e32 v24, v23, v20
	ds_read2_b32 v[20:21], v9 offset0:131 offset1:135
	v_fma_f32 v14, -v13, v14, v17
	v_mul_f32_e32 v14, v14, v23
	s_waitcnt lgkmcnt(1)
	v_fma_f32 v16, -v14, v18, v16
	v_mul_f32_e32 v10, v10, v19
	s_waitcnt lgkmcnt(0)
	v_mul_f32_e32 v13, v13, v20
	ds_write2_b32 v22, v16, v14 offset1:4
	v_fma_f32 v14, -v21, v24, v15
	v_mul_f32_e64 v10, v10, -v23
	v_mul_f32_e64 v13, v13, -v23
	ds_write2_b32 v22, v24, v14 offset0:131 offset1:135
	v_mul_f32_e32 v14, v23, v19
	v_mul_f32_e32 v15, v23, v20
	v_fma_f32 v12, -v13, v18, v12
	v_fma_f32 v11, -v10, v21, v11
	ds_write2_b32 v9, v12, v13 offset1:4
	v_mul_f32_e64 v12, v14, -v18
	ds_write2_b32 v8, v10, v11 offset0:131 offset1:135
	v_mul_f32_e64 v10, v15, -v21
	ds_write2_b32 v8, v12, v14 offset1:4
	ds_write2_b32 v9, v15, v10 offset0:131 offset1:135
.LBB13_6:
	s_or_b64 exec, exec, s[6:7]
	v_cmp_gt_u32_e64 s[6:7], 8, v0
	v_lshlrev_b32_e32 v9, 6, v0
	s_waitcnt lgkmcnt(0)
	s_barrier
	s_and_saveexec_b64 s[8:9], s[6:7]
	s_cbranch_execz .LBB13_8
; %bb.7:
	v_add_u32_e32 v22, 0x400, v9
	ds_read2_b32 v[10:11], v9 offset0:135 offset1:143
	ds_read2_b32 v[12:13], v22 offset1:8
	v_add_u32_e32 v23, 0x800, v9
	ds_read2_b32 v[14:15], v23 offset0:135 offset1:143
	ds_read2_b32 v[16:17], v23 offset1:8
	s_waitcnt lgkmcnt(2)
	v_fma_f32 v18, -v13, v10, 1.0
	v_div_scale_f32 v19, s[10:11], v18, v18, 1.0
	v_rcp_f32_e32 v20, v19
	v_div_scale_f32 v21, vcc, 1.0, v18, 1.0
	v_fma_f32 v24, -v19, v20, 1.0
	v_fmac_f32_e32 v20, v24, v20
	v_mul_f32_e32 v24, v21, v20
	v_fma_f32 v25, -v19, v24, v21
	v_fmac_f32_e32 v24, v25, v20
	v_fma_f32 v19, -v19, v24, v21
	v_div_fmas_f32 v19, v19, v20, v24
	v_div_fixup_f32 v24, v19, v18, 1.0
	s_waitcnt lgkmcnt(0)
	v_fma_f32 v20, -v10, v17, v14
	ds_read2_b32 v[18:19], v9 offset1:8
	v_mul_f32_e32 v25, v24, v20
	ds_read2_b32 v[20:21], v22 offset0:135 offset1:143
	v_fma_f32 v14, -v13, v14, v17
	v_mul_f32_e32 v14, v14, v24
	s_waitcnt lgkmcnt(1)
	v_fma_f32 v16, -v14, v18, v16
	v_mul_f32_e32 v10, v10, v19
	s_waitcnt lgkmcnt(0)
	v_mul_f32_e32 v13, v13, v20
	ds_write2_b32 v23, v16, v14 offset1:8
	v_fma_f32 v14, -v21, v25, v15
	v_mul_f32_e64 v10, v10, -v24
	v_mul_f32_e64 v13, v13, -v24
	ds_write2_b32 v23, v25, v14 offset0:135 offset1:143
	v_mul_f32_e32 v14, v24, v19
	v_mul_f32_e32 v15, v24, v20
	v_fma_f32 v12, -v13, v18, v12
	v_fma_f32 v11, -v10, v21, v11
	ds_write2_b32 v22, v12, v13 offset1:8
	v_mul_f32_e64 v12, v14, -v18
	ds_write2_b32 v9, v10, v11 offset0:135 offset1:143
	v_mul_f32_e64 v10, v15, -v21
	ds_write2_b32 v9, v12, v14 offset1:8
	ds_write2_b32 v22, v15, v10 offset0:135 offset1:143
.LBB13_8:
	;; [unrolled: 55-line block ×4, first 2 shown]
	s_or_b64 exec, exec, s[12:13]
	v_cmp_eq_u32_e32 vcc, 0, v0
	s_waitcnt lgkmcnt(0)
	s_barrier
	s_and_saveexec_b64 s[12:13], vcc
	s_cbranch_execz .LBB13_14
; %bb.13:
	s_movk_i32 s14, 0x200
	v_add_u32_e64 v24, s14, 0
	ds_read2_b32 v[12:13], v24 offset0:63 offset1:192
	s_movk_i32 s14, 0xfc
	v_add_u32_e64 v26, s14, 0
	ds_read2st64_b32 v[14:15], v26 offset0:10 offset1:11
	v_mov_b32_e32 v30, 0x7fc
	s_waitcnt lgkmcnt(1)
	v_fma_f32 v18, -v13, v12, 1.0
	v_div_scale_f32 v19, s[14:15], v18, v18, 1.0
	v_rcp_f32_e32 v20, v19
	v_div_scale_f32 v21, vcc, 1.0, v18, 1.0
	s_movk_i32 s14, 0x600
	v_fma_f32 v16, -v19, v20, 1.0
	v_fmac_f32_e32 v20, v16, v20
	v_mul_f32_e32 v22, v21, v20
	v_fma_f32 v16, -v19, v22, v21
	v_add_u32_e64 v27, s14, 0
	v_fmac_f32_e32 v22, v16, v20
	ds_read2_b32 v[16:17], v27 offset0:63 offset1:192
	v_fma_f32 v19, -v19, v22, v21
	v_div_fmas_f32 v19, v19, v20, v22
	v_div_fixup_f32 v28, v19, v18, 1.0
	v_mov_b32_e32 v25, 0
	s_waitcnt lgkmcnt(0)
	v_fma_f32 v18, -v12, v17, v14
	v_mul_f32_e32 v29, v28, v18
	ds_read2_b32 v[18:19], v30 offset1:1
	ds_read2st64_b32 v[20:21], v25 offset1:1
	v_fma_f32 v14, -v13, v14, v17
	v_mov_b32_e32 v17, 0x3fc
	ds_read2_b32 v[22:23], v17 offset1:1
	v_mul_f32_e32 v13, v13, v16
	s_waitcnt lgkmcnt(1)
	v_mul_f32_e32 v12, v12, v21
	v_fma_f32 v15, -v18, v29, v15
	v_mul_f32_e64 v12, v12, -v28
	v_mul_f32_e64 v13, v13, -v28
	v_mul_f32_e32 v14, v14, v28
	ds_write2st64_b32 v26, v29, v15 offset0:10 offset1:11
	v_mul_f32_e32 v15, v28, v21
	ds_write2_b32 v24, v12, v13 offset0:63 offset1:192
	v_mul_f32_e32 v16, v28, v16
	s_waitcnt lgkmcnt(2)
	v_fma_f32 v13, -v13, v20, v23
	v_fma_f32 v12, -v12, v18, v22
	;; [unrolled: 1-line block ×3, first 2 shown]
	ds_write2_b32 v27, v16, v14 offset0:63 offset1:192
	v_mul_f32_e64 v14, v15, -v20
	ds_write2_b32 v17, v12, v13 offset1:1
	v_mul_f32_e64 v12, v16, -v18
	ds_write2st64_b32 v25, v14, v15 offset1:1
	ds_write2_b32 v30, v12, v19 offset1:1
.LBB13_14:
	s_or_b64 exec, exec, s[12:13]
	s_waitcnt lgkmcnt(0)
	s_barrier
	s_and_saveexec_b64 s[12:13], s[10:11]
	s_cbranch_execz .LBB13_16
; %bb.15:
	v_max_u32_e32 v16, 1, v9
	v_add_u32_e32 v12, 0x800, v11
	v_add_u32_e32 v14, 0x400, v11
	v_min_u32_e32 v18, 63, v9
	ds_read2_b32 v[12:13], v12 offset0:32 offset1:159
	ds_read2_b32 v[14:15], v14 offset0:32 offset1:159
	v_lshlrev_b32_e32 v19, 2, v16
	ds_read2_b32 v[16:17], v11 offset0:32 offset1:159
	v_lshlrev_b32_e32 v18, 2, v18
	ds_read_b32 v20, v19 offset:2556
	ds_read_b32 v21, v18 offset:2304
	s_waitcnt lgkmcnt(1)
	v_fma_f32 v13, -v15, v20, v13
	s_waitcnt lgkmcnt(0)
	v_fma_f32 v13, -v17, v21, v13
	ds_write_b32 v11, v13 offset:2684
	ds_read_b32 v13, v19 offset:2556
	s_waitcnt lgkmcnt(0)
	v_fma_f32 v12, -v14, v13, v12
	ds_write_b32 v11, v12 offset:2176
	ds_read_b32 v13, v18 offset:2304
	s_waitcnt lgkmcnt(0)
	v_fma_f32 v12, -v16, v13, v12
	ds_write_b32 v11, v12 offset:2176
.LBB13_16:
	s_or_b64 exec, exec, s[12:13]
	s_waitcnt lgkmcnt(0)
	s_barrier
	s_and_saveexec_b64 s[10:11], s[8:9]
	s_cbranch_execz .LBB13_18
; %bb.17:
	v_max_u32_e32 v11, 1, v8
	v_add_u32_e32 v12, 0x800, v10
	v_add_u32_e32 v14, 0x400, v10
	v_min_u32_e32 v18, 0x5f, v8
	ds_read2_b32 v[12:13], v12 offset0:16 offset1:143
	ds_read2_b32 v[14:15], v14 offset0:16 offset1:143
	v_lshlrev_b32_e32 v11, 2, v11
	ds_read2_b32 v[16:17], v10 offset0:16 offset1:143
	v_lshlrev_b32_e32 v18, 2, v18
	ds_read_b32 v19, v11 offset:2556
	ds_read_b32 v20, v18 offset:2176
	s_waitcnt lgkmcnt(1)
	v_fma_f32 v13, -v15, v19, v13
	s_waitcnt lgkmcnt(0)
	v_fma_f32 v13, -v17, v20, v13
	ds_write_b32 v10, v13 offset:2620
	ds_read_b32 v11, v11 offset:2556
	s_waitcnt lgkmcnt(0)
	v_fma_f32 v11, -v14, v11, v12
	ds_write_b32 v10, v11 offset:2112
	ds_read_b32 v12, v18 offset:2176
	s_waitcnt lgkmcnt(0)
	v_fma_f32 v11, -v16, v12, v11
	ds_write_b32 v10, v11 offset:2112
.LBB13_18:
	;; [unrolled: 31-line block ×3, first 2 shown]
	s_or_b64 exec, exec, s[8:9]
	v_lshlrev_b32_e32 v9, 3, v0
	s_waitcnt lgkmcnt(0)
	s_barrier
	s_and_saveexec_b64 s[6:7], s[4:5]
	s_cbranch_execz .LBB13_22
; %bb.21:
	v_max_u32_e32 v14, 1, v9
	v_add_u32_e32 v10, 0x800, v8
	v_add_u32_e32 v12, 0x400, v8
	v_min_u32_e32 v16, 0x77, v9
	ds_read2_b32 v[10:11], v10 offset0:4 offset1:131
	ds_read2_b32 v[12:13], v12 offset0:4 offset1:131
	v_lshlrev_b32_e32 v17, 2, v14
	ds_read2_b32 v[14:15], v8 offset0:4 offset1:131
	v_lshlrev_b32_e32 v16, 2, v16
	ds_read_b32 v18, v17 offset:2556
	ds_read_b32 v19, v16 offset:2080
	s_waitcnt lgkmcnt(1)
	v_fma_f32 v11, -v13, v18, v11
	s_waitcnt lgkmcnt(0)
	v_fma_f32 v11, -v15, v19, v11
	ds_write_b32 v8, v11 offset:2572
	ds_read_b32 v11, v17 offset:2556
	s_waitcnt lgkmcnt(0)
	v_fma_f32 v10, -v12, v11, v10
	ds_write_b32 v8, v10 offset:2064
	ds_read_b32 v11, v16 offset:2080
	s_waitcnt lgkmcnt(0)
	v_fma_f32 v10, -v14, v11, v10
	ds_write_b32 v8, v10 offset:2064
.LBB13_22:
	s_or_b64 exec, exec, s[6:7]
	s_waitcnt lgkmcnt(0)
	s_barrier
	s_and_saveexec_b64 s[4:5], s[2:3]
	s_cbranch_execz .LBB13_24
; %bb.23:
	v_max_u32_e32 v8, 1, v6
	v_add_u32_e32 v10, 0x800, v7
	v_add_u32_e32 v12, 0x400, v7
	v_min_u32_e32 v6, 0x7b, v6
	ds_read2_b32 v[10:11], v10 offset0:2 offset1:129
	ds_read2_b32 v[12:13], v12 offset0:2 offset1:129
	v_lshlrev_b32_e32 v8, 2, v8
	ds_read2_b32 v[14:15], v7 offset0:2 offset1:129
	v_lshlrev_b32_e32 v6, 2, v6
	ds_read_b32 v16, v8 offset:2556
	ds_read_b32 v17, v6 offset:2064
	s_waitcnt lgkmcnt(1)
	v_fma_f32 v11, -v13, v16, v11
	s_waitcnt lgkmcnt(0)
	v_fma_f32 v11, -v15, v17, v11
	ds_write_b32 v7, v11 offset:2564
	ds_read_b32 v8, v8 offset:2556
	s_waitcnt lgkmcnt(0)
	v_fma_f32 v8, -v12, v8, v10
	ds_write_b32 v7, v8 offset:2056
	ds_read_b32 v6, v6 offset:2064
	s_waitcnt lgkmcnt(0)
	v_fma_f32 v6, -v14, v6, v8
	ds_write_b32 v7, v6 offset:2056
.LBB13_24:
	s_or_b64 exec, exec, s[4:5]
	s_waitcnt lgkmcnt(0)
	s_barrier
	s_and_saveexec_b64 s[2:3], s[0:1]
	s_cbranch_execz .LBB13_26
; %bb.25:
	v_lshlrev_b32_e32 v0, 1, v0
	v_max_u32_e32 v8, 1, v0
	v_add_u32_e32 v6, 0x800, v9
	v_add_u32_e32 v10, 0x400, v9
	v_min_u32_e32 v0, 0x7d, v0
	ds_read2_b32 v[6:7], v6 offset0:1 offset1:128
	ds_read2_b32 v[10:11], v10 offset0:1 offset1:128
	v_lshlrev_b32_e32 v8, 2, v8
	ds_read2_b32 v[12:13], v9 offset0:1 offset1:128
	v_lshlrev_b32_e32 v0, 2, v0
	ds_read_b32 v14, v8 offset:2556
	ds_read_b32 v15, v0 offset:2056
	s_waitcnt lgkmcnt(1)
	v_fma_f32 v7, -v11, v14, v7
	s_waitcnt lgkmcnt(0)
	v_fma_f32 v7, -v13, v15, v7
	ds_write_b32 v9, v7 offset:2560
	ds_read_b32 v7, v8 offset:2556
	s_waitcnt lgkmcnt(0)
	v_fma_f32 v6, -v10, v7, v6
	ds_write_b32 v9, v6 offset:2052
	ds_read_b32 v0, v0 offset:2056
	s_waitcnt lgkmcnt(0)
	v_fma_f32 v0, -v12, v0, v6
	ds_write_b32 v9, v0 offset:2052
.LBB13_26:
	s_or_b64 exec, exec, s[2:3]
	s_waitcnt lgkmcnt(0)
	s_barrier
	ds_read2st64_b32 v[0:1], v1 offset1:2
	s_waitcnt lgkmcnt(0)
	global_store_dword v[2:3], v0, off
	global_store_dword v[4:5], v1, off
	s_endpgm
	.section	.rodata,"a",@progbits
	.p2align	6, 0x0
	.amdhsa_kernel _ZN9rocsparseL34gtsv_solve_spike_grid_level_kernelILj128EfEEviiiPT0_PKS1_S4_
		.amdhsa_group_segment_fixed_size 3072
		.amdhsa_private_segment_fixed_size 0
		.amdhsa_kernarg_size 40
		.amdhsa_user_sgpr_count 2
		.amdhsa_user_sgpr_dispatch_ptr 0
		.amdhsa_user_sgpr_queue_ptr 0
		.amdhsa_user_sgpr_kernarg_segment_ptr 1
		.amdhsa_user_sgpr_dispatch_id 0
		.amdhsa_user_sgpr_kernarg_preload_length 0
		.amdhsa_user_sgpr_kernarg_preload_offset 0
		.amdhsa_user_sgpr_private_segment_size 0
		.amdhsa_uses_dynamic_stack 0
		.amdhsa_enable_private_segment 0
		.amdhsa_system_sgpr_workgroup_id_x 1
		.amdhsa_system_sgpr_workgroup_id_y 1
		.amdhsa_system_sgpr_workgroup_id_z 0
		.amdhsa_system_sgpr_workgroup_info 0
		.amdhsa_system_vgpr_workitem_id 0
		.amdhsa_next_free_vgpr 31
		.amdhsa_next_free_sgpr 16
		.amdhsa_accum_offset 32
		.amdhsa_reserve_vcc 1
		.amdhsa_float_round_mode_32 0
		.amdhsa_float_round_mode_16_64 0
		.amdhsa_float_denorm_mode_32 3
		.amdhsa_float_denorm_mode_16_64 3
		.amdhsa_dx10_clamp 1
		.amdhsa_ieee_mode 1
		.amdhsa_fp16_overflow 0
		.amdhsa_tg_split 0
		.amdhsa_exception_fp_ieee_invalid_op 0
		.amdhsa_exception_fp_denorm_src 0
		.amdhsa_exception_fp_ieee_div_zero 0
		.amdhsa_exception_fp_ieee_overflow 0
		.amdhsa_exception_fp_ieee_underflow 0
		.amdhsa_exception_fp_ieee_inexact 0
		.amdhsa_exception_int_div_zero 0
	.end_amdhsa_kernel
	.section	.text._ZN9rocsparseL34gtsv_solve_spike_grid_level_kernelILj128EfEEviiiPT0_PKS1_S4_,"axG",@progbits,_ZN9rocsparseL34gtsv_solve_spike_grid_level_kernelILj128EfEEviiiPT0_PKS1_S4_,comdat
.Lfunc_end13:
	.size	_ZN9rocsparseL34gtsv_solve_spike_grid_level_kernelILj128EfEEviiiPT0_PKS1_S4_, .Lfunc_end13-_ZN9rocsparseL34gtsv_solve_spike_grid_level_kernelILj128EfEEviiiPT0_PKS1_S4_
                                        ; -- End function
	.set _ZN9rocsparseL34gtsv_solve_spike_grid_level_kernelILj128EfEEviiiPT0_PKS1_S4_.num_vgpr, 31
	.set _ZN9rocsparseL34gtsv_solve_spike_grid_level_kernelILj128EfEEviiiPT0_PKS1_S4_.num_agpr, 0
	.set _ZN9rocsparseL34gtsv_solve_spike_grid_level_kernelILj128EfEEviiiPT0_PKS1_S4_.numbered_sgpr, 16
	.set _ZN9rocsparseL34gtsv_solve_spike_grid_level_kernelILj128EfEEviiiPT0_PKS1_S4_.num_named_barrier, 0
	.set _ZN9rocsparseL34gtsv_solve_spike_grid_level_kernelILj128EfEEviiiPT0_PKS1_S4_.private_seg_size, 0
	.set _ZN9rocsparseL34gtsv_solve_spike_grid_level_kernelILj128EfEEviiiPT0_PKS1_S4_.uses_vcc, 1
	.set _ZN9rocsparseL34gtsv_solve_spike_grid_level_kernelILj128EfEEviiiPT0_PKS1_S4_.uses_flat_scratch, 0
	.set _ZN9rocsparseL34gtsv_solve_spike_grid_level_kernelILj128EfEEviiiPT0_PKS1_S4_.has_dyn_sized_stack, 0
	.set _ZN9rocsparseL34gtsv_solve_spike_grid_level_kernelILj128EfEEviiiPT0_PKS1_S4_.has_recursion, 0
	.set _ZN9rocsparseL34gtsv_solve_spike_grid_level_kernelILj128EfEEviiiPT0_PKS1_S4_.has_indirect_call, 0
	.section	.AMDGPU.csdata,"",@progbits
; Kernel info:
; codeLenInByte = 3692
; TotalNumSgprs: 22
; NumVgprs: 31
; NumAgprs: 0
; TotalNumVgprs: 31
; ScratchSize: 0
; MemoryBound: 0
; FloatMode: 240
; IeeeMode: 1
; LDSByteSize: 3072 bytes/workgroup (compile time only)
; SGPRBlocks: 2
; VGPRBlocks: 3
; NumSGPRsForWavesPerEU: 22
; NumVGPRsForWavesPerEU: 31
; AccumOffset: 32
; Occupancy: 8
; WaveLimiterHint : 1
; COMPUTE_PGM_RSRC2:SCRATCH_EN: 0
; COMPUTE_PGM_RSRC2:USER_SGPR: 2
; COMPUTE_PGM_RSRC2:TRAP_HANDLER: 0
; COMPUTE_PGM_RSRC2:TGID_X_EN: 1
; COMPUTE_PGM_RSRC2:TGID_Y_EN: 1
; COMPUTE_PGM_RSRC2:TGID_Z_EN: 0
; COMPUTE_PGM_RSRC2:TIDIG_COMP_CNT: 0
; COMPUTE_PGM_RSRC3_GFX90A:ACCUM_OFFSET: 7
; COMPUTE_PGM_RSRC3_GFX90A:TG_SPLIT: 0
	.section	.text._ZN9rocsparseL34gtsv_solve_spike_grid_level_kernelILj256EfEEviiiPT0_PKS1_S4_,"axG",@progbits,_ZN9rocsparseL34gtsv_solve_spike_grid_level_kernelILj256EfEEviiiPT0_PKS1_S4_,comdat
	.globl	_ZN9rocsparseL34gtsv_solve_spike_grid_level_kernelILj256EfEEviiiPT0_PKS1_S4_ ; -- Begin function _ZN9rocsparseL34gtsv_solve_spike_grid_level_kernelILj256EfEEviiiPT0_PKS1_S4_
	.p2align	8
	.type	_ZN9rocsparseL34gtsv_solve_spike_grid_level_kernelILj256EfEEviiiPT0_PKS1_S4_,@function
_ZN9rocsparseL34gtsv_solve_spike_grid_level_kernelILj256EfEEviiiPT0_PKS1_S4_: ; @_ZN9rocsparseL34gtsv_solve_spike_grid_level_kernelILj256EfEEviiiPT0_PKS1_S4_
; %bb.0:
	s_load_dwordx4 s[4:7], s[0:1], 0x10
	s_load_dwordx2 s[8:9], s[0:1], 0x20
	v_lshl_or_b32 v4, s3, 9, v0
	v_mov_b32_e32 v5, 0
	v_lshlrev_b32_e32 v6, 2, v0
	s_waitcnt lgkmcnt(0)
	v_lshl_add_u64 v[2:3], v[4:5], 2, s[4:5]
	v_or_b32_e32 v4, 0x100, v4
	global_load_dword v7, v6, s[6:7]
	global_load_dword v8, v6, s[6:7] offset:1024
	global_load_dword v9, v6, s[8:9]
	global_load_dword v10, v6, s[8:9] offset:1024
	v_lshl_add_u64 v[4:5], v[4:5], 2, s[4:5]
	global_load_dword v11, v[2:3], off
	global_load_dword v12, v[4:5], off
	s_movk_i32 s0, 0x80
	v_or_b32_e32 v1, 0x1000, v6
	v_cmp_gt_u32_e64 s[0:1], s0, v0
	s_waitcnt vmcnt(4)
	ds_write2st64_b32 v6, v7, v8 offset0:8 offset1:12
	s_waitcnt vmcnt(2)
	ds_write2st64_b32 v6, v9, v10 offset1:4
	s_waitcnt vmcnt(0)
	ds_write2st64_b32 v6, v11, v12 offset0:16 offset1:20
	s_waitcnt lgkmcnt(0)
	s_barrier
	s_and_saveexec_b64 s[2:3], s[0:1]
	s_cbranch_execz .LBB14_2
; %bb.1:
	v_or_b32_e32 v7, 0x800, v6
	v_add_u32_e32 v22, v6, v6
	v_add_u32_e32 v7, v7, v6
	ds_read2st64_b64 v[8:11], v22 offset1:2
	ds_read2st64_b64 v[12:15], v7 offset1:2
	v_add_u32_e32 v23, v1, v6
	ds_read2st64_b64 v[16:19], v23 offset1:2
	s_waitcnt lgkmcnt(1)
	v_fma_f32 v20, -v13, v10, 1.0
	v_div_scale_f32 v21, s[4:5], v20, v20, 1.0
	v_rcp_f32_e32 v24, v21
	v_div_scale_f32 v25, vcc, 1.0, v20, 1.0
	v_fma_f32 v26, -v21, v24, 1.0
	v_fmac_f32_e32 v24, v26, v24
	v_mul_f32_e32 v26, v25, v24
	v_fma_f32 v27, -v21, v26, v25
	v_fmac_f32_e32 v26, v27, v24
	v_fma_f32 v21, -v21, v26, v25
	v_div_fmas_f32 v21, v21, v24, v26
	v_div_fixup_f32 v24, v21, v20, 1.0
	s_waitcnt lgkmcnt(0)
	v_fma_f32 v20, -v10, v17, v18
	v_fma_f32 v17, -v13, v18, v17
	v_mul_f32_e32 v10, v10, v9
	v_mul_f32_e32 v13, v13, v14
	;; [unrolled: 1-line block ×4, first 2 shown]
	v_mul_f32_e64 v10, v10, -v24
	v_mul_f32_e32 v9, v24, v9
	v_mul_f32_e64 v13, v13, -v24
	v_mul_f32_e32 v14, v24, v14
	v_fma_f32 v16, -v17, v8, v16
	v_fma_f32 v21, -v15, v20, v19
	;; [unrolled: 1-line block ×3, first 2 shown]
	v_mul_f32_e64 v8, v9, -v8
	v_fma_f32 v11, -v10, v15, v11
	v_mul_f32_e64 v15, v14, -v15
	ds_write2st64_b64 v23, v[16:17], v[20:21] offset1:2
	ds_write2st64_b64 v22, v[8:9], v[10:11] offset1:2
	ds_write2st64_b64 v7, v[12:13], v[14:15] offset1:2
.LBB14_2:
	s_or_b64 exec, exec, s[2:3]
	v_cmp_gt_u32_e64 s[2:3], 64, v0
	v_lshlrev_b32_e32 v7, 4, v0
	s_waitcnt lgkmcnt(0)
	s_barrier
	s_and_saveexec_b64 s[4:5], s[2:3]
	s_cbranch_execz .LBB14_4
; %bb.3:
	v_mad_u32_u24 v21, v0, 12, v6
	v_add_u32_e32 v20, 0x800, v7
	v_add_u32_e32 v22, 0x400, v21
	ds_read2_b32 v[8:9], v20 offset1:2
	ds_read2_b32 v[10:11], v22 offset0:1 offset1:3
	v_mad_u32_u24 v23, v0, 12, v1
	v_add_u32_e32 v24, 0x400, v23
	v_add_u32_e32 v27, 0xc00, v7
	s_waitcnt lgkmcnt(0)
	v_fma_f32 v16, -v9, v10, 1.0
	v_div_scale_f32 v17, s[6:7], v16, v16, 1.0
	v_rcp_f32_e32 v18, v17
	v_div_scale_f32 v19, vcc, 1.0, v16, 1.0
	v_fma_f32 v12, -v17, v18, 1.0
	v_fmac_f32_e32 v18, v12, v18
	v_mul_f32_e32 v25, v19, v18
	v_fma_f32 v12, -v17, v25, v19
	v_fmac_f32_e32 v25, v12, v18
	ds_read2_b32 v[12:13], v24 offset0:1 offset1:3
	ds_read2_b32 v[14:15], v23 offset1:2
	v_fma_f32 v17, -v17, v25, v19
	v_div_fmas_f32 v17, v17, v18, v25
	v_div_fixup_f32 v25, v17, v16, 1.0
	ds_read2_b32 v[18:19], v27 offset0:1 offset1:3
	s_waitcnt lgkmcnt(1)
	v_fma_f32 v16, -v10, v15, v12
	v_mul_f32_e32 v26, v25, v16
	ds_read2_b32 v[16:17], v21 offset1:2
	v_fma_f32 v12, -v9, v12, v15
	v_mul_f32_e32 v12, v12, v25
	s_waitcnt lgkmcnt(1)
	v_mul_f32_e32 v9, v9, v18
	v_mul_f32_e64 v9, v9, -v25
	s_waitcnt lgkmcnt(0)
	v_fma_f32 v14, -v12, v16, v14
	ds_write2_b32 v23, v14, v12 offset1:2
	v_fma_f32 v12, -v19, v26, v13
	ds_write2_b32 v24, v26, v12 offset0:1 offset1:3
	v_mul_f32_e32 v10, v10, v17
	v_mul_f32_e32 v12, v25, v17
	v_fma_f32 v8, -v9, v16, v8
	v_mul_f32_e64 v10, v10, -v25
	ds_write2_b32 v20, v8, v9 offset1:2
	v_mul_f32_e64 v8, v12, -v16
	v_mul_f32_e32 v13, v25, v18
	ds_write2_b32 v21, v8, v12 offset1:2
	v_fma_f32 v8, -v10, v19, v11
	ds_write2_b32 v22, v10, v8 offset0:1 offset1:3
	v_mul_f32_e64 v8, v13, -v19
	ds_write2_b32 v27, v13, v8 offset0:1 offset1:3
.LBB14_4:
	s_or_b64 exec, exec, s[4:5]
	v_cmp_gt_u32_e64 s[4:5], 32, v0
	v_lshlrev_b32_e32 v8, 5, v0
	s_waitcnt lgkmcnt(0)
	s_barrier
	s_and_saveexec_b64 s[6:7], s[4:5]
	s_cbranch_execz .LBB14_6
; %bb.5:
	v_add_u32_e32 v9, 0x800, v8
	v_add_u32_e32 v22, 0x400, v8
	ds_read2_b32 v[10:11], v9 offset1:4
	ds_read2_b32 v[12:13], v22 offset0:3 offset1:7
	v_add_u32_e32 v23, 0x1400, v8
	v_add_u32_e32 v25, 0x1000, v8
	ds_read2_b32 v[14:15], v23 offset0:3 offset1:7
	v_add_u32_e32 v27, 0xc00, v8
	s_waitcnt lgkmcnt(1)
	v_fma_f32 v18, -v11, v12, 1.0
	v_div_scale_f32 v19, s[8:9], v18, v18, 1.0
	v_rcp_f32_e32 v20, v19
	v_div_scale_f32 v21, vcc, 1.0, v18, 1.0
	v_fma_f32 v16, -v19, v20, 1.0
	v_fmac_f32_e32 v20, v16, v20
	v_mul_f32_e32 v24, v21, v20
	v_fma_f32 v16, -v19, v24, v21
	v_fmac_f32_e32 v24, v16, v20
	ds_read2_b32 v[16:17], v25 offset1:4
	v_fma_f32 v19, -v19, v24, v21
	v_div_fmas_f32 v19, v19, v20, v24
	v_div_fixup_f32 v24, v19, v18, 1.0
	ds_read2_b32 v[20:21], v27 offset0:3 offset1:7
	s_waitcnt lgkmcnt(1)
	v_fma_f32 v18, -v12, v17, v14
	v_mul_f32_e32 v26, v24, v18
	ds_read2_b32 v[18:19], v8 offset1:4
	v_fma_f32 v14, -v11, v14, v17
	v_mul_f32_e32 v14, v14, v24
	s_waitcnt lgkmcnt(1)
	v_mul_f32_e32 v11, v11, v20
	v_mul_f32_e64 v11, v11, -v24
	s_waitcnt lgkmcnt(0)
	v_fma_f32 v16, -v14, v18, v16
	ds_write2_b32 v25, v16, v14 offset1:4
	v_fma_f32 v14, -v21, v26, v15
	ds_write2_b32 v23, v26, v14 offset0:3 offset1:7
	v_mul_f32_e32 v12, v12, v19
	v_mul_f32_e32 v14, v24, v19
	v_fma_f32 v10, -v11, v18, v10
	v_mul_f32_e64 v12, v12, -v24
	ds_write2_b32 v9, v10, v11 offset1:4
	v_mul_f32_e64 v9, v14, -v18
	v_mul_f32_e32 v15, v24, v20
	ds_write2_b32 v8, v9, v14 offset1:4
	v_fma_f32 v9, -v12, v21, v13
	ds_write2_b32 v22, v12, v9 offset0:3 offset1:7
	v_mul_f32_e64 v9, v15, -v21
	ds_write2_b32 v27, v15, v9 offset0:3 offset1:7
.LBB14_6:
	s_or_b64 exec, exec, s[6:7]
	v_cmp_gt_u32_e64 s[6:7], 16, v0
	v_lshlrev_b32_e32 v9, 6, v0
	s_waitcnt lgkmcnt(0)
	s_barrier
	s_and_saveexec_b64 s[8:9], s[6:7]
	s_cbranch_execz .LBB14_8
; %bb.7:
	v_add_u32_e32 v22, 0x800, v9
	v_add_u32_e32 v23, 0x400, v9
	ds_read2_b32 v[10:11], v22 offset1:8
	ds_read2_b32 v[12:13], v23 offset0:7 offset1:15
	v_add_u32_e32 v24, 0x1400, v9
	v_add_u32_e32 v26, 0x1000, v9
	ds_read2_b32 v[14:15], v24 offset0:7 offset1:15
	v_add_u32_e32 v28, 0xc00, v9
	s_waitcnt lgkmcnt(1)
	v_fma_f32 v18, -v11, v12, 1.0
	v_div_scale_f32 v19, s[10:11], v18, v18, 1.0
	v_rcp_f32_e32 v20, v19
	v_div_scale_f32 v21, vcc, 1.0, v18, 1.0
	v_fma_f32 v16, -v19, v20, 1.0
	v_fmac_f32_e32 v20, v16, v20
	v_mul_f32_e32 v25, v21, v20
	v_fma_f32 v16, -v19, v25, v21
	v_fmac_f32_e32 v25, v16, v20
	ds_read2_b32 v[16:17], v26 offset1:8
	v_fma_f32 v19, -v19, v25, v21
	v_div_fmas_f32 v19, v19, v20, v25
	v_div_fixup_f32 v25, v19, v18, 1.0
	ds_read2_b32 v[20:21], v28 offset0:7 offset1:15
	s_waitcnt lgkmcnt(1)
	v_fma_f32 v18, -v12, v17, v14
	v_mul_f32_e32 v27, v25, v18
	ds_read2_b32 v[18:19], v9 offset1:8
	v_fma_f32 v14, -v11, v14, v17
	v_mul_f32_e32 v14, v14, v25
	s_waitcnt lgkmcnt(1)
	v_mul_f32_e32 v11, v11, v20
	v_mul_f32_e64 v11, v11, -v25
	s_waitcnt lgkmcnt(0)
	v_fma_f32 v16, -v14, v18, v16
	ds_write2_b32 v26, v16, v14 offset1:8
	v_fma_f32 v14, -v21, v27, v15
	ds_write2_b32 v24, v27, v14 offset0:7 offset1:15
	v_mul_f32_e32 v12, v12, v19
	v_mul_f32_e32 v14, v25, v19
	v_fma_f32 v10, -v11, v18, v10
	v_mul_f32_e64 v12, v12, -v25
	ds_write2_b32 v22, v10, v11 offset1:8
	v_mul_f32_e64 v10, v14, -v18
	v_mul_f32_e32 v15, v25, v20
	ds_write2_b32 v9, v10, v14 offset1:8
	v_fma_f32 v10, -v12, v21, v13
	ds_write2_b32 v23, v12, v10 offset0:7 offset1:15
	v_mul_f32_e64 v10, v15, -v21
	ds_write2_b32 v28, v15, v10 offset0:7 offset1:15
.LBB14_8:
	;; [unrolled: 58-line block ×4, first 2 shown]
	s_or_b64 exec, exec, s[12:13]
	v_cmp_gt_u32_e64 s[12:13], 2, v0
	v_lshlrev_b32_e32 v12, 9, v0
	s_waitcnt lgkmcnt(0)
	s_barrier
	s_and_saveexec_b64 s[14:15], s[12:13]
	s_cbranch_execz .LBB14_14
; %bb.13:
	v_add_u32_e32 v13, 0xfc, v12
	ds_read2st64_b32 v[14:15], v13 offset0:4 offset1:5
	ds_read2st64_b32 v[16:17], v12 offset0:8 offset1:9
	;; [unrolled: 1-line block ×3, first 2 shown]
	ds_read2st64_b32 v[20:21], v12 offset1:1
	ds_read2st64_b32 v[22:23], v13 offset0:12 offset1:13
	ds_read2st64_b32 v[24:25], v13 offset0:20 offset1:21
	s_waitcnt lgkmcnt(4)
	v_fma_f32 v26, -v17, v14, 1.0
	v_div_scale_f32 v27, s[16:17], v26, v26, 1.0
	v_rcp_f32_e32 v28, v27
	s_nop 0
	v_fma_f32 v29, -v27, v28, 1.0
	v_fmac_f32_e32 v28, v29, v28
	v_div_scale_f32 v29, vcc, 1.0, v26, 1.0
	v_mul_f32_e32 v30, v29, v28
	v_fma_f32 v31, -v27, v30, v29
	v_fmac_f32_e32 v30, v31, v28
	v_fma_f32 v27, -v27, v30, v29
	v_div_fmas_f32 v27, v27, v28, v30
	v_div_fixup_f32 v26, v27, v26, 1.0
	s_waitcnt lgkmcnt(0)
	v_fma_f32 v27, -v14, v19, v24
	v_fma_f32 v19, -v17, v24, v19
	v_mul_f32_e32 v19, v19, v26
	v_mul_f32_e32 v27, v26, v27
	v_fma_f32 v18, -v19, v20, v18
	v_mul_f32_e32 v14, v14, v21
	v_mul_f32_e32 v17, v17, v22
	ds_write2st64_b32 v12, v18, v19 offset0:16 offset1:17
	v_fma_f32 v18, -v23, v27, v25
	v_mul_f32_e64 v14, v14, -v26
	v_mul_f32_e64 v17, v17, -v26
	ds_write2st64_b32 v13, v27, v18 offset0:20 offset1:21
	v_mul_f32_e32 v18, v26, v21
	v_mul_f32_e32 v19, v26, v22
	v_fma_f32 v16, -v17, v20, v16
	v_fma_f32 v15, -v14, v23, v15
	ds_write2st64_b32 v12, v16, v17 offset0:8 offset1:9
	v_mul_f32_e64 v16, v18, -v20
	ds_write2st64_b32 v13, v14, v15 offset0:4 offset1:5
	v_mul_f32_e64 v14, v19, -v23
	ds_write2st64_b32 v12, v16, v18 offset1:1
	ds_write2st64_b32 v13, v19, v14 offset0:12 offset1:13
.LBB14_14:
	s_or_b64 exec, exec, s[14:15]
	v_cmp_eq_u32_e32 vcc, 0, v0
	s_waitcnt lgkmcnt(0)
	s_barrier
	s_and_saveexec_b64 s[14:15], vcc
	s_cbranch_execz .LBB14_16
; %bb.15:
	s_movk_i32 s16, 0xa00
	v_add_u32_e64 v24, s16, 0
	v_mov_b32_e32 v13, 0
	ds_read2_b32 v[14:15], v24 offset1:255
	ds_read_b32 v25, v13 offset:1532
	v_mov_b32_e32 v26, 0x7fc
	ds_read2_b32 v[16:17], v26 offset1:1
	ds_read_b32 v27, v13 offset:6140
	v_mov_b32_e32 v29, 0xffc
	ds_read2_b32 v[18:19], v29 offset1:1
	s_waitcnt lgkmcnt(3)
	v_fma_f32 v22, -v14, v25, 1.0
	v_div_scale_f32 v23, s[16:17], v22, v22, 1.0
	v_rcp_f32_e32 v28, v23
	v_div_scale_f32 v30, vcc, 1.0, v22, 1.0
	s_movk_i32 s16, 0x1200
	v_fma_f32 v20, -v23, v28, 1.0
	v_fmac_f32_e32 v28, v20, v28
	v_mul_f32_e32 v31, v30, v28
	v_fma_f32 v20, -v23, v31, v30
	v_fmac_f32_e32 v31, v20, v28
	v_add_u32_e64 v32, s16, 0
	ds_read2_b32 v[20:21], v32 offset1:255
	v_fma_f32 v23, -v23, v31, v30
	v_div_fmas_f32 v23, v23, v28, v31
	v_div_fixup_f32 v28, v23, v22, 1.0
	ds_read2st64_b32 v[22:23], v13 offset1:2
	s_waitcnt lgkmcnt(1)
	v_fma_f32 v30, -v25, v20, v21
	v_fma_f32 v20, -v14, v21, v20
	v_mul_f32_e32 v30, v28, v30
	v_mul_f32_e32 v20, v20, v28
	ds_write2_b32 v32, v20, v30 offset1:255
	s_waitcnt lgkmcnt(1)
	v_fma_f32 v19, -v20, v22, v19
	v_fma_f32 v20, -v18, v30, v27
	v_mul_f32_e32 v14, v14, v15
	ds_write_b32 v13, v20 offset:6140
	v_mul_f32_e32 v20, v25, v23
	v_mul_f32_e32 v21, v28, v23
	v_mul_f32_e64 v14, v14, -v28
	v_mul_f32_e32 v15, v28, v15
	v_mul_f32_e64 v20, v20, -v28
	ds_write2_b32 v24, v14, v15 offset1:255
	v_fma_f32 v14, -v14, v22, v17
	v_mul_f32_e64 v17, v21, -v22
	ds_write_b32 v13, v20 offset:1532
	ds_write2st64_b32 v13, v17, v21 offset1:2
	v_fma_f32 v13, -v20, v18, v16
	ds_write2_b32 v26, v13, v14 offset1:1
	v_mul_f32_e64 v13, v15, -v18
	ds_write2_b32 v29, v13, v19 offset1:1
.LBB14_16:
	s_or_b64 exec, exec, s[14:15]
	s_waitcnt lgkmcnt(0)
	s_barrier
	s_and_saveexec_b64 s[14:15], s[12:13]
	s_cbranch_execz .LBB14_18
; %bb.17:
	v_max_u32_e32 v13, 1, v10
	v_add_u32_e32 v14, 0x1100, v12
	v_add_u32_e32 v16, 0x900, v12
	v_min_u32_e32 v20, 0x7f, v10
	ds_read2_b32 v[14:15], v14 offset1:255
	ds_read2_b32 v[16:17], v16 offset1:255
	v_lshlrev_b32_e32 v13, 2, v13
	v_add_u32_e32 v18, 0x100, v12
	ds_read2_b32 v[18:19], v18 offset1:255
	v_lshlrev_b32_e32 v20, 2, v20
	ds_read_b32 v21, v13 offset:5116
	ds_read_b32 v22, v20 offset:4608
	s_waitcnt lgkmcnt(1)
	v_fma_f32 v15, -v17, v21, v15
	s_waitcnt lgkmcnt(0)
	v_fma_f32 v15, -v19, v22, v15
	ds_write_b32 v12, v15 offset:5372
	ds_read_b32 v13, v13 offset:5116
	s_waitcnt lgkmcnt(0)
	v_fma_f32 v13, -v16, v13, v14
	ds_write_b32 v12, v13 offset:4352
	ds_read_b32 v14, v20 offset:4608
	s_waitcnt lgkmcnt(0)
	v_fma_f32 v13, -v18, v14, v13
	ds_write_b32 v12, v13 offset:4352
.LBB14_18:
	s_or_b64 exec, exec, s[14:15]
	s_waitcnt lgkmcnt(0)
	s_barrier
	s_and_saveexec_b64 s[12:13], s[10:11]
	s_cbranch_execz .LBB14_20
; %bb.19:
	v_max_u32_e32 v16, 1, v9
	v_add_u32_e32 v12, 0x1080, v11
	v_add_u32_e32 v14, 0x880, v11
	v_min_u32_e32 v18, 0xbf, v9
	ds_read2_b32 v[12:13], v12 offset1:255
	ds_read2_b32 v[14:15], v14 offset1:255
	v_lshlrev_b32_e32 v19, 2, v16
	v_add_u32_e32 v16, 0x80, v11
	ds_read2_b32 v[16:17], v16 offset1:255
	v_lshlrev_b32_e32 v18, 2, v18
	ds_read_b32 v20, v19 offset:5116
	ds_read_b32 v21, v18 offset:4352
	s_waitcnt lgkmcnt(1)
	v_fma_f32 v13, -v15, v20, v13
	s_waitcnt lgkmcnt(0)
	v_fma_f32 v13, -v17, v21, v13
	ds_write_b32 v11, v13 offset:5244
	ds_read_b32 v13, v19 offset:5116
	s_waitcnt lgkmcnt(0)
	v_fma_f32 v12, -v14, v13, v12
	ds_write_b32 v11, v12 offset:4224
	ds_read_b32 v13, v18 offset:4352
	s_waitcnt lgkmcnt(0)
	v_fma_f32 v12, -v16, v13, v12
	ds_write_b32 v11, v12 offset:4224
.LBB14_20:
	;; [unrolled: 32-line block ×4, first 2 shown]
	s_or_b64 exec, exec, s[8:9]
	v_lshlrev_b32_e32 v9, 3, v0
	s_waitcnt lgkmcnt(0)
	s_barrier
	s_and_saveexec_b64 s[6:7], s[4:5]
	s_cbranch_execz .LBB14_26
; %bb.25:
	v_max_u32_e32 v14, 1, v9
	v_add_u32_e32 v10, 0x1010, v8
	v_add_u32_e32 v12, 0x810, v8
	v_min_u32_e32 v16, 0xf7, v9
	ds_read2_b32 v[10:11], v10 offset1:255
	ds_read2_b32 v[12:13], v12 offset1:255
	v_lshlrev_b32_e32 v17, 2, v14
	v_add_u32_e32 v14, 16, v8
	ds_read2_b32 v[14:15], v14 offset1:255
	v_lshlrev_b32_e32 v16, 2, v16
	ds_read_b32 v18, v17 offset:5116
	ds_read_b32 v19, v16 offset:4128
	s_waitcnt lgkmcnt(1)
	v_fma_f32 v11, -v13, v18, v11
	s_waitcnt lgkmcnt(0)
	v_fma_f32 v11, -v15, v19, v11
	ds_write_b32 v8, v11 offset:5132
	ds_read_b32 v11, v17 offset:5116
	s_waitcnt lgkmcnt(0)
	v_fma_f32 v10, -v12, v11, v10
	ds_write_b32 v8, v10 offset:4112
	ds_read_b32 v11, v16 offset:4128
	s_waitcnt lgkmcnt(0)
	v_fma_f32 v10, -v14, v11, v10
	ds_write_b32 v8, v10 offset:4112
.LBB14_26:
	s_or_b64 exec, exec, s[6:7]
	s_waitcnt lgkmcnt(0)
	s_barrier
	s_and_saveexec_b64 s[4:5], s[2:3]
	s_cbranch_execz .LBB14_28
; %bb.27:
	v_max_u32_e32 v8, 1, v6
	v_add_u32_e32 v10, 0x1008, v7
	v_add_u32_e32 v12, 0x808, v7
	v_min_u32_e32 v6, 0xfb, v6
	ds_read2_b32 v[10:11], v10 offset1:255
	ds_read2_b32 v[12:13], v12 offset1:255
	v_lshlrev_b32_e32 v8, 2, v8
	v_add_u32_e32 v14, 8, v7
	ds_read2_b32 v[14:15], v14 offset1:255
	v_lshlrev_b32_e32 v6, 2, v6
	ds_read_b32 v16, v8 offset:5116
	ds_read_b32 v17, v6 offset:4112
	s_waitcnt lgkmcnt(1)
	v_fma_f32 v11, -v13, v16, v11
	s_waitcnt lgkmcnt(0)
	v_fma_f32 v11, -v15, v17, v11
	ds_write_b32 v7, v11 offset:5124
	ds_read_b32 v8, v8 offset:5116
	s_waitcnt lgkmcnt(0)
	v_fma_f32 v8, -v12, v8, v10
	ds_write_b32 v7, v8 offset:4104
	ds_read_b32 v6, v6 offset:4112
	s_waitcnt lgkmcnt(0)
	v_fma_f32 v6, -v14, v6, v8
	ds_write_b32 v7, v6 offset:4104
.LBB14_28:
	s_or_b64 exec, exec, s[4:5]
	s_waitcnt lgkmcnt(0)
	s_barrier
	s_and_saveexec_b64 s[2:3], s[0:1]
	s_cbranch_execz .LBB14_30
; %bb.29:
	v_lshlrev_b32_e32 v0, 1, v0
	v_max_u32_e32 v8, 1, v0
	v_add_u32_e32 v6, 0x1004, v9
	v_add_u32_e32 v10, 0x804, v9
	v_min_u32_e32 v0, 0xfd, v0
	ds_read2_b32 v[6:7], v6 offset1:255
	ds_read2_b32 v[10:11], v10 offset1:255
	v_lshlrev_b32_e32 v8, 2, v8
	v_add_u32_e32 v12, 4, v9
	ds_read2_b32 v[12:13], v12 offset1:255
	v_lshlrev_b32_e32 v0, 2, v0
	ds_read_b32 v14, v8 offset:5116
	ds_read_b32 v15, v0 offset:4104
	s_waitcnt lgkmcnt(1)
	v_fma_f32 v7, -v11, v14, v7
	s_waitcnt lgkmcnt(0)
	v_fma_f32 v7, -v13, v15, v7
	ds_write_b32 v9, v7 offset:5120
	ds_read_b32 v7, v8 offset:5116
	s_waitcnt lgkmcnt(0)
	v_fma_f32 v6, -v10, v7, v6
	ds_write_b32 v9, v6 offset:4100
	ds_read_b32 v0, v0 offset:4104
	s_waitcnt lgkmcnt(0)
	v_fma_f32 v0, -v12, v0, v6
	ds_write_b32 v9, v0 offset:4100
.LBB14_30:
	s_or_b64 exec, exec, s[2:3]
	s_waitcnt lgkmcnt(0)
	s_barrier
	ds_read2st64_b32 v[0:1], v1 offset1:4
	s_waitcnt lgkmcnt(0)
	global_store_dword v[2:3], v0, off
	global_store_dword v[4:5], v1, off
	s_endpgm
	.section	.rodata,"a",@progbits
	.p2align	6, 0x0
	.amdhsa_kernel _ZN9rocsparseL34gtsv_solve_spike_grid_level_kernelILj256EfEEviiiPT0_PKS1_S4_
		.amdhsa_group_segment_fixed_size 6144
		.amdhsa_private_segment_fixed_size 0
		.amdhsa_kernarg_size 40
		.amdhsa_user_sgpr_count 2
		.amdhsa_user_sgpr_dispatch_ptr 0
		.amdhsa_user_sgpr_queue_ptr 0
		.amdhsa_user_sgpr_kernarg_segment_ptr 1
		.amdhsa_user_sgpr_dispatch_id 0
		.amdhsa_user_sgpr_kernarg_preload_length 0
		.amdhsa_user_sgpr_kernarg_preload_offset 0
		.amdhsa_user_sgpr_private_segment_size 0
		.amdhsa_uses_dynamic_stack 0
		.amdhsa_enable_private_segment 0
		.amdhsa_system_sgpr_workgroup_id_x 1
		.amdhsa_system_sgpr_workgroup_id_y 1
		.amdhsa_system_sgpr_workgroup_id_z 0
		.amdhsa_system_sgpr_workgroup_info 0
		.amdhsa_system_vgpr_workitem_id 0
		.amdhsa_next_free_vgpr 33
		.amdhsa_next_free_sgpr 18
		.amdhsa_accum_offset 36
		.amdhsa_reserve_vcc 1
		.amdhsa_float_round_mode_32 0
		.amdhsa_float_round_mode_16_64 0
		.amdhsa_float_denorm_mode_32 3
		.amdhsa_float_denorm_mode_16_64 3
		.amdhsa_dx10_clamp 1
		.amdhsa_ieee_mode 1
		.amdhsa_fp16_overflow 0
		.amdhsa_tg_split 0
		.amdhsa_exception_fp_ieee_invalid_op 0
		.amdhsa_exception_fp_denorm_src 0
		.amdhsa_exception_fp_ieee_div_zero 0
		.amdhsa_exception_fp_ieee_overflow 0
		.amdhsa_exception_fp_ieee_underflow 0
		.amdhsa_exception_fp_ieee_inexact 0
		.amdhsa_exception_int_div_zero 0
	.end_amdhsa_kernel
	.section	.text._ZN9rocsparseL34gtsv_solve_spike_grid_level_kernelILj256EfEEviiiPT0_PKS1_S4_,"axG",@progbits,_ZN9rocsparseL34gtsv_solve_spike_grid_level_kernelILj256EfEEviiiPT0_PKS1_S4_,comdat
.Lfunc_end14:
	.size	_ZN9rocsparseL34gtsv_solve_spike_grid_level_kernelILj256EfEEviiiPT0_PKS1_S4_, .Lfunc_end14-_ZN9rocsparseL34gtsv_solve_spike_grid_level_kernelILj256EfEEviiiPT0_PKS1_S4_
                                        ; -- End function
	.set _ZN9rocsparseL34gtsv_solve_spike_grid_level_kernelILj256EfEEviiiPT0_PKS1_S4_.num_vgpr, 33
	.set _ZN9rocsparseL34gtsv_solve_spike_grid_level_kernelILj256EfEEviiiPT0_PKS1_S4_.num_agpr, 0
	.set _ZN9rocsparseL34gtsv_solve_spike_grid_level_kernelILj256EfEEviiiPT0_PKS1_S4_.numbered_sgpr, 18
	.set _ZN9rocsparseL34gtsv_solve_spike_grid_level_kernelILj256EfEEviiiPT0_PKS1_S4_.num_named_barrier, 0
	.set _ZN9rocsparseL34gtsv_solve_spike_grid_level_kernelILj256EfEEviiiPT0_PKS1_S4_.private_seg_size, 0
	.set _ZN9rocsparseL34gtsv_solve_spike_grid_level_kernelILj256EfEEviiiPT0_PKS1_S4_.uses_vcc, 1
	.set _ZN9rocsparseL34gtsv_solve_spike_grid_level_kernelILj256EfEEviiiPT0_PKS1_S4_.uses_flat_scratch, 0
	.set _ZN9rocsparseL34gtsv_solve_spike_grid_level_kernelILj256EfEEviiiPT0_PKS1_S4_.has_dyn_sized_stack, 0
	.set _ZN9rocsparseL34gtsv_solve_spike_grid_level_kernelILj256EfEEviiiPT0_PKS1_S4_.has_recursion, 0
	.set _ZN9rocsparseL34gtsv_solve_spike_grid_level_kernelILj256EfEEviiiPT0_PKS1_S4_.has_indirect_call, 0
	.section	.AMDGPU.csdata,"",@progbits
; Kernel info:
; codeLenInByte = 4372
; TotalNumSgprs: 24
; NumVgprs: 33
; NumAgprs: 0
; TotalNumVgprs: 33
; ScratchSize: 0
; MemoryBound: 0
; FloatMode: 240
; IeeeMode: 1
; LDSByteSize: 6144 bytes/workgroup (compile time only)
; SGPRBlocks: 2
; VGPRBlocks: 4
; NumSGPRsForWavesPerEU: 24
; NumVGPRsForWavesPerEU: 33
; AccumOffset: 36
; Occupancy: 8
; WaveLimiterHint : 1
; COMPUTE_PGM_RSRC2:SCRATCH_EN: 0
; COMPUTE_PGM_RSRC2:USER_SGPR: 2
; COMPUTE_PGM_RSRC2:TRAP_HANDLER: 0
; COMPUTE_PGM_RSRC2:TGID_X_EN: 1
; COMPUTE_PGM_RSRC2:TGID_Y_EN: 1
; COMPUTE_PGM_RSRC2:TGID_Z_EN: 0
; COMPUTE_PGM_RSRC2:TIDIG_COMP_CNT: 0
; COMPUTE_PGM_RSRC3_GFX90A:ACCUM_OFFSET: 8
; COMPUTE_PGM_RSRC3_GFX90A:TG_SPLIT: 0
	.section	.text._ZN9rocsparseL34gtsv_solve_spike_grid_level_kernelILj512EfEEviiiPT0_PKS1_S4_,"axG",@progbits,_ZN9rocsparseL34gtsv_solve_spike_grid_level_kernelILj512EfEEviiiPT0_PKS1_S4_,comdat
	.globl	_ZN9rocsparseL34gtsv_solve_spike_grid_level_kernelILj512EfEEviiiPT0_PKS1_S4_ ; -- Begin function _ZN9rocsparseL34gtsv_solve_spike_grid_level_kernelILj512EfEEviiiPT0_PKS1_S4_
	.p2align	8
	.type	_ZN9rocsparseL34gtsv_solve_spike_grid_level_kernelILj512EfEEviiiPT0_PKS1_S4_,@function
_ZN9rocsparseL34gtsv_solve_spike_grid_level_kernelILj512EfEEviiiPT0_PKS1_S4_: ; @_ZN9rocsparseL34gtsv_solve_spike_grid_level_kernelILj512EfEEviiiPT0_PKS1_S4_
; %bb.0:
	s_load_dwordx4 s[4:7], s[0:1], 0x10
	s_load_dwordx2 s[8:9], s[0:1], 0x20
	v_lshl_or_b32 v4, s3, 10, v0
	v_mov_b32_e32 v5, 0
	v_lshlrev_b32_e32 v6, 2, v0
	s_waitcnt lgkmcnt(0)
	v_lshl_add_u64 v[2:3], v[4:5], 2, s[4:5]
	v_or_b32_e32 v4, 0x200, v4
	global_load_dword v8, v6, s[6:7]
	global_load_dword v9, v6, s[6:7] offset:2048
	global_load_dword v10, v6, s[8:9]
	global_load_dword v11, v6, s[8:9] offset:2048
	v_lshl_add_u64 v[4:5], v[4:5], 2, s[4:5]
	global_load_dword v12, v[2:3], off
	global_load_dword v13, v[4:5], off
	s_movk_i32 s0, 0x100
	v_or_b32_e32 v7, 0x1000, v6
	v_or_b32_e32 v1, 0x2000, v6
	v_cmp_gt_u32_e64 s[0:1], s0, v0
	s_waitcnt vmcnt(4)
	ds_write2st64_b32 v6, v8, v9 offset0:16 offset1:24
	s_waitcnt vmcnt(2)
	ds_write2st64_b32 v6, v10, v11 offset1:8
	s_waitcnt vmcnt(0)
	ds_write2st64_b32 v6, v12, v13 offset0:32 offset1:40
	s_waitcnt lgkmcnt(0)
	s_barrier
	s_and_saveexec_b64 s[2:3], s[0:1]
	s_cbranch_execz .LBB15_2
; %bb.1:
	v_add_u32_e32 v22, v7, v6
	v_add_u32_e32 v23, v6, v6
	ds_read2st64_b64 v[8:11], v22 offset1:4
	ds_read2st64_b64 v[12:15], v23 offset1:4
	v_add_u32_e32 v24, v1, v6
	ds_read2st64_b64 v[16:19], v24 offset1:4
	s_waitcnt lgkmcnt(1)
	v_fma_f32 v20, -v9, v14, 1.0
	v_div_scale_f32 v21, s[4:5], v20, v20, 1.0
	v_rcp_f32_e32 v25, v21
	v_div_scale_f32 v26, vcc, 1.0, v20, 1.0
	v_fma_f32 v27, -v21, v25, 1.0
	v_fmac_f32_e32 v25, v27, v25
	v_mul_f32_e32 v27, v26, v25
	v_fma_f32 v28, -v21, v27, v26
	v_fmac_f32_e32 v27, v28, v25
	v_fma_f32 v21, -v21, v27, v26
	v_div_fmas_f32 v21, v21, v25, v27
	v_div_fixup_f32 v25, v21, v20, 1.0
	s_waitcnt lgkmcnt(0)
	v_fma_f32 v20, -v14, v17, v18
	v_fma_f32 v17, -v9, v18, v17
	v_mul_f32_e32 v14, v14, v13
	v_mul_f32_e32 v9, v9, v10
	;; [unrolled: 1-line block ×4, first 2 shown]
	v_mul_f32_e64 v14, v14, -v25
	v_mul_f32_e32 v13, v25, v13
	v_mul_f32_e64 v9, v9, -v25
	v_mul_f32_e32 v10, v25, v10
	v_fma_f32 v16, -v17, v12, v16
	v_fma_f32 v21, -v11, v20, v19
	;; [unrolled: 1-line block ×3, first 2 shown]
	v_mul_f32_e64 v12, v13, -v12
	v_fma_f32 v15, -v14, v11, v15
	v_mul_f32_e64 v11, v10, -v11
	ds_write2st64_b64 v24, v[16:17], v[20:21] offset1:4
	ds_write2st64_b64 v23, v[12:13], v[14:15] offset1:4
	;; [unrolled: 1-line block ×3, first 2 shown]
.LBB15_2:
	s_or_b64 exec, exec, s[2:3]
	s_movk_i32 s2, 0x80
	v_cmp_gt_u32_e64 s[2:3], s2, v0
	s_waitcnt lgkmcnt(0)
	s_barrier
	s_and_saveexec_b64 s[4:5], s[2:3]
	s_cbranch_execz .LBB15_4
; %bb.3:
	v_mad_u32_u24 v20, v0, 12, v6
	v_mad_u32_u24 v7, v0, 12, v7
	v_add_u32_e32 v21, 0x800, v20
	ds_read2_b32 v[8:9], v7 offset1:2
	ds_read2_b32 v[10:11], v21 offset0:1 offset1:3
	v_mad_u32_u24 v22, v0, 12, v1
	v_add_u32_e32 v23, 0x800, v22
	v_add_u32_e32 v26, 0x800, v7
	s_waitcnt lgkmcnt(0)
	v_fma_f32 v16, -v9, v10, 1.0
	v_div_scale_f32 v17, s[6:7], v16, v16, 1.0
	v_rcp_f32_e32 v18, v17
	v_div_scale_f32 v19, vcc, 1.0, v16, 1.0
	v_fma_f32 v12, -v17, v18, 1.0
	v_fmac_f32_e32 v18, v12, v18
	v_mul_f32_e32 v24, v19, v18
	v_fma_f32 v12, -v17, v24, v19
	v_fmac_f32_e32 v24, v12, v18
	ds_read2_b32 v[12:13], v23 offset0:1 offset1:3
	ds_read2_b32 v[14:15], v22 offset1:2
	v_fma_f32 v17, -v17, v24, v19
	v_div_fmas_f32 v17, v17, v18, v24
	v_div_fixup_f32 v24, v17, v16, 1.0
	ds_read2_b32 v[18:19], v26 offset0:1 offset1:3
	s_waitcnt lgkmcnt(1)
	v_fma_f32 v16, -v10, v15, v12
	v_mul_f32_e32 v25, v24, v16
	ds_read2_b32 v[16:17], v20 offset1:2
	v_fma_f32 v12, -v9, v12, v15
	v_mul_f32_e32 v12, v12, v24
	s_waitcnt lgkmcnt(1)
	v_mul_f32_e32 v9, v9, v18
	v_mul_f32_e64 v9, v9, -v24
	s_waitcnt lgkmcnt(0)
	v_fma_f32 v14, -v12, v16, v14
	ds_write2_b32 v22, v14, v12 offset1:2
	v_fma_f32 v12, -v19, v25, v13
	ds_write2_b32 v23, v25, v12 offset0:1 offset1:3
	v_mul_f32_e32 v10, v10, v17
	v_mul_f32_e32 v12, v24, v17
	v_fma_f32 v8, -v9, v16, v8
	v_mul_f32_e64 v10, v10, -v24
	ds_write2_b32 v7, v8, v9 offset1:2
	v_mul_f32_e64 v7, v12, -v16
	v_mul_f32_e32 v13, v24, v18
	ds_write2_b32 v20, v7, v12 offset1:2
	v_fma_f32 v7, -v10, v19, v11
	ds_write2_b32 v21, v10, v7 offset0:1 offset1:3
	v_mul_f32_e64 v7, v13, -v19
	ds_write2_b32 v26, v13, v7 offset0:1 offset1:3
.LBB15_4:
	s_or_b64 exec, exec, s[4:5]
	v_cmp_gt_u32_e64 s[4:5], 64, v0
	v_lshlrev_b32_e32 v7, 5, v0
	s_waitcnt lgkmcnt(0)
	s_barrier
	s_and_saveexec_b64 s[6:7], s[4:5]
	s_cbranch_execz .LBB15_6
; %bb.5:
	v_add_u32_e32 v20, 0x1000, v7
	v_add_u32_e32 v21, 0x800, v7
	ds_read2_b32 v[8:9], v20 offset1:4
	ds_read2_b32 v[10:11], v21 offset0:3 offset1:7
	v_add_u32_e32 v22, 0x2800, v7
	v_add_u32_e32 v24, 0x2000, v7
	ds_read2_b32 v[12:13], v22 offset0:3 offset1:7
	v_add_u32_e32 v26, 0x1800, v7
	s_waitcnt lgkmcnt(1)
	v_fma_f32 v16, -v9, v10, 1.0
	v_div_scale_f32 v17, s[8:9], v16, v16, 1.0
	v_rcp_f32_e32 v18, v17
	v_div_scale_f32 v19, vcc, 1.0, v16, 1.0
	v_fma_f32 v14, -v17, v18, 1.0
	v_fmac_f32_e32 v18, v14, v18
	v_mul_f32_e32 v23, v19, v18
	v_fma_f32 v14, -v17, v23, v19
	v_fmac_f32_e32 v23, v14, v18
	ds_read2_b32 v[14:15], v24 offset1:4
	v_fma_f32 v17, -v17, v23, v19
	v_div_fmas_f32 v17, v17, v18, v23
	v_div_fixup_f32 v23, v17, v16, 1.0
	ds_read2_b32 v[18:19], v26 offset0:3 offset1:7
	s_waitcnt lgkmcnt(1)
	v_fma_f32 v16, -v10, v15, v12
	v_mul_f32_e32 v25, v23, v16
	ds_read2_b32 v[16:17], v7 offset1:4
	v_fma_f32 v12, -v9, v12, v15
	v_mul_f32_e32 v12, v12, v23
	s_waitcnt lgkmcnt(1)
	v_mul_f32_e32 v9, v9, v18
	v_mul_f32_e64 v9, v9, -v23
	s_waitcnt lgkmcnt(0)
	v_fma_f32 v14, -v12, v16, v14
	ds_write2_b32 v24, v14, v12 offset1:4
	v_fma_f32 v12, -v19, v25, v13
	ds_write2_b32 v22, v25, v12 offset0:3 offset1:7
	v_mul_f32_e32 v10, v10, v17
	v_mul_f32_e32 v12, v23, v17
	v_fma_f32 v8, -v9, v16, v8
	v_mul_f32_e64 v10, v10, -v23
	ds_write2_b32 v20, v8, v9 offset1:4
	v_mul_f32_e64 v8, v12, -v16
	v_mul_f32_e32 v13, v23, v18
	ds_write2_b32 v7, v8, v12 offset1:4
	v_fma_f32 v8, -v10, v19, v11
	ds_write2_b32 v21, v10, v8 offset0:3 offset1:7
	v_mul_f32_e64 v8, v13, -v19
	ds_write2_b32 v26, v13, v8 offset0:3 offset1:7
.LBB15_6:
	s_or_b64 exec, exec, s[6:7]
	v_cmp_gt_u32_e64 s[6:7], 32, v0
	v_lshlrev_b32_e32 v8, 6, v0
	s_waitcnt lgkmcnt(0)
	s_barrier
	s_and_saveexec_b64 s[8:9], s[6:7]
	s_cbranch_execz .LBB15_8
; %bb.7:
	v_add_u32_e32 v9, 0x1000, v8
	v_add_u32_e32 v22, 0x800, v8
	ds_read2_b32 v[10:11], v9 offset1:8
	ds_read2_b32 v[12:13], v22 offset0:7 offset1:15
	v_add_u32_e32 v23, 0x2800, v8
	v_add_u32_e32 v25, 0x2000, v8
	ds_read2_b32 v[14:15], v23 offset0:7 offset1:15
	v_add_u32_e32 v27, 0x1800, v8
	s_waitcnt lgkmcnt(1)
	v_fma_f32 v18, -v11, v12, 1.0
	v_div_scale_f32 v19, s[10:11], v18, v18, 1.0
	v_rcp_f32_e32 v20, v19
	v_div_scale_f32 v21, vcc, 1.0, v18, 1.0
	v_fma_f32 v16, -v19, v20, 1.0
	v_fmac_f32_e32 v20, v16, v20
	v_mul_f32_e32 v24, v21, v20
	v_fma_f32 v16, -v19, v24, v21
	v_fmac_f32_e32 v24, v16, v20
	ds_read2_b32 v[16:17], v25 offset1:8
	v_fma_f32 v19, -v19, v24, v21
	v_div_fmas_f32 v19, v19, v20, v24
	v_div_fixup_f32 v24, v19, v18, 1.0
	ds_read2_b32 v[20:21], v27 offset0:7 offset1:15
	s_waitcnt lgkmcnt(1)
	v_fma_f32 v18, -v12, v17, v14
	v_mul_f32_e32 v26, v24, v18
	ds_read2_b32 v[18:19], v8 offset1:8
	v_fma_f32 v14, -v11, v14, v17
	v_mul_f32_e32 v14, v14, v24
	s_waitcnt lgkmcnt(1)
	v_mul_f32_e32 v11, v11, v20
	v_mul_f32_e64 v11, v11, -v24
	s_waitcnt lgkmcnt(0)
	v_fma_f32 v16, -v14, v18, v16
	ds_write2_b32 v25, v16, v14 offset1:8
	v_fma_f32 v14, -v21, v26, v15
	ds_write2_b32 v23, v26, v14 offset0:7 offset1:15
	v_mul_f32_e32 v12, v12, v19
	v_mul_f32_e32 v14, v24, v19
	v_fma_f32 v10, -v11, v18, v10
	v_mul_f32_e64 v12, v12, -v24
	ds_write2_b32 v9, v10, v11 offset1:8
	v_mul_f32_e64 v9, v14, -v18
	v_mul_f32_e32 v15, v24, v20
	ds_write2_b32 v8, v9, v14 offset1:8
	v_fma_f32 v9, -v12, v21, v13
	ds_write2_b32 v22, v12, v9 offset0:7 offset1:15
	v_mul_f32_e64 v9, v15, -v21
	ds_write2_b32 v27, v15, v9 offset0:7 offset1:15
.LBB15_8:
	;; [unrolled: 58-line block ×4, first 2 shown]
	s_or_b64 exec, exec, s[12:13]
	v_cmp_gt_u32_e64 s[12:13], 4, v0
	v_lshlrev_b32_e32 v11, 9, v0
	s_waitcnt lgkmcnt(0)
	s_barrier
	s_and_saveexec_b64 s[14:15], s[12:13]
	s_cbranch_execz .LBB15_14
; %bb.13:
	v_add_u32_e32 v24, 0xfc, v11
	ds_read2st64_b32 v[12:13], v24 offset0:8 offset1:9
	ds_read2st64_b32 v[14:15], v11 offset0:16 offset1:17
	;; [unrolled: 1-line block ×3, first 2 shown]
	ds_read2st64_b32 v[18:19], v11 offset1:1
	ds_read2st64_b32 v[20:21], v24 offset0:24 offset1:25
	ds_read2st64_b32 v[22:23], v24 offset0:40 offset1:41
	s_waitcnt lgkmcnt(4)
	v_fma_f32 v25, -v15, v12, 1.0
	v_div_scale_f32 v26, s[16:17], v25, v25, 1.0
	v_rcp_f32_e32 v27, v26
	s_nop 0
	v_fma_f32 v28, -v26, v27, 1.0
	v_fmac_f32_e32 v27, v28, v27
	v_div_scale_f32 v28, vcc, 1.0, v25, 1.0
	v_mul_f32_e32 v29, v28, v27
	v_fma_f32 v30, -v26, v29, v28
	v_fmac_f32_e32 v29, v30, v27
	v_fma_f32 v26, -v26, v29, v28
	v_div_fmas_f32 v26, v26, v27, v29
	v_div_fixup_f32 v25, v26, v25, 1.0
	s_waitcnt lgkmcnt(0)
	v_fma_f32 v26, -v12, v17, v22
	v_fma_f32 v17, -v15, v22, v17
	v_mul_f32_e32 v17, v17, v25
	v_mul_f32_e32 v26, v25, v26
	v_fma_f32 v16, -v17, v18, v16
	v_mul_f32_e32 v12, v12, v19
	v_mul_f32_e32 v15, v15, v20
	ds_write2st64_b32 v11, v16, v17 offset0:32 offset1:33
	v_fma_f32 v16, -v21, v26, v23
	v_mul_f32_e64 v12, v12, -v25
	v_mul_f32_e64 v15, v15, -v25
	ds_write2st64_b32 v24, v26, v16 offset0:40 offset1:41
	v_mul_f32_e32 v16, v25, v19
	v_mul_f32_e32 v17, v25, v20
	v_fma_f32 v14, -v15, v18, v14
	v_fma_f32 v13, -v12, v21, v13
	ds_write2st64_b32 v11, v14, v15 offset0:16 offset1:17
	v_mul_f32_e64 v14, v16, -v18
	ds_write2st64_b32 v24, v12, v13 offset0:8 offset1:9
	v_mul_f32_e64 v12, v17, -v21
	ds_write2st64_b32 v11, v14, v16 offset1:1
	ds_write2st64_b32 v24, v17, v12 offset0:24 offset1:25
.LBB15_14:
	s_or_b64 exec, exec, s[14:15]
	v_cmp_gt_u32_e64 s[14:15], 2, v0
	v_lshlrev_b32_e32 v12, 10, v0
	s_waitcnt lgkmcnt(0)
	s_barrier
	s_and_saveexec_b64 s[16:17], s[14:15]
	s_cbranch_execz .LBB15_16
; %bb.15:
	ds_read2st64_b32 v[14:15], v12 offset0:16 offset1:18
	v_add_u32_e32 v13, 0xfc, v12
	ds_read2st64_b32 v[16:17], v13 offset0:9 offset1:11
	ds_read2st64_b32 v[18:19], v12 offset0:32 offset1:34
	;; [unrolled: 1-line block ×3, first 2 shown]
	s_waitcnt lgkmcnt(2)
	v_fma_f32 v22, -v15, v16, 1.0
	v_div_scale_f32 v23, s[18:19], v22, v22, 1.0
	v_rcp_f32_e32 v24, v23
	v_div_scale_f32 v25, vcc, 1.0, v22, 1.0
	v_fma_f32 v26, -v23, v24, 1.0
	v_fmac_f32_e32 v24, v26, v24
	v_mul_f32_e32 v26, v25, v24
	v_fma_f32 v27, -v23, v26, v25
	v_fmac_f32_e32 v26, v27, v24
	v_fma_f32 v23, -v23, v26, v25
	v_div_fmas_f32 v23, v23, v24, v26
	v_div_fixup_f32 v26, v23, v22, 1.0
	s_waitcnt lgkmcnt(0)
	v_fma_f32 v24, -v16, v19, v20
	ds_read2st64_b32 v[22:23], v12 offset1:2
	v_mul_f32_e32 v27, v26, v24
	ds_read2st64_b32 v[24:25], v13 offset0:25 offset1:27
	v_fma_f32 v19, -v15, v20, v19
	v_mul_f32_e32 v19, v19, v26
	s_waitcnt lgkmcnt(1)
	v_fma_f32 v18, -v19, v22, v18
	ds_write2st64_b32 v12, v18, v19 offset0:32 offset1:34
	s_waitcnt lgkmcnt(1)
	v_mul_f32_e32 v15, v15, v24
	v_fma_f32 v18, -v25, v27, v21
	v_mul_f32_e64 v15, v15, -v26
	ds_write2st64_b32 v13, v27, v18 offset0:41 offset1:43
	v_mul_f32_e32 v16, v16, v23
	v_mul_f32_e32 v18, v26, v23
	v_fma_f32 v14, -v15, v22, v14
	v_mul_f32_e64 v16, v16, -v26
	ds_write2st64_b32 v12, v14, v15 offset0:16 offset1:18
	v_mul_f32_e64 v14, v18, -v22
	v_mul_f32_e32 v19, v26, v24
	ds_write2st64_b32 v12, v14, v18 offset1:2
	v_fma_f32 v14, -v16, v25, v17
	ds_write2st64_b32 v13, v16, v14 offset0:9 offset1:11
	v_mul_f32_e64 v14, v19, -v25
	ds_write2st64_b32 v13, v19, v14 offset0:25 offset1:27
.LBB15_16:
	s_or_b64 exec, exec, s[16:17]
	v_cmp_eq_u32_e32 vcc, 0, v0
	s_waitcnt lgkmcnt(0)
	s_barrier
	s_and_saveexec_b64 s[16:17], vcc
	s_cbranch_execz .LBB15_18
; %bb.17:
	v_mov_b32_e32 v13, 0
	v_mov_b32_e32 v20, 0x1ffc
	ds_read_b32 v21, v13 offset:5120
	ds_read2_b32 v[14:15], v20 offset1:1
	ds_read_b32 v22, v13 offset:7164
	ds_read_b32 v23, v13 offset:3068
	ds_read_b32 v25, v13 offset:9216
	s_waitcnt lgkmcnt(1)
	v_fma_f32 v18, -v21, v23, 1.0
	v_div_scale_f32 v19, s[18:19], v18, v18, 1.0
	v_rcp_f32_e32 v24, v19
	v_div_scale_f32 v26, vcc, 1.0, v18, 1.0
	s_movk_i32 s18, 0xfc
	v_fma_f32 v16, -v19, v24, 1.0
	v_fmac_f32_e32 v24, v16, v24
	v_mul_f32_e32 v27, v26, v24
	v_fma_f32 v16, -v19, v27, v26
	v_fmac_f32_e32 v27, v16, v24
	v_add_u32_e64 v28, s18, 0
	ds_read2st64_b32 v[16:17], v28 offset0:43 offset1:47
	v_fma_f32 v19, -v19, v27, v26
	v_div_fmas_f32 v19, v19, v24, v27
	v_div_fixup_f32 v24, v19, v18, 1.0
	ds_read2st64_b32 v[18:19], v13 offset1:4
	s_waitcnt lgkmcnt(1)
	v_fma_f32 v26, -v23, v25, v16
	v_fma_f32 v16, -v21, v16, v25
	v_mul_f32_e32 v26, v24, v26
	v_mul_f32_e32 v16, v16, v24
	ds_write_b32 v13, v16 offset:9216
	s_waitcnt lgkmcnt(1)
	v_fma_f32 v15, -v16, v18, v15
	v_fma_f32 v16, -v14, v26, v17
	ds_write2st64_b32 v28, v26, v16 offset0:43 offset1:47
	v_mul_f32_e32 v16, v23, v19
	v_mov_b32_e32 v25, 0xffc
	v_mul_f32_e64 v23, v16, -v24
	ds_read2_b32 v[16:17], v25 offset1:1
	v_mul_f32_e32 v21, v21, v22
	v_mul_f32_e32 v19, v24, v19
	v_mul_f32_e64 v21, v21, -v24
	v_mul_f32_e32 v22, v24, v22
	s_waitcnt lgkmcnt(0)
	v_fma_f32 v17, -v21, v18, v17
	v_mul_f32_e64 v18, v19, -v18
	ds_write_b32 v13, v23 offset:3068
	ds_write_b32 v13, v21 offset:5120
	;; [unrolled: 1-line block ×3, first 2 shown]
	ds_write2st64_b32 v13, v18, v19 offset1:4
	v_fma_f32 v13, -v23, v14, v16
	ds_write2_b32 v25, v13, v17 offset1:1
	v_mul_f32_e64 v13, v22, -v14
	ds_write2_b32 v20, v13, v15 offset1:1
.LBB15_18:
	s_or_b64 exec, exec, s[16:17]
	s_waitcnt lgkmcnt(0)
	s_barrier
	s_and_saveexec_b64 s[16:17], s[14:15]
	s_cbranch_execz .LBB15_20
; %bb.19:
	v_max_u32_e32 v13, 1, v10
	v_min_u32_e32 v14, 0xff, v10
	v_lshlrev_b32_e32 v13, 2, v13
	v_lshlrev_b32_e32 v14, 2, v14
	ds_read_b32 v15, v12 offset:10748
	ds_read_b32 v16, v12 offset:6652
	ds_read_b32 v17, v13 offset:10236
	ds_read_b32 v18, v12 offset:2556
	ds_read_b32 v19, v14 offset:9216
	s_waitcnt lgkmcnt(2)
	v_fma_f32 v15, -v16, v17, v15
	s_waitcnt lgkmcnt(0)
	v_fma_f32 v15, -v18, v19, v15
	ds_write_b32 v12, v15 offset:10748
	ds_read_b32 v15, v12 offset:8704
	ds_read_b32 v16, v12 offset:4608
	ds_read_b32 v13, v13 offset:10236
	ds_read_b32 v17, v12 offset:512
	s_waitcnt lgkmcnt(1)
	v_fma_f32 v13, -v16, v13, v15
	ds_write_b32 v12, v13 offset:8704
	ds_read_b32 v14, v14 offset:9216
	s_waitcnt lgkmcnt(0)
	v_fma_f32 v13, -v17, v14, v13
	ds_write_b32 v12, v13 offset:8704
.LBB15_20:
	s_or_b64 exec, exec, s[16:17]
	s_waitcnt lgkmcnt(0)
	s_barrier
	s_and_saveexec_b64 s[14:15], s[12:13]
	s_cbranch_execz .LBB15_22
; %bb.21:
	v_max_u32_e32 v12, 1, v9
	v_min_u32_e32 v13, 0x17f, v9
	v_lshlrev_b32_e32 v12, 2, v12
	v_lshlrev_b32_e32 v13, 2, v13
	ds_read_b32 v14, v11 offset:10492
	ds_read_b32 v15, v11 offset:6396
	ds_read_b32 v16, v12 offset:10236
	ds_read_b32 v17, v11 offset:2300
	ds_read_b32 v18, v13 offset:8704
	s_waitcnt lgkmcnt(2)
	v_fma_f32 v14, -v15, v16, v14
	s_waitcnt lgkmcnt(0)
	v_fma_f32 v14, -v17, v18, v14
	ds_write_b32 v11, v14 offset:10492
	ds_read_b32 v14, v11 offset:8448
	ds_read_b32 v15, v11 offset:4352
	ds_read_b32 v12, v12 offset:10236
	ds_read_b32 v16, v11 offset:256
	s_waitcnt lgkmcnt(1)
	v_fma_f32 v12, -v15, v12, v14
	ds_write_b32 v11, v12 offset:8448
	ds_read_b32 v13, v13 offset:8704
	s_waitcnt lgkmcnt(0)
	v_fma_f32 v12, -v16, v13, v12
	ds_write_b32 v11, v12 offset:8448
.LBB15_22:
	;; [unrolled: 32-line block ×4, first 2 shown]
	s_or_b64 exec, exec, s[10:11]
	v_lshlrev_b32_e32 v9, 4, v0
	s_waitcnt lgkmcnt(0)
	s_barrier
	s_and_saveexec_b64 s[8:9], s[6:7]
	s_cbranch_execz .LBB15_28
; %bb.27:
	v_max_u32_e32 v10, 1, v9
	v_min_u32_e32 v11, 0x1ef, v9
	v_lshlrev_b32_e32 v10, 2, v10
	v_lshlrev_b32_e32 v11, 2, v11
	ds_read_b32 v12, v8 offset:10268
	ds_read_b32 v13, v8 offset:6172
	;; [unrolled: 1-line block ×5, first 2 shown]
	s_waitcnt lgkmcnt(2)
	v_fma_f32 v12, -v13, v14, v12
	s_waitcnt lgkmcnt(0)
	v_fma_f32 v12, -v15, v16, v12
	ds_write_b32 v8, v12 offset:10268
	ds_read_b32 v12, v8 offset:8224
	ds_read_b32 v13, v8 offset:4128
	;; [unrolled: 1-line block ×4, first 2 shown]
	s_waitcnt lgkmcnt(1)
	v_fma_f32 v10, -v13, v10, v12
	ds_write_b32 v8, v10 offset:8224
	ds_read_b32 v11, v11 offset:8256
	s_waitcnt lgkmcnt(0)
	v_fma_f32 v10, -v14, v11, v10
	ds_write_b32 v8, v10 offset:8224
.LBB15_28:
	s_or_b64 exec, exec, s[8:9]
	v_lshlrev_b32_e32 v8, 3, v0
	s_waitcnt lgkmcnt(0)
	s_barrier
	s_and_saveexec_b64 s[6:7], s[4:5]
	s_cbranch_execz .LBB15_30
; %bb.29:
	v_max_u32_e32 v10, 1, v8
	v_min_u32_e32 v11, 0x1f7, v8
	v_lshlrev_b32_e32 v10, 2, v10
	v_lshlrev_b32_e32 v11, 2, v11
	ds_read_b32 v12, v7 offset:10252
	ds_read_b32 v13, v7 offset:6156
	;; [unrolled: 1-line block ×5, first 2 shown]
	s_waitcnt lgkmcnt(2)
	v_fma_f32 v12, -v13, v14, v12
	s_waitcnt lgkmcnt(0)
	v_fma_f32 v12, -v15, v16, v12
	ds_write_b32 v7, v12 offset:10252
	ds_read_b32 v12, v7 offset:8208
	ds_read_b32 v13, v7 offset:4112
	;; [unrolled: 1-line block ×4, first 2 shown]
	s_waitcnt lgkmcnt(1)
	v_fma_f32 v10, -v13, v10, v12
	ds_write_b32 v7, v10 offset:8208
	ds_read_b32 v11, v11 offset:8224
	s_waitcnt lgkmcnt(0)
	v_fma_f32 v10, -v14, v11, v10
	ds_write_b32 v7, v10 offset:8208
.LBB15_30:
	s_or_b64 exec, exec, s[6:7]
	s_waitcnt lgkmcnt(0)
	s_barrier
	s_and_saveexec_b64 s[4:5], s[2:3]
	s_cbranch_execz .LBB15_32
; %bb.31:
	v_max_u32_e32 v7, 1, v6
	v_min_u32_e32 v6, 0x1fb, v6
	v_lshlrev_b32_e32 v7, 2, v7
	v_lshlrev_b32_e32 v6, 2, v6
	ds_read_b32 v10, v9 offset:10244
	ds_read_b32 v11, v9 offset:6148
	ds_read_b32 v12, v7 offset:10236
	ds_read_b32 v13, v9 offset:2052
	ds_read_b32 v14, v6 offset:8208
	s_waitcnt lgkmcnt(2)
	v_fma_f32 v10, -v11, v12, v10
	s_waitcnt lgkmcnt(0)
	v_fma_f32 v10, -v13, v14, v10
	ds_write_b32 v9, v10 offset:10244
	ds_read_b32 v10, v9 offset:8200
	ds_read_b32 v11, v9 offset:4104
	;; [unrolled: 1-line block ×4, first 2 shown]
	s_waitcnt lgkmcnt(1)
	v_fma_f32 v7, -v11, v7, v10
	ds_write_b32 v9, v7 offset:8200
	ds_read_b32 v6, v6 offset:8208
	s_waitcnt lgkmcnt(0)
	v_fma_f32 v6, -v12, v6, v7
	ds_write_b32 v9, v6 offset:8200
.LBB15_32:
	s_or_b64 exec, exec, s[4:5]
	s_waitcnt lgkmcnt(0)
	s_barrier
	s_and_saveexec_b64 s[2:3], s[0:1]
	s_cbranch_execz .LBB15_34
; %bb.33:
	v_lshlrev_b32_e32 v0, 1, v0
	v_max_u32_e32 v6, 1, v0
	v_min_u32_e32 v0, 0x1fd, v0
	v_lshlrev_b32_e32 v6, 2, v6
	v_lshlrev_b32_e32 v0, 2, v0
	ds_read_b32 v7, v8 offset:10240
	ds_read_b32 v9, v8 offset:6144
	;; [unrolled: 1-line block ×5, first 2 shown]
	s_waitcnt lgkmcnt(2)
	v_fma_f32 v7, -v9, v10, v7
	s_waitcnt lgkmcnt(0)
	v_fma_f32 v7, -v11, v12, v7
	ds_write_b32 v8, v7 offset:10240
	ds_read_b32 v7, v8 offset:8196
	ds_read_b32 v9, v8 offset:4100
	;; [unrolled: 1-line block ×4, first 2 shown]
	s_waitcnt lgkmcnt(1)
	v_fma_f32 v6, -v9, v6, v7
	ds_write_b32 v8, v6 offset:8196
	ds_read_b32 v0, v0 offset:8200
	s_waitcnt lgkmcnt(0)
	v_fma_f32 v0, -v10, v0, v6
	ds_write_b32 v8, v0 offset:8196
.LBB15_34:
	s_or_b64 exec, exec, s[2:3]
	s_waitcnt lgkmcnt(0)
	s_barrier
	ds_read2st64_b32 v[0:1], v1 offset1:8
	s_waitcnt lgkmcnt(0)
	global_store_dword v[2:3], v0, off
	global_store_dword v[4:5], v1, off
	s_endpgm
	.section	.rodata,"a",@progbits
	.p2align	6, 0x0
	.amdhsa_kernel _ZN9rocsparseL34gtsv_solve_spike_grid_level_kernelILj512EfEEviiiPT0_PKS1_S4_
		.amdhsa_group_segment_fixed_size 12288
		.amdhsa_private_segment_fixed_size 0
		.amdhsa_kernarg_size 40
		.amdhsa_user_sgpr_count 2
		.amdhsa_user_sgpr_dispatch_ptr 0
		.amdhsa_user_sgpr_queue_ptr 0
		.amdhsa_user_sgpr_kernarg_segment_ptr 1
		.amdhsa_user_sgpr_dispatch_id 0
		.amdhsa_user_sgpr_kernarg_preload_length 0
		.amdhsa_user_sgpr_kernarg_preload_offset 0
		.amdhsa_user_sgpr_private_segment_size 0
		.amdhsa_uses_dynamic_stack 0
		.amdhsa_enable_private_segment 0
		.amdhsa_system_sgpr_workgroup_id_x 1
		.amdhsa_system_sgpr_workgroup_id_y 1
		.amdhsa_system_sgpr_workgroup_id_z 0
		.amdhsa_system_sgpr_workgroup_info 0
		.amdhsa_system_vgpr_workitem_id 0
		.amdhsa_next_free_vgpr 31
		.amdhsa_next_free_sgpr 20
		.amdhsa_accum_offset 32
		.amdhsa_reserve_vcc 1
		.amdhsa_float_round_mode_32 0
		.amdhsa_float_round_mode_16_64 0
		.amdhsa_float_denorm_mode_32 3
		.amdhsa_float_denorm_mode_16_64 3
		.amdhsa_dx10_clamp 1
		.amdhsa_ieee_mode 1
		.amdhsa_fp16_overflow 0
		.amdhsa_tg_split 0
		.amdhsa_exception_fp_ieee_invalid_op 0
		.amdhsa_exception_fp_denorm_src 0
		.amdhsa_exception_fp_ieee_div_zero 0
		.amdhsa_exception_fp_ieee_overflow 0
		.amdhsa_exception_fp_ieee_underflow 0
		.amdhsa_exception_fp_ieee_inexact 0
		.amdhsa_exception_int_div_zero 0
	.end_amdhsa_kernel
	.section	.text._ZN9rocsparseL34gtsv_solve_spike_grid_level_kernelILj512EfEEviiiPT0_PKS1_S4_,"axG",@progbits,_ZN9rocsparseL34gtsv_solve_spike_grid_level_kernelILj512EfEEviiiPT0_PKS1_S4_,comdat
.Lfunc_end15:
	.size	_ZN9rocsparseL34gtsv_solve_spike_grid_level_kernelILj512EfEEviiiPT0_PKS1_S4_, .Lfunc_end15-_ZN9rocsparseL34gtsv_solve_spike_grid_level_kernelILj512EfEEviiiPT0_PKS1_S4_
                                        ; -- End function
	.set _ZN9rocsparseL34gtsv_solve_spike_grid_level_kernelILj512EfEEviiiPT0_PKS1_S4_.num_vgpr, 31
	.set _ZN9rocsparseL34gtsv_solve_spike_grid_level_kernelILj512EfEEviiiPT0_PKS1_S4_.num_agpr, 0
	.set _ZN9rocsparseL34gtsv_solve_spike_grid_level_kernelILj512EfEEviiiPT0_PKS1_S4_.numbered_sgpr, 20
	.set _ZN9rocsparseL34gtsv_solve_spike_grid_level_kernelILj512EfEEviiiPT0_PKS1_S4_.num_named_barrier, 0
	.set _ZN9rocsparseL34gtsv_solve_spike_grid_level_kernelILj512EfEEviiiPT0_PKS1_S4_.private_seg_size, 0
	.set _ZN9rocsparseL34gtsv_solve_spike_grid_level_kernelILj512EfEEviiiPT0_PKS1_S4_.uses_vcc, 1
	.set _ZN9rocsparseL34gtsv_solve_spike_grid_level_kernelILj512EfEEviiiPT0_PKS1_S4_.uses_flat_scratch, 0
	.set _ZN9rocsparseL34gtsv_solve_spike_grid_level_kernelILj512EfEEviiiPT0_PKS1_S4_.has_dyn_sized_stack, 0
	.set _ZN9rocsparseL34gtsv_solve_spike_grid_level_kernelILj512EfEEviiiPT0_PKS1_S4_.has_recursion, 0
	.set _ZN9rocsparseL34gtsv_solve_spike_grid_level_kernelILj512EfEEviiiPT0_PKS1_S4_.has_indirect_call, 0
	.section	.AMDGPU.csdata,"",@progbits
; Kernel info:
; codeLenInByte = 4932
; TotalNumSgprs: 26
; NumVgprs: 31
; NumAgprs: 0
; TotalNumVgprs: 31
; ScratchSize: 0
; MemoryBound: 0
; FloatMode: 240
; IeeeMode: 1
; LDSByteSize: 12288 bytes/workgroup (compile time only)
; SGPRBlocks: 3
; VGPRBlocks: 3
; NumSGPRsForWavesPerEU: 26
; NumVGPRsForWavesPerEU: 31
; AccumOffset: 32
; Occupancy: 8
; WaveLimiterHint : 1
; COMPUTE_PGM_RSRC2:SCRATCH_EN: 0
; COMPUTE_PGM_RSRC2:USER_SGPR: 2
; COMPUTE_PGM_RSRC2:TRAP_HANDLER: 0
; COMPUTE_PGM_RSRC2:TGID_X_EN: 1
; COMPUTE_PGM_RSRC2:TGID_Y_EN: 1
; COMPUTE_PGM_RSRC2:TGID_Z_EN: 0
; COMPUTE_PGM_RSRC2:TIDIG_COMP_CNT: 0
; COMPUTE_PGM_RSRC3_GFX90A:ACCUM_OFFSET: 7
; COMPUTE_PGM_RSRC3_GFX90A:TG_SPLIT: 0
	.section	.text._ZN9rocsparseL33gtsv_solve_spike_propagate_kernelILj256ELj2EfEEviiiPT1_PKS1_S4_S4_,"axG",@progbits,_ZN9rocsparseL33gtsv_solve_spike_propagate_kernelILj256ELj2EfEEviiiPT1_PKS1_S4_S4_,comdat
	.globl	_ZN9rocsparseL33gtsv_solve_spike_propagate_kernelILj256ELj2EfEEviiiPT1_PKS1_S4_S4_ ; -- Begin function _ZN9rocsparseL33gtsv_solve_spike_propagate_kernelILj256ELj2EfEEviiiPT1_PKS1_S4_S4_
	.p2align	8
	.type	_ZN9rocsparseL33gtsv_solve_spike_propagate_kernelILj256ELj2EfEEviiiPT1_PKS1_S4_S4_,@function
_ZN9rocsparseL33gtsv_solve_spike_propagate_kernelILj256ELj2EfEEviiiPT1_PKS1_S4_S4_: ; @_ZN9rocsparseL33gtsv_solve_spike_propagate_kernelILj256ELj2EfEEviiiPT1_PKS1_S4_S4_
; %bb.0:
	s_load_dword s8, s[0:1], 0x0
	v_lshl_or_b32 v2, s2, 8, v0
	v_mov_b32_e32 v5, 0
	v_ashrrev_i32_e32 v3, 31, v2
	v_mov_b32_e32 v6, 0
	s_waitcnt lgkmcnt(0)
	s_lshr_b32 s12, s8, 1
	v_cmp_le_i32_e64 s[4:5], s12, v2
	v_cmp_gt_i32_e32 vcc, s12, v2
	v_add_u32_e32 v4, s12, v2
	s_and_saveexec_b64 s[6:7], vcc
	s_cbranch_execz .LBB16_2
; %bb.1:
	s_load_dwordx2 s[10:11], s[0:1], 0x18
	v_mov_b32_e32 v5, 0
	s_waitcnt lgkmcnt(0)
	v_lshl_add_u64 v[8:9], v[2:3], 2, s[10:11]
	v_lshl_add_u64 v[10:11], v[4:5], 2, s[10:11]
	global_load_dword v5, v[8:9], off
	global_load_dword v6, v[10:11], off
.LBB16_2:
	s_or_b64 exec, exec, s[6:7]
	s_load_dwordx2 s[6:7], s[0:1], 0x10
	v_lshlrev_b32_e32 v1, 2, v0
	v_add_u32_e32 v7, 16, v1
	s_waitcnt vmcnt(0)
	ds_write2st64_b32 v7, v5, v6 offset0:16 offset1:20
	s_and_saveexec_b64 s[10:11], s[4:5]
	s_xor_b64 s[4:5], exec, s[10:11]
; %bb.3:
	v_mov_b32_e32 v3, 0
	ds_write2st64_b32 v7, v3, v3 offset0:8 offset1:12
                                        ; implicit-def: $vgpr4
; %bb.4:
	s_or_saveexec_b64 s[4:5], s[4:5]
	v_mov_b32_e32 v6, 0
	s_mul_i32 s8, s8, s3
	v_mov_b32_e32 v5, 0
	s_xor_b64 exec, exec, s[4:5]
	s_cbranch_execz .LBB16_6
; %bb.5:
	s_load_dwordx2 s[10:11], s[0:1], 0x20
	v_mov_b32_e32 v5, 0
	s_waitcnt lgkmcnt(0)
	v_lshl_add_u64 v[10:11], v[4:5], 2, s[10:11]
	v_add_u32_e32 v4, s8, v4
	v_lshl_add_u64 v[8:9], v[2:3], 2, s[10:11]
	v_lshl_add_u64 v[4:5], v[4:5], 2, s[6:7]
	global_load_dword v3, v[8:9], off
	global_load_dword v7, v[10:11], off
	s_nop 0
	global_load_dword v5, v[4:5], off
	v_add_u32_e32 v4, 16, v1
	s_waitcnt vmcnt(1)
	ds_write2st64_b32 v4, v3, v7 offset0:8 offset1:12
.LBB16_6:
	s_or_b64 exec, exec, s[4:5]
	v_add_u32_e32 v2, s8, v2
	s_waitcnt vmcnt(0)
	ds_write_b32 v1, v5 offset:4
	s_and_saveexec_b64 s[4:5], vcc
	s_cbranch_execz .LBB16_8
; %bb.7:
	v_ashrrev_i32_e32 v3, 31, v2
	s_waitcnt lgkmcnt(0)
	v_lshl_add_u64 v[4:5], v[2:3], 2, s[6:7]
	global_load_dword v6, v[4:5], off
.LBB16_8:
	s_or_b64 exec, exec, s[4:5]
	s_mov_b32 s14, 0
	v_cmp_eq_u32_e64 s[4:5], 0, v0
	s_waitcnt vmcnt(0)
	ds_write_b32 v1, v6 offset:1028
	s_waitcnt lgkmcnt(0)
	s_barrier
	s_and_saveexec_b64 s[8:9], s[4:5]
	s_cbranch_execz .LBB16_14
; %bb.9:
	s_load_dword s13, s[0:1], 0x30
	s_load_dwordx2 s[10:11], s[0:1], 0x28
	s_cmp_lt_i32 s2, 1
	s_waitcnt lgkmcnt(0)
	s_mul_i32 s3, s3, s13
	s_cbranch_scc1 .LBB16_11
; %bb.10:
	s_lshl_b32 s0, s3, 1
	s_add_i32 s1, s2, s13
	s_add_i32 s0, s1, s0
	s_add_i32 s0, s0, -1
	s_mov_b32 s1, 0
	s_lshl_b64 s[0:1], s[0:1], 2
	s_add_u32 s0, s10, s0
	s_addc_u32 s1, s11, s1
	s_load_dword s14, s[0:1], 0x0
.LBB16_11:
	s_add_i32 s0, s13, -1
	v_mov_b32_e32 v3, 0
	s_waitcnt lgkmcnt(0)
	v_mov_b32_e32 v4, s14
	s_mov_b32 s1, 0
	s_cmp_ge_u32 s2, s0
	s_mov_b32 s14, 0
	ds_write_b32 v3, v4
	s_cbranch_scc1 .LBB16_13
; %bb.12:
	s_lshl_b32 s0, s3, 1
	s_add_i32 s0, s2, s0
	s_add_i32 s14, s0, 1
	s_mov_b32 s15, 0
	s_lshl_b64 s[14:15], s[14:15], 2
	s_add_u32 s14, s10, s14
	s_addc_u32 s15, s11, s15
	s_load_dword s14, s[14:15], 0x0
.LBB16_13:
	s_lshl_b32 s0, s3, 1
	s_add_i32 s0, s0, s2
	s_lshl_b64 s[2:3], s[0:1], 2
	s_add_u32 s2, s10, s2
	s_addc_u32 s3, s11, s3
	s_add_i32 s0, s0, s13
	s_lshl_b64 s[0:1], s[0:1], 2
	s_add_u32 s0, s10, s0
	s_addc_u32 s1, s11, s1
	s_load_dword s10, s[0:1], 0x0
	s_load_dword s11, s[2:3], 0x0
	s_waitcnt lgkmcnt(0)
	v_mov_b32_e32 v4, s14
	ds_write_b32 v3, v4 offset:2052
	v_mov_b32_e32 v4, s10
	v_mov_b32_e32 v5, s11
	ds_write_b64 v3, v[4:5] offset:1024
.LBB16_14:
	s_or_b64 exec, exec, s[8:9]
	s_waitcnt lgkmcnt(0)
	s_barrier
	s_and_saveexec_b64 s[0:1], s[4:5]
	s_cbranch_execz .LBB16_16
; %bb.15:
	s_movk_i32 s2, 0xa10
	v_mov_b32_e32 v3, 0
	v_add_u32_e64 v6, s2, 0
	v_add_u32_e64 v8, 4, 0
	s_movk_i32 s2, 0x1210
	ds_read2st64_b32 v[4:5], v3 offset1:2
	ds_read2_b32 v[6:7], v6 offset1:255
	ds_read2st64_b32 v[8:9], v8 offset0:6 offset1:8
	v_add_u32_e64 v10, s2, 0
	ds_read2_b32 v[10:11], v10 offset1:255
	s_waitcnt lgkmcnt(1)
	v_fma_f32 v5, -v7, v9, v5
	s_waitcnt lgkmcnt(0)
	v_fma_f32 v5, -v11, v4, v5
	ds_write_b32 v3, v5 offset:512
	v_fma_f32 v5, -v6, v9, v8
	v_fma_f32 v4, -v10, v4, v5
	ds_write_b32 v3, v4 offset:1540
.LBB16_16:
	s_or_b64 exec, exec, s[0:1]
	v_cmp_gt_u32_e64 s[0:1], 2, v0
	s_waitcnt lgkmcnt(0)
	s_barrier
	s_and_saveexec_b64 s[2:3], s[0:1]
	s_cbranch_execz .LBB16_18
; %bb.17:
	s_movk_i32 s0, 0x1fc
	v_mad_u32_u24 v3, v0, s0, v1
	v_lshlrev_b32_e32 v10, 9, v0
	v_add_u32_e32 v6, 0x910, v10
	v_add_u32_e32 v8, 4, v3
	ds_read2st64_b32 v[4:5], v3 offset1:1
	ds_read2_b32 v[6:7], v6 offset1:255
	ds_read2st64_b32 v[8:9], v8 offset0:5 offset1:6
	v_add_u32_e32 v10, 0x1110, v10
	ds_read2_b32 v[10:11], v10 offset1:255
	s_waitcnt lgkmcnt(1)
	v_fma_f32 v5, -v7, v9, v5
	s_waitcnt lgkmcnt(0)
	v_fma_f32 v5, -v11, v4, v5
	ds_write_b32 v3, v5 offset:256
	v_fma_f32 v5, -v6, v9, v8
	v_fma_f32 v4, -v10, v4, v5
	ds_write_b32 v3, v4 offset:1284
.LBB16_18:
	s_or_b64 exec, exec, s[2:3]
	v_cmp_gt_u32_e64 s[0:1], 4, v0
	s_waitcnt lgkmcnt(0)
	s_barrier
	s_and_saveexec_b64 s[2:3], s[0:1]
	s_cbranch_execz .LBB16_20
; %bb.19:
	v_lshlrev_b32_e32 v3, 8, v0
	v_add_u32_e32 v6, 0x890, v3
	v_add_u32_e32 v8, 0x400, v3
	ds_read2_b32 v[4:5], v3 offset1:32
	ds_read2_b32 v[6:7], v6 offset1:255
	ds_read2_b32 v[8:9], v8 offset0:33 offset1:65
	v_add_u32_e32 v10, 0x1090, v3
	ds_read2_b32 v[10:11], v10 offset1:255
	s_waitcnt lgkmcnt(1)
	v_fma_f32 v5, -v7, v9, v5
	s_waitcnt lgkmcnt(0)
	v_fma_f32 v5, -v11, v4, v5
	ds_write_b32 v3, v5 offset:128
	v_fma_f32 v5, -v6, v9, v8
	v_fma_f32 v4, -v10, v4, v5
	ds_write_b32 v3, v4 offset:1156
.LBB16_20:
	s_or_b64 exec, exec, s[2:3]
	v_cmp_gt_u32_e64 s[0:1], 8, v0
	s_waitcnt lgkmcnt(0)
	s_barrier
	s_and_saveexec_b64 s[2:3], s[0:1]
	s_cbranch_execz .LBB16_22
; %bb.21:
	v_lshlrev_b32_e32 v3, 7, v0
	v_add_u32_e32 v6, 0x850, v3
	v_add_u32_e32 v8, 0x400, v3
	ds_read2_b32 v[4:5], v3 offset1:16
	ds_read2_b32 v[6:7], v6 offset1:255
	ds_read2_b32 v[8:9], v8 offset0:17 offset1:33
	v_add_u32_e32 v10, 0x1050, v3
	ds_read2_b32 v[10:11], v10 offset1:255
	s_waitcnt lgkmcnt(1)
	v_fma_f32 v5, -v7, v9, v5
	s_waitcnt lgkmcnt(0)
	v_fma_f32 v5, -v11, v4, v5
	ds_write_b32 v3, v5 offset:64
	v_fma_f32 v5, -v6, v9, v8
	v_fma_f32 v4, -v10, v4, v5
	ds_write_b32 v3, v4 offset:1092
.LBB16_22:
	;; [unrolled: 24-line block ×5, first 2 shown]
	s_or_b64 exec, exec, s[2:3]
	s_movk_i32 s0, 0x80
	v_cmp_gt_u32_e64 s[0:1], s0, v0
	s_waitcnt lgkmcnt(0)
	s_barrier
	s_and_saveexec_b64 s[2:3], s[0:1]
	s_cbranch_execz .LBB16_30
; %bb.29:
	v_lshlrev_b32_e32 v0, 3, v0
	v_add_u32_e32 v3, 0x814, v0
	ds_read2_b64 v[4:7], v0 offset1:129
	ds_read2_b32 v[8:9], v3 offset1:255
	v_add_u32_e32 v3, 0x1014, v0
	ds_read2_b32 v[10:11], v3 offset1:255
	s_waitcnt lgkmcnt(1)
	v_fma_f32 v3, -v9, v7, v5
	v_fma_f32 v5, -v8, v7, v6
	s_waitcnt lgkmcnt(0)
	v_fma_f32 v3, -v11, v4, v3
	ds_write_b32 v0, v3 offset:4
	v_fma_f32 v3, -v10, v4, v5
	ds_write_b32 v0, v3 offset:1032
.LBB16_30:
	s_or_b64 exec, exec, s[2:3]
	s_waitcnt lgkmcnt(0)
	s_barrier
	s_and_saveexec_b64 s[0:1], vcc
	s_cbranch_execz .LBB16_32
; %bb.31:
	v_add_u32_e32 v0, 4, v1
	ds_read2st64_b32 v[0:1], v0 offset1:4
	v_ashrrev_i32_e32 v3, 31, v2
	v_add_u32_e32 v4, s12, v2
	v_mov_b32_e32 v5, 0
	v_lshl_add_u64 v[2:3], v[2:3], 2, s[6:7]
	s_waitcnt lgkmcnt(0)
	global_store_dword v[2:3], v1, off
	v_lshl_add_u64 v[2:3], v[4:5], 2, s[6:7]
	global_store_dword v[2:3], v0, off
.LBB16_32:
	s_endpgm
	.section	.rodata,"a",@progbits
	.p2align	6, 0x0
	.amdhsa_kernel _ZN9rocsparseL33gtsv_solve_spike_propagate_kernelILj256ELj2EfEEviiiPT1_PKS1_S4_S4_
		.amdhsa_group_segment_fixed_size 6160
		.amdhsa_private_segment_fixed_size 0
		.amdhsa_kernarg_size 304
		.amdhsa_user_sgpr_count 2
		.amdhsa_user_sgpr_dispatch_ptr 0
		.amdhsa_user_sgpr_queue_ptr 0
		.amdhsa_user_sgpr_kernarg_segment_ptr 1
		.amdhsa_user_sgpr_dispatch_id 0
		.amdhsa_user_sgpr_kernarg_preload_length 0
		.amdhsa_user_sgpr_kernarg_preload_offset 0
		.amdhsa_user_sgpr_private_segment_size 0
		.amdhsa_uses_dynamic_stack 0
		.amdhsa_enable_private_segment 0
		.amdhsa_system_sgpr_workgroup_id_x 1
		.amdhsa_system_sgpr_workgroup_id_y 1
		.amdhsa_system_sgpr_workgroup_id_z 0
		.amdhsa_system_sgpr_workgroup_info 0
		.amdhsa_system_vgpr_workitem_id 0
		.amdhsa_next_free_vgpr 12
		.amdhsa_next_free_sgpr 16
		.amdhsa_accum_offset 12
		.amdhsa_reserve_vcc 1
		.amdhsa_float_round_mode_32 0
		.amdhsa_float_round_mode_16_64 0
		.amdhsa_float_denorm_mode_32 3
		.amdhsa_float_denorm_mode_16_64 3
		.amdhsa_dx10_clamp 1
		.amdhsa_ieee_mode 1
		.amdhsa_fp16_overflow 0
		.amdhsa_tg_split 0
		.amdhsa_exception_fp_ieee_invalid_op 0
		.amdhsa_exception_fp_denorm_src 0
		.amdhsa_exception_fp_ieee_div_zero 0
		.amdhsa_exception_fp_ieee_overflow 0
		.amdhsa_exception_fp_ieee_underflow 0
		.amdhsa_exception_fp_ieee_inexact 0
		.amdhsa_exception_int_div_zero 0
	.end_amdhsa_kernel
	.section	.text._ZN9rocsparseL33gtsv_solve_spike_propagate_kernelILj256ELj2EfEEviiiPT1_PKS1_S4_S4_,"axG",@progbits,_ZN9rocsparseL33gtsv_solve_spike_propagate_kernelILj256ELj2EfEEviiiPT1_PKS1_S4_S4_,comdat
.Lfunc_end16:
	.size	_ZN9rocsparseL33gtsv_solve_spike_propagate_kernelILj256ELj2EfEEviiiPT1_PKS1_S4_S4_, .Lfunc_end16-_ZN9rocsparseL33gtsv_solve_spike_propagate_kernelILj256ELj2EfEEviiiPT1_PKS1_S4_S4_
                                        ; -- End function
	.set _ZN9rocsparseL33gtsv_solve_spike_propagate_kernelILj256ELj2EfEEviiiPT1_PKS1_S4_S4_.num_vgpr, 12
	.set _ZN9rocsparseL33gtsv_solve_spike_propagate_kernelILj256ELj2EfEEviiiPT1_PKS1_S4_S4_.num_agpr, 0
	.set _ZN9rocsparseL33gtsv_solve_spike_propagate_kernelILj256ELj2EfEEviiiPT1_PKS1_S4_S4_.numbered_sgpr, 16
	.set _ZN9rocsparseL33gtsv_solve_spike_propagate_kernelILj256ELj2EfEEviiiPT1_PKS1_S4_S4_.num_named_barrier, 0
	.set _ZN9rocsparseL33gtsv_solve_spike_propagate_kernelILj256ELj2EfEEviiiPT1_PKS1_S4_S4_.private_seg_size, 0
	.set _ZN9rocsparseL33gtsv_solve_spike_propagate_kernelILj256ELj2EfEEviiiPT1_PKS1_S4_S4_.uses_vcc, 1
	.set _ZN9rocsparseL33gtsv_solve_spike_propagate_kernelILj256ELj2EfEEviiiPT1_PKS1_S4_S4_.uses_flat_scratch, 0
	.set _ZN9rocsparseL33gtsv_solve_spike_propagate_kernelILj256ELj2EfEEviiiPT1_PKS1_S4_S4_.has_dyn_sized_stack, 0
	.set _ZN9rocsparseL33gtsv_solve_spike_propagate_kernelILj256ELj2EfEEviiiPT1_PKS1_S4_S4_.has_recursion, 0
	.set _ZN9rocsparseL33gtsv_solve_spike_propagate_kernelILj256ELj2EfEEviiiPT1_PKS1_S4_S4_.has_indirect_call, 0
	.section	.AMDGPU.csdata,"",@progbits
; Kernel info:
; codeLenInByte = 1832
; TotalNumSgprs: 22
; NumVgprs: 12
; NumAgprs: 0
; TotalNumVgprs: 12
; ScratchSize: 0
; MemoryBound: 0
; FloatMode: 240
; IeeeMode: 1
; LDSByteSize: 6160 bytes/workgroup (compile time only)
; SGPRBlocks: 2
; VGPRBlocks: 1
; NumSGPRsForWavesPerEU: 22
; NumVGPRsForWavesPerEU: 12
; AccumOffset: 12
; Occupancy: 8
; WaveLimiterHint : 0
; COMPUTE_PGM_RSRC2:SCRATCH_EN: 0
; COMPUTE_PGM_RSRC2:USER_SGPR: 2
; COMPUTE_PGM_RSRC2:TRAP_HANDLER: 0
; COMPUTE_PGM_RSRC2:TGID_X_EN: 1
; COMPUTE_PGM_RSRC2:TGID_Y_EN: 1
; COMPUTE_PGM_RSRC2:TGID_Z_EN: 0
; COMPUTE_PGM_RSRC2:TIDIG_COMP_CNT: 0
; COMPUTE_PGM_RSRC3_GFX90A:ACCUM_OFFSET: 2
; COMPUTE_PGM_RSRC3_GFX90A:TG_SPLIT: 0
	.section	.text._ZN9rocsparseL39gtsv_spike_backward_substitution_kernelILj256ELj2EfEEviiiPT1_PKS1_S4_,"axG",@progbits,_ZN9rocsparseL39gtsv_spike_backward_substitution_kernelILj256ELj2EfEEviiiPT1_PKS1_S4_,comdat
	.globl	_ZN9rocsparseL39gtsv_spike_backward_substitution_kernelILj256ELj2EfEEviiiPT1_PKS1_S4_ ; -- Begin function _ZN9rocsparseL39gtsv_spike_backward_substitution_kernelILj256ELj2EfEEviiiPT1_PKS1_S4_
	.p2align	8
	.type	_ZN9rocsparseL39gtsv_spike_backward_substitution_kernelILj256ELj2EfEEviiiPT1_PKS1_S4_,@function
_ZN9rocsparseL39gtsv_spike_backward_substitution_kernelILj256ELj2EfEEviiiPT1_PKS1_S4_: ; @_ZN9rocsparseL39gtsv_spike_backward_substitution_kernelILj256ELj2EfEEviiiPT1_PKS1_S4_
; %bb.0:
	s_endpgm
	.section	.rodata,"a",@progbits
	.p2align	6, 0x0
	.amdhsa_kernel _ZN9rocsparseL39gtsv_spike_backward_substitution_kernelILj256ELj2EfEEviiiPT1_PKS1_S4_
		.amdhsa_group_segment_fixed_size 0
		.amdhsa_private_segment_fixed_size 0
		.amdhsa_kernarg_size 40
		.amdhsa_user_sgpr_count 2
		.amdhsa_user_sgpr_dispatch_ptr 0
		.amdhsa_user_sgpr_queue_ptr 0
		.amdhsa_user_sgpr_kernarg_segment_ptr 1
		.amdhsa_user_sgpr_dispatch_id 0
		.amdhsa_user_sgpr_kernarg_preload_length 0
		.amdhsa_user_sgpr_kernarg_preload_offset 0
		.amdhsa_user_sgpr_private_segment_size 0
		.amdhsa_uses_dynamic_stack 0
		.amdhsa_enable_private_segment 0
		.amdhsa_system_sgpr_workgroup_id_x 1
		.amdhsa_system_sgpr_workgroup_id_y 0
		.amdhsa_system_sgpr_workgroup_id_z 0
		.amdhsa_system_sgpr_workgroup_info 0
		.amdhsa_system_vgpr_workitem_id 0
		.amdhsa_next_free_vgpr 1
		.amdhsa_next_free_sgpr 0
		.amdhsa_accum_offset 4
		.amdhsa_reserve_vcc 0
		.amdhsa_float_round_mode_32 0
		.amdhsa_float_round_mode_16_64 0
		.amdhsa_float_denorm_mode_32 3
		.amdhsa_float_denorm_mode_16_64 3
		.amdhsa_dx10_clamp 1
		.amdhsa_ieee_mode 1
		.amdhsa_fp16_overflow 0
		.amdhsa_tg_split 0
		.amdhsa_exception_fp_ieee_invalid_op 0
		.amdhsa_exception_fp_denorm_src 0
		.amdhsa_exception_fp_ieee_div_zero 0
		.amdhsa_exception_fp_ieee_overflow 0
		.amdhsa_exception_fp_ieee_underflow 0
		.amdhsa_exception_fp_ieee_inexact 0
		.amdhsa_exception_int_div_zero 0
	.end_amdhsa_kernel
	.section	.text._ZN9rocsparseL39gtsv_spike_backward_substitution_kernelILj256ELj2EfEEviiiPT1_PKS1_S4_,"axG",@progbits,_ZN9rocsparseL39gtsv_spike_backward_substitution_kernelILj256ELj2EfEEviiiPT1_PKS1_S4_,comdat
.Lfunc_end17:
	.size	_ZN9rocsparseL39gtsv_spike_backward_substitution_kernelILj256ELj2EfEEviiiPT1_PKS1_S4_, .Lfunc_end17-_ZN9rocsparseL39gtsv_spike_backward_substitution_kernelILj256ELj2EfEEviiiPT1_PKS1_S4_
                                        ; -- End function
	.set _ZN9rocsparseL39gtsv_spike_backward_substitution_kernelILj256ELj2EfEEviiiPT1_PKS1_S4_.num_vgpr, 0
	.set _ZN9rocsparseL39gtsv_spike_backward_substitution_kernelILj256ELj2EfEEviiiPT1_PKS1_S4_.num_agpr, 0
	.set _ZN9rocsparseL39gtsv_spike_backward_substitution_kernelILj256ELj2EfEEviiiPT1_PKS1_S4_.numbered_sgpr, 0
	.set _ZN9rocsparseL39gtsv_spike_backward_substitution_kernelILj256ELj2EfEEviiiPT1_PKS1_S4_.num_named_barrier, 0
	.set _ZN9rocsparseL39gtsv_spike_backward_substitution_kernelILj256ELj2EfEEviiiPT1_PKS1_S4_.private_seg_size, 0
	.set _ZN9rocsparseL39gtsv_spike_backward_substitution_kernelILj256ELj2EfEEviiiPT1_PKS1_S4_.uses_vcc, 0
	.set _ZN9rocsparseL39gtsv_spike_backward_substitution_kernelILj256ELj2EfEEviiiPT1_PKS1_S4_.uses_flat_scratch, 0
	.set _ZN9rocsparseL39gtsv_spike_backward_substitution_kernelILj256ELj2EfEEviiiPT1_PKS1_S4_.has_dyn_sized_stack, 0
	.set _ZN9rocsparseL39gtsv_spike_backward_substitution_kernelILj256ELj2EfEEviiiPT1_PKS1_S4_.has_recursion, 0
	.set _ZN9rocsparseL39gtsv_spike_backward_substitution_kernelILj256ELj2EfEEviiiPT1_PKS1_S4_.has_indirect_call, 0
	.section	.AMDGPU.csdata,"",@progbits
; Kernel info:
; codeLenInByte = 4
; TotalNumSgprs: 6
; NumVgprs: 0
; NumAgprs: 0
; TotalNumVgprs: 0
; ScratchSize: 0
; MemoryBound: 0
; FloatMode: 240
; IeeeMode: 1
; LDSByteSize: 0 bytes/workgroup (compile time only)
; SGPRBlocks: 0
; VGPRBlocks: 0
; NumSGPRsForWavesPerEU: 6
; NumVGPRsForWavesPerEU: 1
; AccumOffset: 4
; Occupancy: 8
; WaveLimiterHint : 0
; COMPUTE_PGM_RSRC2:SCRATCH_EN: 0
; COMPUTE_PGM_RSRC2:USER_SGPR: 2
; COMPUTE_PGM_RSRC2:TRAP_HANDLER: 0
; COMPUTE_PGM_RSRC2:TGID_X_EN: 1
; COMPUTE_PGM_RSRC2:TGID_Y_EN: 0
; COMPUTE_PGM_RSRC2:TGID_Z_EN: 0
; COMPUTE_PGM_RSRC2:TIDIG_COMP_CNT: 0
; COMPUTE_PGM_RSRC3_GFX90A:ACCUM_OFFSET: 0
; COMPUTE_PGM_RSRC3_GFX90A:TG_SPLIT: 0
	.section	.text._ZN9rocsparseL32gtsv_transpose_back_array_kernelILj256ELj2EfEEviiiPKT1_PS1_,"axG",@progbits,_ZN9rocsparseL32gtsv_transpose_back_array_kernelILj256ELj2EfEEviiiPKT1_PS1_,comdat
	.globl	_ZN9rocsparseL32gtsv_transpose_back_array_kernelILj256ELj2EfEEviiiPKT1_PS1_ ; -- Begin function _ZN9rocsparseL32gtsv_transpose_back_array_kernelILj256ELj2EfEEviiiPKT1_PS1_
	.p2align	8
	.type	_ZN9rocsparseL32gtsv_transpose_back_array_kernelILj256ELj2EfEEviiiPKT1_PS1_,@function
_ZN9rocsparseL32gtsv_transpose_back_array_kernelILj256ELj2EfEEviiiPKT1_PS1_: ; @_ZN9rocsparseL32gtsv_transpose_back_array_kernelILj256ELj2EfEEviiiPKT1_PS1_
; %bb.0:
	s_load_dwordx4 s[4:7], s[0:1], 0x0
	v_lshl_or_b32 v0, s2, 8, v0
	v_lshlrev_b32_e32 v2, 1, v0
	s_waitcnt lgkmcnt(0)
	v_cvt_f32_u32_e32 v1, s5
	s_sub_i32 s2, 0, s5
	v_rcp_iflag_f32_e32 v1, v1
	s_nop 0
	v_mul_f32_e32 v1, 0x4f7ffffe, v1
	v_cvt_u32_f32_e32 v1, v1
	v_mul_lo_u32 v3, s2, v1
	v_mul_hi_u32 v3, v1, v3
	v_add_u32_e32 v1, v1, v3
	v_mul_hi_u32 v1, v2, v1
	v_mul_lo_u32 v3, v1, s5
	v_sub_u32_e32 v3, v2, v3
	v_add_u32_e32 v4, 1, v1
	v_cmp_le_u32_e32 vcc, s5, v3
	s_nop 1
	v_cndmask_b32_e32 v1, v1, v4, vcc
	v_subrev_u32_e32 v4, s5, v3
	v_cndmask_b32_e32 v3, v3, v4, vcc
	v_add_u32_e32 v4, 1, v1
	v_cmp_le_u32_e32 vcc, s5, v3
	s_nop 1
	v_cndmask_b32_e32 v1, v1, v4, vcc
	v_mul_lo_u32 v3, v1, s5
	v_sub_u32_e32 v2, v2, v3
	v_add_u32_e32 v1, v1, v2
	v_cmp_gt_i32_e32 vcc, s4, v1
	s_and_saveexec_b64 s[8:9], vcc
	s_cbranch_execz .LBB18_2
; %bb.1:
	s_load_dwordx4 s[8:11], s[0:1], 0x10
	s_mul_i32 s0, s5, s3
	v_add_u32_e32 v2, s0, v0
	v_ashrrev_i32_e32 v3, 31, v2
	s_mul_i32 s0, s6, s3
	s_waitcnt lgkmcnt(0)
	v_lshl_add_u64 v[2:3], v[2:3], 2, s[8:9]
	global_load_dword v2, v[2:3], off
	v_add_u32_e32 v0, s0, v1
	v_ashrrev_i32_e32 v1, 31, v0
	v_lshl_add_u64 v[0:1], v[0:1], 2, s[10:11]
	s_waitcnt vmcnt(0)
	global_store_dword v[0:1], v2, off
.LBB18_2:
	s_endpgm
	.section	.rodata,"a",@progbits
	.p2align	6, 0x0
	.amdhsa_kernel _ZN9rocsparseL32gtsv_transpose_back_array_kernelILj256ELj2EfEEviiiPKT1_PS1_
		.amdhsa_group_segment_fixed_size 0
		.amdhsa_private_segment_fixed_size 0
		.amdhsa_kernarg_size 32
		.amdhsa_user_sgpr_count 2
		.amdhsa_user_sgpr_dispatch_ptr 0
		.amdhsa_user_sgpr_queue_ptr 0
		.amdhsa_user_sgpr_kernarg_segment_ptr 1
		.amdhsa_user_sgpr_dispatch_id 0
		.amdhsa_user_sgpr_kernarg_preload_length 0
		.amdhsa_user_sgpr_kernarg_preload_offset 0
		.amdhsa_user_sgpr_private_segment_size 0
		.amdhsa_uses_dynamic_stack 0
		.amdhsa_enable_private_segment 0
		.amdhsa_system_sgpr_workgroup_id_x 1
		.amdhsa_system_sgpr_workgroup_id_y 1
		.amdhsa_system_sgpr_workgroup_id_z 0
		.amdhsa_system_sgpr_workgroup_info 0
		.amdhsa_system_vgpr_workitem_id 0
		.amdhsa_next_free_vgpr 5
		.amdhsa_next_free_sgpr 12
		.amdhsa_accum_offset 8
		.amdhsa_reserve_vcc 1
		.amdhsa_float_round_mode_32 0
		.amdhsa_float_round_mode_16_64 0
		.amdhsa_float_denorm_mode_32 3
		.amdhsa_float_denorm_mode_16_64 3
		.amdhsa_dx10_clamp 1
		.amdhsa_ieee_mode 1
		.amdhsa_fp16_overflow 0
		.amdhsa_tg_split 0
		.amdhsa_exception_fp_ieee_invalid_op 0
		.amdhsa_exception_fp_denorm_src 0
		.amdhsa_exception_fp_ieee_div_zero 0
		.amdhsa_exception_fp_ieee_overflow 0
		.amdhsa_exception_fp_ieee_underflow 0
		.amdhsa_exception_fp_ieee_inexact 0
		.amdhsa_exception_int_div_zero 0
	.end_amdhsa_kernel
	.section	.text._ZN9rocsparseL32gtsv_transpose_back_array_kernelILj256ELj2EfEEviiiPKT1_PS1_,"axG",@progbits,_ZN9rocsparseL32gtsv_transpose_back_array_kernelILj256ELj2EfEEviiiPKT1_PS1_,comdat
.Lfunc_end18:
	.size	_ZN9rocsparseL32gtsv_transpose_back_array_kernelILj256ELj2EfEEviiiPKT1_PS1_, .Lfunc_end18-_ZN9rocsparseL32gtsv_transpose_back_array_kernelILj256ELj2EfEEviiiPKT1_PS1_
                                        ; -- End function
	.set _ZN9rocsparseL32gtsv_transpose_back_array_kernelILj256ELj2EfEEviiiPKT1_PS1_.num_vgpr, 5
	.set _ZN9rocsparseL32gtsv_transpose_back_array_kernelILj256ELj2EfEEviiiPKT1_PS1_.num_agpr, 0
	.set _ZN9rocsparseL32gtsv_transpose_back_array_kernelILj256ELj2EfEEviiiPKT1_PS1_.numbered_sgpr, 12
	.set _ZN9rocsparseL32gtsv_transpose_back_array_kernelILj256ELj2EfEEviiiPKT1_PS1_.num_named_barrier, 0
	.set _ZN9rocsparseL32gtsv_transpose_back_array_kernelILj256ELj2EfEEviiiPKT1_PS1_.private_seg_size, 0
	.set _ZN9rocsparseL32gtsv_transpose_back_array_kernelILj256ELj2EfEEviiiPKT1_PS1_.uses_vcc, 1
	.set _ZN9rocsparseL32gtsv_transpose_back_array_kernelILj256ELj2EfEEviiiPKT1_PS1_.uses_flat_scratch, 0
	.set _ZN9rocsparseL32gtsv_transpose_back_array_kernelILj256ELj2EfEEviiiPKT1_PS1_.has_dyn_sized_stack, 0
	.set _ZN9rocsparseL32gtsv_transpose_back_array_kernelILj256ELj2EfEEviiiPKT1_PS1_.has_recursion, 0
	.set _ZN9rocsparseL32gtsv_transpose_back_array_kernelILj256ELj2EfEEviiiPKT1_PS1_.has_indirect_call, 0
	.section	.AMDGPU.csdata,"",@progbits
; Kernel info:
; codeLenInByte = 236
; TotalNumSgprs: 18
; NumVgprs: 5
; NumAgprs: 0
; TotalNumVgprs: 5
; ScratchSize: 0
; MemoryBound: 0
; FloatMode: 240
; IeeeMode: 1
; LDSByteSize: 0 bytes/workgroup (compile time only)
; SGPRBlocks: 2
; VGPRBlocks: 0
; NumSGPRsForWavesPerEU: 18
; NumVGPRsForWavesPerEU: 5
; AccumOffset: 8
; Occupancy: 8
; WaveLimiterHint : 0
; COMPUTE_PGM_RSRC2:SCRATCH_EN: 0
; COMPUTE_PGM_RSRC2:USER_SGPR: 2
; COMPUTE_PGM_RSRC2:TRAP_HANDLER: 0
; COMPUTE_PGM_RSRC2:TGID_X_EN: 1
; COMPUTE_PGM_RSRC2:TGID_Y_EN: 1
; COMPUTE_PGM_RSRC2:TGID_Z_EN: 0
; COMPUTE_PGM_RSRC2:TIDIG_COMP_CNT: 0
; COMPUTE_PGM_RSRC3_GFX90A:ACCUM_OFFSET: 1
; COMPUTE_PGM_RSRC3_GFX90A:TG_SPLIT: 0
	.section	.text._ZN9rocsparseL42gtsv_transpose_and_pad_array_shared_kernelILj256ELj4EfEEviiiPKT1_PS1_S1_,"axG",@progbits,_ZN9rocsparseL42gtsv_transpose_and_pad_array_shared_kernelILj256ELj4EfEEviiiPKT1_PS1_S1_,comdat
	.globl	_ZN9rocsparseL42gtsv_transpose_and_pad_array_shared_kernelILj256ELj4EfEEviiiPKT1_PS1_S1_ ; -- Begin function _ZN9rocsparseL42gtsv_transpose_and_pad_array_shared_kernelILj256ELj4EfEEviiiPKT1_PS1_S1_
	.p2align	8
	.type	_ZN9rocsparseL42gtsv_transpose_and_pad_array_shared_kernelILj256ELj4EfEEviiiPKT1_PS1_S1_,@function
_ZN9rocsparseL42gtsv_transpose_and_pad_array_shared_kernelILj256ELj4EfEEviiiPKT1_PS1_S1_: ; @_ZN9rocsparseL42gtsv_transpose_and_pad_array_shared_kernelILj256ELj4EfEEviiiPKT1_PS1_S1_
; %bb.0:
	s_load_dwordx4 s[4:7], s[0:1], 0x0
	s_waitcnt lgkmcnt(0)
	s_load_dword s7, s[0:1], 0x20
	v_lshl_or_b32 v1, s2, 8, v0
	v_cmp_gt_i32_e32 vcc, s4, v1
	s_waitcnt lgkmcnt(0)
	v_mov_b32_e32 v4, s7
	s_and_saveexec_b64 s[8:9], vcc
	s_cbranch_execz .LBB19_2
; %bb.1:
	s_load_dwordx2 s[10:11], s[0:1], 0x10
	s_mul_i32 s4, s6, s3
	v_add_u32_e32 v2, s4, v1
	v_ashrrev_i32_e32 v3, 31, v2
	s_waitcnt lgkmcnt(0)
	v_lshl_add_u64 v[2:3], v[2:3], 2, s[10:11]
	global_load_dword v4, v[2:3], off
.LBB19_2:
	s_or_b64 exec, exec, s[8:9]
	v_lshrrev_b32_e32 v2, 6, v0
	v_and_b32_e32 v3, 63, v0
	v_lshlrev_b32_e32 v0, 2, v0
	s_waitcnt vmcnt(0)
	ds_write_b32 v0, v4
	s_lshr_b32 s4, s5, 2
	v_lshl_or_b32 v0, s2, 6, v3
	v_mad_u64_u32 v[0:1], s[6:7], s4, v2, v[0:1]
	v_cmp_gt_i32_e32 vcc, s5, v0
	s_waitcnt lgkmcnt(0)
	s_barrier
	s_and_saveexec_b64 s[6:7], vcc
	s_cbranch_execz .LBB19_4
; %bb.3:
	v_lshlrev_b32_e32 v1, 2, v2
	s_load_dwordx2 s[0:1], s[0:1], 0x18
	v_lshl_or_b32 v1, v3, 4, v1
	ds_read_b32 v2, v1
	s_mul_i32 s2, s5, s3
	v_add_u32_e32 v0, s2, v0
	v_ashrrev_i32_e32 v1, 31, v0
	s_waitcnt lgkmcnt(0)
	v_lshl_add_u64 v[0:1], v[0:1], 2, s[0:1]
	global_store_dword v[0:1], v2, off
.LBB19_4:
	s_endpgm
	.section	.rodata,"a",@progbits
	.p2align	6, 0x0
	.amdhsa_kernel _ZN9rocsparseL42gtsv_transpose_and_pad_array_shared_kernelILj256ELj4EfEEviiiPKT1_PS1_S1_
		.amdhsa_group_segment_fixed_size 1024
		.amdhsa_private_segment_fixed_size 0
		.amdhsa_kernarg_size 36
		.amdhsa_user_sgpr_count 2
		.amdhsa_user_sgpr_dispatch_ptr 0
		.amdhsa_user_sgpr_queue_ptr 0
		.amdhsa_user_sgpr_kernarg_segment_ptr 1
		.amdhsa_user_sgpr_dispatch_id 0
		.amdhsa_user_sgpr_kernarg_preload_length 0
		.amdhsa_user_sgpr_kernarg_preload_offset 0
		.amdhsa_user_sgpr_private_segment_size 0
		.amdhsa_uses_dynamic_stack 0
		.amdhsa_enable_private_segment 0
		.amdhsa_system_sgpr_workgroup_id_x 1
		.amdhsa_system_sgpr_workgroup_id_y 1
		.amdhsa_system_sgpr_workgroup_id_z 0
		.amdhsa_system_sgpr_workgroup_info 0
		.amdhsa_system_vgpr_workitem_id 0
		.amdhsa_next_free_vgpr 5
		.amdhsa_next_free_sgpr 12
		.amdhsa_accum_offset 8
		.amdhsa_reserve_vcc 1
		.amdhsa_float_round_mode_32 0
		.amdhsa_float_round_mode_16_64 0
		.amdhsa_float_denorm_mode_32 3
		.amdhsa_float_denorm_mode_16_64 3
		.amdhsa_dx10_clamp 1
		.amdhsa_ieee_mode 1
		.amdhsa_fp16_overflow 0
		.amdhsa_tg_split 0
		.amdhsa_exception_fp_ieee_invalid_op 0
		.amdhsa_exception_fp_denorm_src 0
		.amdhsa_exception_fp_ieee_div_zero 0
		.amdhsa_exception_fp_ieee_overflow 0
		.amdhsa_exception_fp_ieee_underflow 0
		.amdhsa_exception_fp_ieee_inexact 0
		.amdhsa_exception_int_div_zero 0
	.end_amdhsa_kernel
	.section	.text._ZN9rocsparseL42gtsv_transpose_and_pad_array_shared_kernelILj256ELj4EfEEviiiPKT1_PS1_S1_,"axG",@progbits,_ZN9rocsparseL42gtsv_transpose_and_pad_array_shared_kernelILj256ELj4EfEEviiiPKT1_PS1_S1_,comdat
.Lfunc_end19:
	.size	_ZN9rocsparseL42gtsv_transpose_and_pad_array_shared_kernelILj256ELj4EfEEviiiPKT1_PS1_S1_, .Lfunc_end19-_ZN9rocsparseL42gtsv_transpose_and_pad_array_shared_kernelILj256ELj4EfEEviiiPKT1_PS1_S1_
                                        ; -- End function
	.set _ZN9rocsparseL42gtsv_transpose_and_pad_array_shared_kernelILj256ELj4EfEEviiiPKT1_PS1_S1_.num_vgpr, 5
	.set _ZN9rocsparseL42gtsv_transpose_and_pad_array_shared_kernelILj256ELj4EfEEviiiPKT1_PS1_S1_.num_agpr, 0
	.set _ZN9rocsparseL42gtsv_transpose_and_pad_array_shared_kernelILj256ELj4EfEEviiiPKT1_PS1_S1_.numbered_sgpr, 12
	.set _ZN9rocsparseL42gtsv_transpose_and_pad_array_shared_kernelILj256ELj4EfEEviiiPKT1_PS1_S1_.num_named_barrier, 0
	.set _ZN9rocsparseL42gtsv_transpose_and_pad_array_shared_kernelILj256ELj4EfEEviiiPKT1_PS1_S1_.private_seg_size, 0
	.set _ZN9rocsparseL42gtsv_transpose_and_pad_array_shared_kernelILj256ELj4EfEEviiiPKT1_PS1_S1_.uses_vcc, 1
	.set _ZN9rocsparseL42gtsv_transpose_and_pad_array_shared_kernelILj256ELj4EfEEviiiPKT1_PS1_S1_.uses_flat_scratch, 0
	.set _ZN9rocsparseL42gtsv_transpose_and_pad_array_shared_kernelILj256ELj4EfEEviiiPKT1_PS1_S1_.has_dyn_sized_stack, 0
	.set _ZN9rocsparseL42gtsv_transpose_and_pad_array_shared_kernelILj256ELj4EfEEviiiPKT1_PS1_S1_.has_recursion, 0
	.set _ZN9rocsparseL42gtsv_transpose_and_pad_array_shared_kernelILj256ELj4EfEEviiiPKT1_PS1_S1_.has_indirect_call, 0
	.section	.AMDGPU.csdata,"",@progbits
; Kernel info:
; codeLenInByte = 220
; TotalNumSgprs: 18
; NumVgprs: 5
; NumAgprs: 0
; TotalNumVgprs: 5
; ScratchSize: 0
; MemoryBound: 0
; FloatMode: 240
; IeeeMode: 1
; LDSByteSize: 1024 bytes/workgroup (compile time only)
; SGPRBlocks: 2
; VGPRBlocks: 0
; NumSGPRsForWavesPerEU: 18
; NumVGPRsForWavesPerEU: 5
; AccumOffset: 8
; Occupancy: 8
; WaveLimiterHint : 0
; COMPUTE_PGM_RSRC2:SCRATCH_EN: 0
; COMPUTE_PGM_RSRC2:USER_SGPR: 2
; COMPUTE_PGM_RSRC2:TRAP_HANDLER: 0
; COMPUTE_PGM_RSRC2:TGID_X_EN: 1
; COMPUTE_PGM_RSRC2:TGID_Y_EN: 1
; COMPUTE_PGM_RSRC2:TGID_Z_EN: 0
; COMPUTE_PGM_RSRC2:TIDIG_COMP_CNT: 0
; COMPUTE_PGM_RSRC3_GFX90A:ACCUM_OFFSET: 1
; COMPUTE_PGM_RSRC3_GFX90A:TG_SPLIT: 0
	.section	.text._ZN9rocsparseL18gtsv_LBM_wv_kernelILj256ELj4EfEEviiiPKT1_S3_S3_PS1_S4_S4_Pi,"axG",@progbits,_ZN9rocsparseL18gtsv_LBM_wv_kernelILj256ELj4EfEEviiiPKT1_S3_S3_PS1_S4_S4_Pi,comdat
	.globl	_ZN9rocsparseL18gtsv_LBM_wv_kernelILj256ELj4EfEEviiiPKT1_S3_S3_PS1_S4_S4_Pi ; -- Begin function _ZN9rocsparseL18gtsv_LBM_wv_kernelILj256ELj4EfEEviiiPKT1_S3_S3_PS1_S4_S4_Pi
	.p2align	8
	.type	_ZN9rocsparseL18gtsv_LBM_wv_kernelILj256ELj4EfEEviiiPKT1_S3_S3_PS1_S4_S4_Pi,@function
_ZN9rocsparseL18gtsv_LBM_wv_kernelILj256ELj4EfEEviiiPKT1_S3_S3_PS1_S4_S4_Pi: ; @_ZN9rocsparseL18gtsv_LBM_wv_kernelILj256ELj4EfEEviiiPKT1_S3_S3_PS1_S4_S4_Pi
; %bb.0:
	s_load_dword s27, s[0:1], 0x0
	v_lshl_or_b32 v0, s2, 8, v0
	s_waitcnt lgkmcnt(0)
	s_lshr_b32 s26, s27, 2
	v_cmp_gt_i32_e32 vcc, s26, v0
	s_and_saveexec_b64 s[2:3], vcc
	s_cbranch_execz .LBB20_30
; %bb.1:
	s_load_dwordx2 s[16:17], s[0:1], 0x10
	s_load_dwordx8 s[8:15], s[0:1], 0x20
	v_ashrrev_i32_e32 v1, 31, v0
	v_lshlrev_b64 v[2:3], 2, v[0:1]
	s_mul_i32 s28, s26, 3
	s_waitcnt lgkmcnt(0)
	v_lshl_add_u64 v[4:5], s[16:17], 0, v[2:3]
	global_load_dword v10, v[4:5], off
	v_add_u32_e32 v4, s28, v0
	v_mov_b32_e32 v5, 0
	v_lshlrev_b64 v[6:7], 2, v[4:5]
	v_lshl_add_u64 v[8:9], s[8:9], 0, v[6:7]
	global_load_dword v4, v[8:9], off
	s_load_dwordx2 s[6:7], s[0:1], 0x40
	v_lshl_add_u64 v[2:3], s[10:11], 0, v[2:3]
	s_cmp_lt_i32 s27, 1
	v_add_u32_e32 v13, s26, v0
	v_lshl_add_u64 v[6:7], s[12:13], 0, v[6:7]
	s_waitcnt vmcnt(1)
	global_store_dword v[2:3], v10, off
	s_waitcnt vmcnt(1)
	global_store_dword v[6:7], v4, off
	v_mov_b32_e32 v4, v5
	s_cbranch_scc1 .LBB20_23
; %bb.2:
	s_load_dwordx2 s[18:19], s[0:1], 0x18
	s_mov_b32 s22, 0x372fe950
	s_lshl_b32 s29, s26, 1
	s_mov_b64 s[20:21], 0
	s_mov_b32 s23, 0x3fe3c6ef
	s_waitcnt lgkmcnt(0)
	v_lshl_add_u64 v[4:5], v[0:1], 2, s[18:19]
	global_load_dword v6, v[4:5], off
	v_add_u32_e32 v1, s26, v13
	v_mov_b32_e32 v4, 0
	v_mov_b32_e32 v24, 2
	;; [unrolled: 1-line block ×3, first 2 shown]
	s_branch .LBB20_5
.LBB20_3:                               ;   in Loop: Header=BB20_5 Depth=1
	s_or_b64 exec, exec, s[4:5]
	v_fma_f32 v6, -v6, v27, v8
	v_mov_b32_e32 v5, s26
.LBB20_4:                               ;   in Loop: Header=BB20_5 Depth=1
	s_or_b64 exec, exec, s[2:3]
	v_add_u32_e32 v4, v5, v4
	v_cmp_le_i32_e32 vcc, s27, v4
	s_or_b64 s[20:21], vcc, s[20:21]
	s_andn2_b64 exec, exec, s[20:21]
	s_cbranch_execz .LBB20_22
.LBB20_5:                               ; =>This Inner Loop Header: Depth=1
	v_add_u32_e32 v10, v4, v0
	v_ashrrev_i32_e32 v11, 31, v10
	v_lshl_add_u64 v[8:9], v[10:11], 2, s[8:9]
	global_load_dword v9, v[8:9], off
	v_cmp_gt_u32_e64 s[0:1], s28, v4
	v_mov_b32_e32 v7, 0
	s_and_saveexec_b64 s[2:3], s[0:1]
	s_cbranch_execz .LBB20_7
; %bb.6:                                ;   in Loop: Header=BB20_5 Depth=1
	v_add_u32_e32 v14, v13, v4
	v_ashrrev_i32_e32 v15, 31, v14
	v_lshl_add_u64 v[14:15], v[14:15], 2, s[16:17]
	global_load_dword v7, v[14:15], off
.LBB20_7:                               ;   in Loop: Header=BB20_5 Depth=1
	s_or_b64 exec, exec, s[2:3]
	v_mov_b32_e32 v26, 0
	v_mov_b32_e32 v8, 0
	s_and_saveexec_b64 s[2:3], s[0:1]
	s_cbranch_execz .LBB20_9
; %bb.8:                                ;   in Loop: Header=BB20_5 Depth=1
	v_add_u32_e32 v14, v13, v4
	v_ashrrev_i32_e32 v15, 31, v14
	v_lshl_add_u64 v[14:15], v[14:15], 2, s[18:19]
	global_load_dword v8, v[14:15], off
.LBB20_9:                               ;   in Loop: Header=BB20_5 Depth=1
	s_or_b64 exec, exec, s[2:3]
	s_and_saveexec_b64 s[2:3], s[0:1]
	s_cbranch_execz .LBB20_11
; %bb.10:                               ;   in Loop: Header=BB20_5 Depth=1
	v_add_u32_e32 v14, v13, v4
	v_ashrrev_i32_e32 v15, 31, v14
	v_lshl_add_u64 v[14:15], v[14:15], 2, s[8:9]
	global_load_dword v26, v[14:15], off
.LBB20_11:                              ;   in Loop: Header=BB20_5 Depth=1
	s_or_b64 exec, exec, s[2:3]
	v_cmp_gt_u32_e64 s[2:3], s29, v4
	v_mov_b32_e32 v12, 0
	s_and_saveexec_b64 s[4:5], s[2:3]
	s_cbranch_execz .LBB20_13
; %bb.12:                               ;   in Loop: Header=BB20_5 Depth=1
	v_add_u32_e32 v14, v1, v4
	v_ashrrev_i32_e32 v15, 31, v14
	v_lshl_add_u64 v[14:15], v[14:15], 2, s[16:17]
	global_load_dword v12, v[14:15], off
.LBB20_13:                              ;   in Loop: Header=BB20_5 Depth=1
	s_or_b64 exec, exec, s[4:5]
	s_waitcnt vmcnt(0)
	v_cmp_gt_f32_e32 vcc, 0, v7
	v_mul_f32_e32 v27, v9, v7
	v_cmp_ne_u32_e64 s[4:5], s28, v4
	v_cndmask_b32_e64 v5, v7, -v7, vcc
	v_cmp_gt_f32_e32 vcc, 0, v12
	s_nop 1
	v_cndmask_b32_e64 v14, v12, -v12, vcc
	v_cmp_lt_f32_e32 vcc, v5, v14
	s_nop 1
	v_cndmask_b32_e32 v5, v5, v14, vcc
	v_cmp_gt_f32_e32 vcc, 0, v8
	s_nop 1
	v_cndmask_b32_e64 v14, v8, -v8, vcc
	v_cmp_lt_f32_e32 vcc, v14, v5
	s_nop 1
	v_cndmask_b32_e32 v5, v14, v5, vcc
	;; [unrolled: 6-line block ×4, first 2 shown]
	v_cmp_gt_f32_e32 vcc, 0, v6
	v_cvt_f64_f32_e32 v[14:15], v5
	s_nop 0
	v_cndmask_b32_e64 v5, v6, -v6, vcc
	v_cmp_gt_f32_e32 vcc, 0, v27
	v_cvt_f64_f32_e32 v[16:17], v5
	v_mul_f64 v[14:15], v[16:17], v[14:15]
	v_cndmask_b32_e64 v5, v27, -v27, vcc
	v_cvt_f64_f32_e32 v[16:17], v5
	v_mul_f64 v[16:17], v[16:17], s[22:23]
	v_cmp_nge_f64_e32 vcc, v[14:15], v[16:17]
	s_and_b64 s[4:5], s[4:5], vcc
	s_and_saveexec_b64 s[24:25], s[4:5]
	s_xor_b64 s[4:5], exec, s[24:25]
	s_cbranch_execz .LBB20_19
; %bb.14:                               ;   in Loop: Header=BB20_5 Depth=1
	v_add_u32_e32 v16, v13, v4
	v_ashrrev_i32_e32 v17, 31, v16
	v_ashrrev_i32_e32 v5, 31, v4
	v_lshlrev_b64 v[16:17], 2, v[16:17]
	v_lshl_add_u64 v[28:29], v[4:5], 2, v[2:3]
	v_lshl_add_u64 v[20:21], s[10:11], 0, v[16:17]
	v_lshlrev_b64 v[10:11], 2, v[10:11]
	global_load_dword v14, v[28:29], off
	global_load_dword v15, v[20:21], off
	v_lshl_add_u64 v[30:31], s[12:13], 0, v[10:11]
	v_lshl_add_u64 v[18:19], s[12:13], 0, v[16:17]
	global_load_dword v22, v[30:31], off
	global_load_dword v23, v[18:19], off
	v_fma_f32 v5, v6, v8, -v27
	v_div_scale_f32 v36, s[24:25], v5, v5, 1.0
	v_rcp_f32_e32 v37, v36
	v_lshl_add_u64 v[32:33], s[14:15], 0, v[10:11]
	v_lshl_add_u64 v[34:35], s[6:7], 0, v[10:11]
	v_div_scale_f32 v38, vcc, 1.0, v5, 1.0
	v_fma_f32 v10, -v36, v37, 1.0
	v_fmac_f32_e32 v37, v10, v37
	v_mul_f32_e32 v10, v38, v37
	v_fma_f32 v11, -v36, v10, v38
	v_fmac_f32_e32 v10, v11, v37
	v_fma_f32 v11, -v36, v10, v38
	v_div_fmas_f32 v10, v11, v37, v10
	v_mul_f32_e64 v27, v26, -v9
	v_div_fixup_f32 v10, v10, v5, 1.0
	v_mul_f32_e32 v5, v10, v27
	global_store_dword v[32:33], v5, off
	s_waitcnt vmcnt(3)
	v_pk_mul_f32 v[32:33], v[8:9], v[14:15]
	s_nop 0
	v_sub_f32_e32 v5, v32, v33
	v_mul_f32_e32 v5, v10, v5
	s_waitcnt vmcnt(1)
	v_pk_mul_f32 v[8:9], v[8:9], v[22:23]
	s_nop 0
	v_sub_f32_e32 v8, v8, v9
	v_mul_f32_e32 v8, v10, v8
	global_store_dword v[28:29], v5, off
	global_store_dword v[30:31], v8, off
	global_store_dword v[34:35], v24, off
	s_and_saveexec_b64 s[24:25], s[0:1]
	s_cbranch_execz .LBB20_16
; %bb.15:                               ;   in Loop: Header=BB20_5 Depth=1
	v_mov_b32_e32 v8, v15
	v_mov_b32_e32 v9, v14
	v_pk_mul_f32 v[8:9], v[6:7], v[8:9]
	s_nop 0
	v_sub_f32_e32 v5, v8, v9
	v_mov_b32_e32 v8, v23
	v_mov_b32_e32 v9, v22
	v_mul_f32_e32 v5, v10, v5
	v_pk_mul_f32 v[8:9], v[6:7], v[8:9]
	global_store_dword v[20:21], v5, off
	v_sub_f32_e32 v5, v8, v9
	v_mul_f32_e32 v5, v10, v5
	global_store_dword v[18:19], v5, off
	v_mul_f32_e32 v5, v6, v26
	v_mul_f32_e32 v5, v10, v5
	v_lshl_add_u64 v[8:9], s[14:15], 0, v[16:17]
	global_store_dword v[8:9], v5, off
	v_lshl_add_u64 v[8:9], s[6:7], 0, v[16:17]
	global_store_dword v[8:9], v24, off
.LBB20_16:                              ;   in Loop: Header=BB20_5 Depth=1
	s_or_b64 exec, exec, s[24:25]
	v_mov_b32_e32 v5, 0
	s_and_saveexec_b64 s[24:25], s[2:3]
	s_cbranch_execz .LBB20_18
; %bb.17:                               ;   in Loop: Header=BB20_5 Depth=1
	v_add_u32_e32 v8, v1, v4
	v_ashrrev_i32_e32 v9, 31, v8
	v_lshlrev_b64 v[8:9], 2, v[8:9]
	v_lshl_add_u64 v[16:17], s[10:11], 0, v[8:9]
	v_lshl_add_u64 v[8:9], s[18:19], 0, v[8:9]
	global_load_dword v11, v[8:9], off
	global_load_dword v5, v[16:17], off
	v_xor_b32_e32 v8, 0x80000000, v7
	v_mov_b32_e32 v9, v6
	v_pk_mul_f32 v[6:7], v[12:13], v[8:9] op_sel_hi:[0,1]
	v_mul_f32_e32 v12, v26, v7
	s_waitcnt vmcnt(1)
	v_pk_mul_f32 v[8:9], v[6:7], v[10:11] op_sel_hi:[1,0] neg_lo:[0,1]
	s_nop 0
	v_pk_mul_f32 v[6:7], v[8:9], v[14:15]
	s_nop 0
	v_sub_f32_e32 v6, v6, v7
	s_waitcnt vmcnt(0)
	v_add_f32_e32 v5, v6, v5
	global_store_dword v[16:17], v5, off
	v_fma_f32 v5, -v10, v12, v11
.LBB20_18:                              ;   in Loop: Header=BB20_5 Depth=1
	s_or_b64 exec, exec, s[24:25]
	v_mov_b32_e32 v6, v5
                                        ; implicit-def: $vgpr27
                                        ; implicit-def: $vgpr8
                                        ; implicit-def: $vgpr10_vgpr11
.LBB20_19:                              ;   in Loop: Header=BB20_5 Depth=1
	s_or_saveexec_b64 s[2:3], s[4:5]
	v_mov_b32_e32 v5, s29
	s_xor_b64 exec, exec, s[2:3]
	s_cbranch_execz .LBB20_4
; %bb.20:                               ;   in Loop: Header=BB20_5 Depth=1
	v_ashrrev_i32_e32 v5, 31, v4
	v_lshl_add_u64 v[14:15], v[4:5], 2, v[2:3]
	v_lshlrev_b64 v[10:11], 2, v[10:11]
	global_load_dword v5, v[14:15], off
	v_lshl_add_u64 v[16:17], s[12:13], 0, v[10:11]
	global_load_dword v12, v[16:17], off
	v_div_scale_f32 v20, s[4:5], v6, v6, 1.0
	v_rcp_f32_e32 v21, v20
	v_div_scale_f32 v22, vcc, 1.0, v6, 1.0
	v_lshl_add_u64 v[18:19], s[14:15], 0, v[10:11]
	v_fma_f32 v23, -v20, v21, 1.0
	v_fmac_f32_e32 v21, v23, v21
	v_mul_f32_e32 v23, v22, v21
	v_fma_f32 v26, -v20, v23, v22
	v_fmac_f32_e32 v23, v26, v21
	v_fma_f32 v20, -v20, v23, v22
	v_div_fmas_f32 v20, v20, v21, v23
	v_div_fixup_f32 v6, v20, v6, 1.0
	v_mul_f32_e32 v9, v6, v9
	global_store_dword v[18:19], v9, off
	v_lshl_add_u64 v[10:11], s[6:7], 0, v[10:11]
	s_waitcnt vmcnt(2)
	v_mul_f32_e32 v9, v6, v5
	s_waitcnt vmcnt(1)
	v_mul_f32_e32 v12, v6, v12
	global_store_dword v[14:15], v9, off
	global_store_dword v[16:17], v12, off
	;; [unrolled: 1-line block ×3, first 2 shown]
	s_and_saveexec_b64 s[4:5], s[0:1]
	s_cbranch_execz .LBB20_3
; %bb.21:                               ;   in Loop: Header=BB20_5 Depth=1
	v_add_u32_e32 v10, v13, v4
	v_ashrrev_i32_e32 v11, 31, v10
	v_lshl_add_u64 v[10:11], v[10:11], 2, s[10:11]
	global_load_dword v9, v[10:11], off
	v_mul_f32_e32 v7, v7, v6
	s_waitcnt vmcnt(0)
	v_fma_f32 v5, -v7, v5, v9
	global_store_dword v[10:11], v5, off
	s_branch .LBB20_3
.LBB20_22:
	s_or_b64 exec, exec, s[20:21]
.LBB20_23:
	v_subrev_u32_e32 v1, s26, v4
	v_add_u32_e32 v4, v1, v0
	v_ashrrev_i32_e32 v5, 31, v4
	s_waitcnt lgkmcnt(0)
	v_lshl_add_u64 v[4:5], v[4:5], 2, s[6:7]
	buffer_wbl2 sc1
	s_waitcnt vmcnt(0)
	buffer_inv sc1
	global_load_dword v4, v[4:5], off
	s_waitcnt vmcnt(0)
	v_mul_lo_u32 v4, v4, s26
	v_sub_u32_e32 v4, v1, v4
	v_cmp_lt_i32_e32 vcc, -1, v4
	s_and_b64 exec, exec, vcc
	s_cbranch_execz .LBB20_30
; %bb.24:
	v_subrev_u32_e32 v1, s26, v0
	s_lshl_b32 s4, s26, 1
	s_mov_b64 s[0:1], 0
	s_branch .LBB20_26
.LBB20_25:                              ;   in Loop: Header=BB20_26 Depth=1
	s_or_b64 exec, exec, s[2:3]
	v_sub_u32_e32 v4, v4, v5
	v_cmp_gt_i32_e32 vcc, 0, v4
	s_or_b64 s[0:1], vcc, s[0:1]
	s_andn2_b64 exec, exec, s[0:1]
	s_cbranch_execz .LBB20_30
.LBB20_26:                              ; =>This Inner Loop Header: Depth=1
	v_add_u32_e32 v6, v4, v0
	v_ashrrev_i32_e32 v7, 31, v6
	s_waitcnt vmcnt(0)
	v_lshlrev_b64 v[8:9], 2, v[6:7]
	v_lshl_add_u64 v[10:11], s[6:7], 0, v[8:9]
	global_load_dword v5, v[10:11], off
	v_lshl_add_u64 v[8:9], s[14:15], 0, v[8:9]
	global_load_dword v8, v[8:9], off
	s_waitcnt vmcnt(1)
	v_cmp_ne_u32_e32 vcc, 1, v5
	s_and_saveexec_b64 s[2:3], vcc
	s_xor_b64 s[2:3], exec, s[2:3]
	s_cbranch_execz .LBB20_28
; %bb.27:                               ;   in Loop: Header=BB20_26 Depth=1
	v_add_u32_e32 v10, v13, v4
	v_ashrrev_i32_e32 v11, 31, v10
	v_lshlrev_b64 v[10:11], 2, v[10:11]
	v_lshl_add_u64 v[14:15], s[10:11], 0, v[10:11]
	v_ashrrev_i32_e32 v5, 31, v4
	v_lshl_add_u64 v[16:17], v[4:5], 2, v[2:3]
	global_load_dword v5, v[14:15], off
	global_load_dword v9, v[16:17], off
	v_lshl_add_u64 v[10:11], s[12:13], 0, v[10:11]
	v_lshl_add_u64 v[6:7], v[6:7], 2, s[12:13]
	global_load_dword v12, v[10:11], off
	global_load_dword v24, v[6:7], off
	v_add_u32_e32 v18, v1, v4
	v_ashrrev_i32_e32 v19, 31, v18
	v_lshlrev_b64 v[18:19], 2, v[18:19]
	v_lshl_add_u64 v[20:21], s[14:15], 0, v[18:19]
	global_load_dword v20, v[20:21], off
	v_lshl_add_u64 v[22:23], s[10:11], 0, v[18:19]
	v_lshl_add_u64 v[18:19], s[12:13], 0, v[18:19]
	s_waitcnt vmcnt(3)
	v_fma_f32 v5, -v8, v5, v9
	s_waitcnt vmcnt(1)
	v_fma_f32 v8, -v8, v12, v24
	global_store_dword v[16:17], v5, off
	global_store_dword v[6:7], v8, off
	global_load_dword v5, v[14:15], off
	s_nop 0
	global_load_dword v6, v[22:23], off
	global_load_dword v7, v[10:11], off
	global_load_dword v8, v[18:19], off
	s_waitcnt vmcnt(2)
	v_fma_f32 v5, -v20, v5, v6
	s_waitcnt vmcnt(0)
	v_fma_f32 v6, -v20, v7, v8
	global_store_dword v[22:23], v5, off
	global_store_dword v[18:19], v6, off
                                        ; implicit-def: $vgpr8
                                        ; implicit-def: $vgpr6_vgpr7
.LBB20_28:                              ;   in Loop: Header=BB20_26 Depth=1
	s_or_saveexec_b64 s[2:3], s[2:3]
	v_mov_b32_e32 v5, s4
	s_xor_b64 exec, exec, s[2:3]
	s_cbranch_execz .LBB20_25
; %bb.29:                               ;   in Loop: Header=BB20_26 Depth=1
	v_add_u32_e32 v10, v13, v4
	v_ashrrev_i32_e32 v11, 31, v10
	v_lshlrev_b64 v[10:11], 2, v[10:11]
	v_lshl_add_u64 v[14:15], s[10:11], 0, v[10:11]
	v_ashrrev_i32_e32 v5, 31, v4
	v_lshl_add_u64 v[16:17], v[4:5], 2, v[2:3]
	global_load_dword v5, v[14:15], off
	global_load_dword v9, v[16:17], off
	v_lshl_add_u64 v[10:11], s[12:13], 0, v[10:11]
	v_lshl_add_u64 v[6:7], v[6:7], 2, s[12:13]
	global_load_dword v12, v[10:11], off
	global_load_dword v14, v[6:7], off
	s_waitcnt vmcnt(2)
	v_fma_f32 v5, -v8, v5, v9
	s_waitcnt vmcnt(0)
	v_fma_f32 v8, -v8, v12, v14
	global_store_dword v[16:17], v5, off
	global_store_dword v[6:7], v8, off
	v_mov_b32_e32 v5, s26
	s_branch .LBB20_25
.LBB20_30:
	s_endpgm
	.section	.rodata,"a",@progbits
	.p2align	6, 0x0
	.amdhsa_kernel _ZN9rocsparseL18gtsv_LBM_wv_kernelILj256ELj4EfEEviiiPKT1_S3_S3_PS1_S4_S4_Pi
		.amdhsa_group_segment_fixed_size 0
		.amdhsa_private_segment_fixed_size 0
		.amdhsa_kernarg_size 72
		.amdhsa_user_sgpr_count 2
		.amdhsa_user_sgpr_dispatch_ptr 0
		.amdhsa_user_sgpr_queue_ptr 0
		.amdhsa_user_sgpr_kernarg_segment_ptr 1
		.amdhsa_user_sgpr_dispatch_id 0
		.amdhsa_user_sgpr_kernarg_preload_length 0
		.amdhsa_user_sgpr_kernarg_preload_offset 0
		.amdhsa_user_sgpr_private_segment_size 0
		.amdhsa_uses_dynamic_stack 0
		.amdhsa_enable_private_segment 0
		.amdhsa_system_sgpr_workgroup_id_x 1
		.amdhsa_system_sgpr_workgroup_id_y 0
		.amdhsa_system_sgpr_workgroup_id_z 0
		.amdhsa_system_sgpr_workgroup_info 0
		.amdhsa_system_vgpr_workitem_id 0
		.amdhsa_next_free_vgpr 39
		.amdhsa_next_free_sgpr 30
		.amdhsa_accum_offset 40
		.amdhsa_reserve_vcc 1
		.amdhsa_float_round_mode_32 0
		.amdhsa_float_round_mode_16_64 0
		.amdhsa_float_denorm_mode_32 3
		.amdhsa_float_denorm_mode_16_64 3
		.amdhsa_dx10_clamp 1
		.amdhsa_ieee_mode 1
		.amdhsa_fp16_overflow 0
		.amdhsa_tg_split 0
		.amdhsa_exception_fp_ieee_invalid_op 0
		.amdhsa_exception_fp_denorm_src 0
		.amdhsa_exception_fp_ieee_div_zero 0
		.amdhsa_exception_fp_ieee_overflow 0
		.amdhsa_exception_fp_ieee_underflow 0
		.amdhsa_exception_fp_ieee_inexact 0
		.amdhsa_exception_int_div_zero 0
	.end_amdhsa_kernel
	.section	.text._ZN9rocsparseL18gtsv_LBM_wv_kernelILj256ELj4EfEEviiiPKT1_S3_S3_PS1_S4_S4_Pi,"axG",@progbits,_ZN9rocsparseL18gtsv_LBM_wv_kernelILj256ELj4EfEEviiiPKT1_S3_S3_PS1_S4_S4_Pi,comdat
.Lfunc_end20:
	.size	_ZN9rocsparseL18gtsv_LBM_wv_kernelILj256ELj4EfEEviiiPKT1_S3_S3_PS1_S4_S4_Pi, .Lfunc_end20-_ZN9rocsparseL18gtsv_LBM_wv_kernelILj256ELj4EfEEviiiPKT1_S3_S3_PS1_S4_S4_Pi
                                        ; -- End function
	.set _ZN9rocsparseL18gtsv_LBM_wv_kernelILj256ELj4EfEEviiiPKT1_S3_S3_PS1_S4_S4_Pi.num_vgpr, 39
	.set _ZN9rocsparseL18gtsv_LBM_wv_kernelILj256ELj4EfEEviiiPKT1_S3_S3_PS1_S4_S4_Pi.num_agpr, 0
	.set _ZN9rocsparseL18gtsv_LBM_wv_kernelILj256ELj4EfEEviiiPKT1_S3_S3_PS1_S4_S4_Pi.numbered_sgpr, 30
	.set _ZN9rocsparseL18gtsv_LBM_wv_kernelILj256ELj4EfEEviiiPKT1_S3_S3_PS1_S4_S4_Pi.num_named_barrier, 0
	.set _ZN9rocsparseL18gtsv_LBM_wv_kernelILj256ELj4EfEEviiiPKT1_S3_S3_PS1_S4_S4_Pi.private_seg_size, 0
	.set _ZN9rocsparseL18gtsv_LBM_wv_kernelILj256ELj4EfEEviiiPKT1_S3_S3_PS1_S4_S4_Pi.uses_vcc, 1
	.set _ZN9rocsparseL18gtsv_LBM_wv_kernelILj256ELj4EfEEviiiPKT1_S3_S3_PS1_S4_S4_Pi.uses_flat_scratch, 0
	.set _ZN9rocsparseL18gtsv_LBM_wv_kernelILj256ELj4EfEEviiiPKT1_S3_S3_PS1_S4_S4_Pi.has_dyn_sized_stack, 0
	.set _ZN9rocsparseL18gtsv_LBM_wv_kernelILj256ELj4EfEEviiiPKT1_S3_S3_PS1_S4_S4_Pi.has_recursion, 0
	.set _ZN9rocsparseL18gtsv_LBM_wv_kernelILj256ELj4EfEEviiiPKT1_S3_S3_PS1_S4_S4_Pi.has_indirect_call, 0
	.section	.AMDGPU.csdata,"",@progbits
; Kernel info:
; codeLenInByte = 2116
; TotalNumSgprs: 36
; NumVgprs: 39
; NumAgprs: 0
; TotalNumVgprs: 39
; ScratchSize: 0
; MemoryBound: 0
; FloatMode: 240
; IeeeMode: 1
; LDSByteSize: 0 bytes/workgroup (compile time only)
; SGPRBlocks: 4
; VGPRBlocks: 4
; NumSGPRsForWavesPerEU: 36
; NumVGPRsForWavesPerEU: 39
; AccumOffset: 40
; Occupancy: 8
; WaveLimiterHint : 0
; COMPUTE_PGM_RSRC2:SCRATCH_EN: 0
; COMPUTE_PGM_RSRC2:USER_SGPR: 2
; COMPUTE_PGM_RSRC2:TRAP_HANDLER: 0
; COMPUTE_PGM_RSRC2:TGID_X_EN: 1
; COMPUTE_PGM_RSRC2:TGID_Y_EN: 0
; COMPUTE_PGM_RSRC2:TGID_Z_EN: 0
; COMPUTE_PGM_RSRC2:TIDIG_COMP_CNT: 0
; COMPUTE_PGM_RSRC3_GFX90A:ACCUM_OFFSET: 9
; COMPUTE_PGM_RSRC3_GFX90A:TG_SPLIT: 0
	.section	.text._ZN9rocsparseL19gtsv_LBM_rhs_kernelILj256ELj4ELj8EfEEviiiPKT2_S3_S3_PS1_S3_PKi,"axG",@progbits,_ZN9rocsparseL19gtsv_LBM_rhs_kernelILj256ELj4ELj8EfEEviiiPKT2_S3_S3_PS1_S3_PKi,comdat
	.globl	_ZN9rocsparseL19gtsv_LBM_rhs_kernelILj256ELj4ELj8EfEEviiiPKT2_S3_S3_PS1_S3_PKi ; -- Begin function _ZN9rocsparseL19gtsv_LBM_rhs_kernelILj256ELj4ELj8EfEEviiiPKT2_S3_S3_PS1_S3_PKi
	.p2align	8
	.type	_ZN9rocsparseL19gtsv_LBM_rhs_kernelILj256ELj4ELj8EfEEviiiPKT2_S3_S3_PS1_S3_PKi,@function
_ZN9rocsparseL19gtsv_LBM_rhs_kernelILj256ELj4ELj8EfEEviiiPKT2_S3_S3_PS1_S3_PKi: ; @_ZN9rocsparseL19gtsv_LBM_rhs_kernelILj256ELj4ELj8EfEEviiiPKT2_S3_S3_PS1_S3_PKi
; %bb.0:
	s_load_dword s23, s[0:1], 0x0
	v_lshl_or_b32 v0, s2, 8, v0
	s_waitcnt lgkmcnt(0)
	s_lshr_b32 s22, s23, 2
	v_cmp_gt_i32_e32 vcc, s22, v0
	s_and_saveexec_b64 s[4:5], vcc
	s_cbranch_execz .LBB21_29
; %bb.1:
	s_load_dwordx4 s[8:11], s[0:1], 0x28
	s_load_dwordx2 s[6:7], s[0:1], 0x38
	s_cmp_lt_i32 s23, 1
	v_add_u32_e32 v20, s22, v0
	s_mul_i32 s24, s3, s23
	s_cbranch_scc1 .LBB21_21
; %bb.2:
	s_load_dwordx4 s[12:15], s[0:1], 0x10
	s_load_dwordx2 s[16:17], s[0:1], 0x20
	v_ashrrev_i32_e32 v1, 31, v0
	s_lshl_b32 s27, s24, 3
	s_add_i32 s28, s27, s23
	s_waitcnt lgkmcnt(0)
	v_lshl_add_u64 v[2:3], v[0:1], 2, s[14:15]
	global_load_dword v23, v[2:3], off
	s_add_i32 s29, s28, s23
	s_add_i32 s30, s29, s23
	;; [unrolled: 1-line block ×5, first 2 shown]
	s_mul_i32 s25, s22, 3
	s_lshl_b32 s26, s22, 1
	v_add_u32_e32 v1, s22, v20
	s_add_i32 s35, s34, s23
	v_mov_b32_e32 v3, 0
	s_mov_b64 s[18:19], 0
	v_mov_b32_e32 v21, 0
	s_branch .LBB21_5
.LBB21_3:                               ;   in Loop: Header=BB21_5 Depth=1
	s_or_b64 exec, exec, s[4:5]
	v_fma_f32 v23, -v23, v28, v24
	v_mov_b32_e32 v2, s22
.LBB21_4:                               ;   in Loop: Header=BB21_5 Depth=1
	s_or_b64 exec, exec, s[2:3]
	v_add_u32_e32 v21, v2, v21
	v_cmp_le_i32_e32 vcc, s23, v21
	s_or_b64 s[18:19], vcc, s[18:19]
	s_andn2_b64 exec, exec, s[18:19]
	s_cbranch_execz .LBB21_20
.LBB21_5:                               ; =>This Inner Loop Header: Depth=1
	v_add_u32_e32 v18, v21, v0
	v_ashrrev_i32_e32 v19, 31, v18
	v_lshl_add_u64 v[4:5], v[18:19], 2, s[16:17]
	global_load_dword v26, v[4:5], off
	v_cmp_gt_u32_e64 s[0:1], s25, v21
	v_mov_b32_e32 v22, 0
	s_and_saveexec_b64 s[2:3], s[0:1]
	s_cbranch_execz .LBB21_7
; %bb.6:                                ;   in Loop: Header=BB21_5 Depth=1
	v_add_u32_e32 v4, v20, v21
	v_ashrrev_i32_e32 v5, 31, v4
	v_lshl_add_u64 v[4:5], v[4:5], 2, s[12:13]
	global_load_dword v22, v[4:5], off
.LBB21_7:                               ;   in Loop: Header=BB21_5 Depth=1
	s_or_b64 exec, exec, s[2:3]
	v_mov_b32_e32 v25, 0
	v_mov_b32_e32 v24, 0
	s_and_saveexec_b64 s[2:3], s[0:1]
	s_cbranch_execz .LBB21_9
; %bb.8:                                ;   in Loop: Header=BB21_5 Depth=1
	v_add_u32_e32 v4, v20, v21
	v_ashrrev_i32_e32 v5, 31, v4
	v_lshl_add_u64 v[4:5], v[4:5], 2, s[14:15]
	global_load_dword v24, v[4:5], off
.LBB21_9:                               ;   in Loop: Header=BB21_5 Depth=1
	s_or_b64 exec, exec, s[2:3]
	s_and_saveexec_b64 s[2:3], s[0:1]
	s_cbranch_execz .LBB21_11
; %bb.10:                               ;   in Loop: Header=BB21_5 Depth=1
	v_add_u32_e32 v4, v20, v21
	v_ashrrev_i32_e32 v5, 31, v4
	v_lshl_add_u64 v[4:5], v[4:5], 2, s[16:17]
	global_load_dword v25, v[4:5], off
.LBB21_11:                              ;   in Loop: Header=BB21_5 Depth=1
	s_or_b64 exec, exec, s[2:3]
	v_cmp_gt_u32_e64 s[2:3], s26, v21
	v_mov_b32_e32 v27, 0
	s_and_saveexec_b64 s[4:5], s[2:3]
	s_cbranch_execz .LBB21_13
; %bb.12:                               ;   in Loop: Header=BB21_5 Depth=1
	v_add_u32_e32 v4, v1, v21
	v_ashrrev_i32_e32 v5, 31, v4
	v_lshl_add_u64 v[4:5], v[4:5], 2, s[12:13]
	global_load_dword v27, v[4:5], off
.LBB21_13:                              ;   in Loop: Header=BB21_5 Depth=1
	s_or_b64 exec, exec, s[4:5]
	v_add_u32_e32 v2, s27, v18
	v_lshl_add_u64 v[16:17], v[2:3], 2, s[8:9]
	v_add_u32_e32 v2, s28, v18
	v_lshl_add_u64 v[4:5], v[18:19], 2, s[6:7]
	v_lshl_add_u64 v[12:13], v[2:3], 2, s[8:9]
	v_add_u32_e32 v2, s29, v18
	global_load_dword v28, v[4:5], off
	v_lshl_add_u64 v[4:5], v[2:3], 2, s[8:9]
	v_add_u32_e32 v2, s30, v18
	v_lshl_add_u64 v[6:7], v[2:3], 2, s[8:9]
	v_add_u32_e32 v2, s31, v18
	;; [unrolled: 2-line block ×5, first 2 shown]
	v_lshl_add_u64 v[18:19], v[2:3], 2, s[8:9]
	global_load_dword v29, v[16:17], off
	global_load_dword v30, v[12:13], off
	;; [unrolled: 1-line block ×8, first 2 shown]
	v_cmp_ne_u32_e64 s[4:5], s25, v21
	s_waitcnt vmcnt(8)
	v_cmp_ne_u32_e32 vcc, 1, v28
	s_and_b64 s[4:5], s[4:5], vcc
	v_mul_f32_e32 v28, v26, v22
	s_and_saveexec_b64 s[20:21], s[4:5]
	s_xor_b64 s[4:5], exec, s[20:21]
	s_cbranch_execz .LBB21_17
; %bb.14:                               ;   in Loop: Header=BB21_5 Depth=1
	v_fma_f32 v28, v23, v24, -v28
	v_div_scale_f32 v37, s[20:21], v28, v28, 1.0
	v_rcp_f32_e32 v38, v37
	v_add_u32_e32 v39, v20, v21
	v_add_u32_e32 v2, s27, v39
	v_lshl_add_u64 v[40:41], v[2:3], 2, s[8:9]
	global_load_dword v56, v[40:41], off
	v_fma_f32 v2, -v37, v38, 1.0
	v_fmac_f32_e32 v38, v2, v38
	v_add_u32_e32 v2, s28, v39
	v_lshl_add_u64 v[42:43], v[2:3], 2, s[8:9]
	v_add_u32_e32 v2, s29, v39
	global_load_dword v57, v[42:43], off
	v_lshl_add_u64 v[44:45], v[2:3], 2, s[8:9]
	v_add_u32_e32 v2, s30, v39
	v_div_scale_f32 v54, vcc, 1.0, v28, 1.0
	v_lshl_add_u64 v[46:47], v[2:3], 2, s[8:9]
	v_add_u32_e32 v2, s31, v39
	global_load_dword v58, v[44:45], off
	global_load_dword v59, v[46:47], off
	v_lshl_add_u64 v[48:49], v[2:3], 2, s[8:9]
	v_mul_f32_e32 v61, v54, v38
	v_add_u32_e32 v2, s33, v39
	v_lshl_add_u64 v[50:51], v[2:3], 2, s[8:9]
	v_fma_f32 v2, -v37, v61, v54
	global_load_dword v60, v[48:49], off
	global_load_dword v62, v[50:51], off
	v_fmac_f32_e32 v61, v2, v38
	v_add_u32_e32 v2, s34, v39
	v_lshl_add_u64 v[52:53], v[2:3], 2, s[8:9]
	v_add_u32_e32 v2, s35, v39
	global_load_dword v63, v[52:53], off
	v_fma_f32 v37, -v37, v61, v54
	v_lshl_add_u64 v[54:55], v[2:3], 2, s[8:9]
	global_load_dword v2, v[54:55], off
	v_div_fmas_f32 v37, v37, v38, v61
	v_div_fixup_f32 v28, v37, v28, 1.0
	s_waitcnt vmcnt(14)
	v_mul_f32_e32 v37, v28, v30
	s_waitcnt vmcnt(9)
	v_mul_f32_e32 v30, v28, v35
	v_mul_f32_e32 v39, v28, v29
	;; [unrolled: 1-line block ×7, first 2 shown]
	s_waitcnt vmcnt(8)
	v_mul_f32_e32 v29, v28, v36
	v_mul_f32_e32 v36, v22, v37
	s_waitcnt vmcnt(7)
	v_mul_f32_e32 v35, v28, v56
	v_mul_f32_e32 v56, v26, v35
	v_fma_f32 v56, v24, v39, -v56
	global_store_dword v[16:17], v56, off
	v_fma_f32 v61, v23, v35, -v34
	v_mul_f32_e32 v16, v22, v38
	s_waitcnt vmcnt(7)
	v_mul_f32_e32 v17, v28, v57
	v_mul_f32_e32 v57, v26, v17
	v_fma_f32 v57, v24, v37, -v57
	global_store_dword v[12:13], v57, off
	v_mul_f32_e32 v56, v22, v32
	v_mul_f32_e32 v57, v22, v33
	v_fma_f32 v36, v23, v17, -v36
	s_waitcnt vmcnt(7)
	v_mul_f32_e32 v34, v28, v58
	s_waitcnt vmcnt(6)
	v_mul_f32_e32 v13, v28, v59
	v_mul_f32_e32 v12, v26, v34
	v_fma_f32 v58, v23, v34, -v16
	v_fma_f32 v59, v24, v38, -v12
	global_store_dword v[4:5], v59, off
	v_fma_f32 v56, v23, v13, -v56
	s_waitcnt vmcnt(6)
	v_mul_f32_e32 v16, v28, v60
	v_mul_f32_e32 v60, v26, v13
	s_waitcnt vmcnt(5)
	v_mul_f32_e32 v12, v28, v62
	v_fma_f32 v4, v24, v32, -v60
	v_mul_f32_e32 v59, v26, v16
	global_store_dword v[6:7], v4, off
	s_waitcnt vmcnt(5)
	v_mul_f32_e32 v5, v28, v63
	v_fma_f32 v6, v24, v33, -v59
	v_mul_f32_e32 v7, v26, v12
	s_waitcnt vmcnt(4)
	v_mul_f32_e32 v4, v28, v2
	global_store_dword v[8:9], v6, off
	v_fma_f32 v2, v24, v31, -v7
	v_mul_f32_e32 v6, v26, v5
	global_store_dword v[10:11], v2, off
	v_fma_f32 v2, v24, v30, -v6
	;; [unrolled: 3-line block ×3, first 2 shown]
	v_fma_f32 v57, v23, v16, -v57
	global_store_dword v[18:19], v2, off
	global_store_dword v[40:41], v61, off
	;; [unrolled: 1-line block ×6, first 2 shown]
	v_mul_f32_e32 v2, v22, v31
	v_fma_f32 v2, v23, v12, -v2
	global_store_dword v[50:51], v2, off
	v_mul_f32_e32 v2, v22, v30
	v_fma_f32 v2, v23, v5, -v2
	global_store_dword v[52:53], v2, off
	;; [unrolled: 3-line block ×3, first 2 shown]
	v_mov_b32_e32 v2, 0
	s_and_saveexec_b64 s[20:21], s[2:3]
	s_cbranch_execz .LBB21_16
; %bb.15:                               ;   in Loop: Header=BB21_5 Depth=1
	v_add_u32_e32 v6, v1, v21
	v_add_u32_e32 v2, s27, v6
	v_lshl_add_u64 v[8:9], v[2:3], 2, s[8:9]
	global_load_dword v7, v[8:9], off
	v_mul_f32_e32 v23, v23, v27
	v_mul_f32_e32 v22, v22, v27
	;; [unrolled: 1-line block ×3, first 2 shown]
	v_fma_f32 v18, v22, v39, -v2
	v_add_u32_e32 v2, s28, v6
	v_lshl_add_u64 v[10:11], v[2:3], 2, s[8:9]
	v_add_u32_e32 v2, s29, v6
	global_load_dword v24, v[10:11], off
	v_lshl_add_u64 v[14:15], v[2:3], 2, s[8:9]
	v_mul_f32_e32 v4, v23, v4
	v_fma_f32 v4, v22, v29, -v4
	s_waitcnt vmcnt(1)
	v_add_f32_e32 v2, v18, v7
	global_store_dword v[8:9], v2, off
	global_load_dword v7, v[14:15], off
	v_mul_f32_e32 v2, v23, v17
	v_mul_f32_e32 v8, v23, v34
	v_fma_f32 v17, v22, v37, -v2
	v_add_u32_e32 v2, s30, v6
	v_fma_f32 v26, v22, v38, -v8
	v_lshl_add_u64 v[8:9], v[2:3], 2, s[8:9]
	v_add_u32_e32 v2, s31, v6
	v_lshl_add_u64 v[18:19], v[2:3], 2, s[8:9]
	s_waitcnt vmcnt(2)
	v_add_f32_e32 v2, v17, v24
	global_store_dword v[10:11], v2, off
	global_load_dword v17, v[8:9], off
	v_mul_f32_e32 v10, v23, v16
	s_waitcnt vmcnt(2)
	v_add_f32_e32 v2, v26, v7
	global_store_dword v[14:15], v2, off
	global_load_dword v7, v[18:19], off
	v_mul_f32_e32 v2, v23, v13
	v_fma_f32 v13, v22, v32, -v2
	v_add_u32_e32 v2, s33, v6
	v_fma_f32 v14, v22, v33, -v10
	v_lshl_add_u64 v[10:11], v[2:3], 2, s[8:9]
	s_waitcnt vmcnt(2)
	v_add_f32_e32 v2, v13, v17
	global_store_dword v[8:9], v2, off
	s_waitcnt vmcnt(1)
	v_add_f32_e32 v2, v14, v7
	global_store_dword v[18:19], v2, off
	global_load_dword v7, v[10:11], off
	v_mul_f32_e32 v2, v23, v12
	v_fma_f32 v12, v22, v31, -v2
	v_add_u32_e32 v2, s34, v6
	v_lshl_add_u64 v[8:9], v[2:3], 2, s[8:9]
	s_waitcnt vmcnt(0)
	v_add_f32_e32 v2, v12, v7
	global_store_dword v[10:11], v2, off
	global_load_dword v12, v[8:9], off
	v_mul_f32_e32 v2, v23, v5
	v_fma_f32 v5, v22, v30, -v2
	v_add_u32_e32 v2, s35, v6
	v_lshl_add_u64 v[10:11], v[2:3], 2, s[8:9]
	v_ashrrev_i32_e32 v7, 31, v6
	v_lshl_add_u64 v[6:7], v[6:7], 2, s[14:15]
	s_waitcnt vmcnt(0)
	v_add_f32_e32 v2, v5, v12
	global_store_dword v[8:9], v2, off
	global_load_dword v2, v[10:11], off
	s_waitcnt vmcnt(0)
	v_add_f32_e32 v2, v4, v2
	global_load_dword v5, v[6:7], off
	v_mul_f32_e32 v6, v25, v23
	global_store_dword v[10:11], v2, off
	s_waitcnt vmcnt(1)
	v_fma_f32 v2, -v28, v6, v5
.LBB21_16:                              ;   in Loop: Header=BB21_5 Depth=1
	s_or_b64 exec, exec, s[20:21]
	v_mov_b32_e32 v23, v2
                                        ; implicit-def: $vgpr22
                                        ; implicit-def: $vgpr24
                                        ; implicit-def: $vgpr28
                                        ; implicit-def: $vgpr16_vgpr17
                                        ; implicit-def: $vgpr29
                                        ; implicit-def: $vgpr12_vgpr13
                                        ; implicit-def: $vgpr30
                                        ; implicit-def: $vgpr4_vgpr5
                                        ; implicit-def: $vgpr31
                                        ; implicit-def: $vgpr6_vgpr7
                                        ; implicit-def: $vgpr32
                                        ; implicit-def: $vgpr8_vgpr9
                                        ; implicit-def: $vgpr33
                                        ; implicit-def: $vgpr10_vgpr11
                                        ; implicit-def: $vgpr34
                                        ; implicit-def: $vgpr14_vgpr15
                                        ; implicit-def: $vgpr35
                                        ; implicit-def: $vgpr18_vgpr19
                                        ; implicit-def: $vgpr36
.LBB21_17:                              ;   in Loop: Header=BB21_5 Depth=1
	s_or_saveexec_b64 s[2:3], s[4:5]
	v_mov_b32_e32 v2, s26
	s_xor_b64 exec, exec, s[2:3]
	s_cbranch_execz .LBB21_4
; %bb.18:                               ;   in Loop: Header=BB21_5 Depth=1
	v_div_scale_f32 v2, s[4:5], v23, v23, 1.0
	v_rcp_f32_e32 v25, v2
	v_div_scale_f32 v26, vcc, 1.0, v23, 1.0
	v_fma_f32 v27, -v2, v25, 1.0
	v_fmac_f32_e32 v25, v27, v25
	v_mul_f32_e32 v27, v26, v25
	v_fma_f32 v37, -v2, v27, v26
	v_fmac_f32_e32 v27, v37, v25
	v_fma_f32 v2, -v2, v27, v26
	v_div_fmas_f32 v2, v2, v25, v27
	v_div_fixup_f32 v23, v2, v23, 1.0
	s_waitcnt vmcnt(7)
	v_mul_f32_e32 v38, v23, v29
	s_waitcnt vmcnt(6)
	v_mul_f32_e32 v37, v23, v30
	;; [unrolled: 2-line block ×8, first 2 shown]
	global_store_dword v[16:17], v38, off
	global_store_dword v[12:13], v37, off
	;; [unrolled: 1-line block ×8, first 2 shown]
	s_and_saveexec_b64 s[4:5], s[0:1]
	s_cbranch_execz .LBB21_3
; %bb.19:                               ;   in Loop: Header=BB21_5 Depth=1
	v_add_u32_e32 v12, v20, v21
	v_add_u32_e32 v2, s27, v12
	v_lshl_add_u64 v[4:5], v[2:3], 2, s[8:9]
	global_load_dword v10, v[4:5], off
	v_add_u32_e32 v2, s28, v12
	v_lshl_add_u64 v[6:7], v[2:3], 2, s[8:9]
	v_add_u32_e32 v2, s29, v12
	global_load_dword v13, v[6:7], off
	v_lshl_add_u64 v[8:9], v[2:3], 2, s[8:9]
	s_waitcnt vmcnt(1)
	v_fma_f32 v2, -v22, v38, v10
	global_store_dword v[4:5], v2, off
	global_load_dword v14, v[8:9], off
	v_add_u32_e32 v2, s30, v12
	v_lshl_add_u64 v[4:5], v[2:3], 2, s[8:9]
	v_add_u32_e32 v2, s31, v12
	v_lshl_add_u64 v[10:11], v[2:3], 2, s[8:9]
	s_waitcnt vmcnt(2)
	v_fma_f32 v2, -v22, v37, v13
	global_store_dword v[6:7], v2, off
	global_load_dword v13, v[4:5], off
	s_waitcnt vmcnt(2)
	v_fma_f32 v2, -v22, v31, v14
	global_store_dword v[8:9], v2, off
	global_load_dword v8, v[10:11], off
	v_add_u32_e32 v2, s33, v12
	v_lshl_add_u64 v[6:7], v[2:3], 2, s[8:9]
	s_waitcnt vmcnt(2)
	v_fma_f32 v2, -v22, v30, v13
	global_store_dword v[4:5], v2, off
	s_waitcnt vmcnt(1)
	v_fma_f32 v2, -v22, v29, v8
	global_store_dword v[10:11], v2, off
	global_load_dword v8, v[6:7], off
	v_add_u32_e32 v2, s34, v12
	v_lshl_add_u64 v[4:5], v[2:3], 2, s[8:9]
	s_waitcnt vmcnt(0)
	v_fma_f32 v2, -v22, v27, v8
	global_store_dword v[6:7], v2, off
	global_load_dword v6, v[4:5], off
	v_add_u32_e32 v2, s35, v12
	s_waitcnt vmcnt(0)
	v_fma_f32 v6, -v22, v26, v6
	global_store_dword v[4:5], v6, off
	v_lshl_add_u64 v[4:5], v[2:3], 2, s[8:9]
	global_load_dword v2, v[4:5], off
	s_waitcnt vmcnt(0)
	v_fma_f32 v2, -v22, v25, v2
	global_store_dword v[4:5], v2, off
	s_branch .LBB21_3
.LBB21_20:
	s_or_b64 exec, exec, s[18:19]
	s_branch .LBB21_22
.LBB21_21:
	v_mov_b32_e32 v21, 0
.LBB21_22:
	v_subrev_u32_e32 v1, s22, v21
	v_add_u32_e32 v2, v1, v0
	v_ashrrev_i32_e32 v3, 31, v2
	s_waitcnt lgkmcnt(0)
	v_lshl_add_u64 v[2:3], v[2:3], 2, s[6:7]
	buffer_wbl2 sc1
	s_waitcnt vmcnt(0)
	buffer_inv sc1
	global_load_dword v2, v[2:3], off
	s_waitcnt vmcnt(0)
	v_mul_lo_u32 v2, v2, s22
	v_sub_u32_e32 v1, v1, v2
	v_cmp_lt_i32_e32 vcc, -1, v1
	s_and_b64 exec, exec, vcc
	s_cbranch_execz .LBB21_29
; %bb.23:
	s_lshl_b32 s4, s24, 3
	s_add_i32 s5, s4, s23
	s_add_i32 s12, s5, s23
	;; [unrolled: 1-line block ×7, first 2 shown]
	s_lshl_b32 s18, s22, 1
	s_mov_b64 s[0:1], 0
	v_mov_b32_e32 v3, 0
	s_branch .LBB21_25
.LBB21_24:                              ;   in Loop: Header=BB21_25 Depth=1
	s_or_b64 exec, exec, s[2:3]
	v_sub_u32_e32 v1, v1, v2
	v_cmp_gt_i32_e32 vcc, 0, v1
	s_or_b64 s[0:1], vcc, s[0:1]
	s_andn2_b64 exec, exec, s[0:1]
	s_cbranch_execz .LBB21_29
.LBB21_25:                              ; =>This Inner Loop Header: Depth=1
	v_add_u32_e32 v4, v1, v0
	s_waitcnt vmcnt(0)
	v_ashrrev_i32_e32 v5, 31, v4
	v_lshlrev_b64 v[6:7], 2, v[4:5]
	v_lshl_add_u64 v[8:9], s[6:7], 0, v[6:7]
	global_load_dword v2, v[8:9], off
	v_lshl_add_u64 v[6:7], s[10:11], 0, v[6:7]
	global_load_dword v5, v[6:7], off
	s_waitcnt vmcnt(1)
	v_cmp_ne_u32_e32 vcc, 1, v2
	s_and_saveexec_b64 s[2:3], vcc
	s_xor_b64 s[2:3], exec, s[2:3]
	s_cbranch_execz .LBB21_27
; %bb.26:                               ;   in Loop: Header=BB21_25 Depth=1
	v_add_u32_e32 v21, v20, v1
	v_add_u32_e32 v2, s4, v21
	v_lshl_add_u64 v[6:7], v[2:3], 2, s[8:9]
	v_add_u32_e32 v2, s5, v21
	v_lshl_add_u64 v[8:9], v[2:3], 2, s[8:9]
	;; [unrolled: 2-line block ×9, first 2 shown]
	global_load_dword v21, v[24:25], off
	global_load_dword v26, v[6:7], off
	;; [unrolled: 1-line block ×9, first 2 shown]
	v_add_u32_e32 v2, s5, v4
	v_lshl_add_u64 v[6:7], v[2:3], 2, s[8:9]
	s_waitcnt vmcnt(7)
	v_fma_f32 v2, -v5, v26, v21
	global_store_dword v[24:25], v2, off
	global_load_dword v10, v[6:7], off
	v_add_u32_e32 v2, s12, v4
	v_lshl_add_u64 v[8:9], v[2:3], 2, s[8:9]
	s_waitcnt vmcnt(0)
	v_fma_f32 v2, -v5, v27, v10
	global_store_dword v[6:7], v2, off
	global_load_dword v10, v[8:9], off
	;; [unrolled: 6-line block ×7, first 2 shown]
	v_subrev_u32_e32 v2, s22, v1
	v_add_u32_e32 v8, v2, v0
	v_ashrrev_i32_e32 v9, 31, v8
	v_lshl_add_u64 v[10:11], v[8:9], 2, s[10:11]
	v_add_u32_e32 v2, s4, v8
	global_load_dword v9, v[10:11], off
	v_lshl_add_u64 v[10:11], v[2:3], 2, s[8:9]
	s_waitcnt vmcnt(1)
	v_fma_f32 v2, -v5, v33, v4
	global_store_dword v[6:7], v2, off
	global_load_dword v6, v[10:11], off
	v_add_u32_e32 v2, s5, v8
	v_lshl_add_u64 v[4:5], v[2:3], 2, s[8:9]
	s_waitcnt vmcnt(0)
	v_fma_f32 v2, -v9, v26, v6
	global_store_dword v[10:11], v2, off
	global_load_dword v10, v[4:5], off
	v_add_u32_e32 v2, s12, v8
	;; [unrolled: 6-line block ×7, first 2 shown]
	s_waitcnt vmcnt(0)
	v_fma_f32 v4, -v9, v32, v4
	global_store_dword v[6:7], v4, off
	v_lshl_add_u64 v[4:5], v[2:3], 2, s[8:9]
	global_load_dword v2, v[4:5], off
	s_waitcnt vmcnt(0)
	v_fma_f32 v2, -v9, v33, v2
	global_store_dword v[4:5], v2, off
                                        ; implicit-def: $vgpr4
                                        ; implicit-def: $vgpr5
.LBB21_27:                              ;   in Loop: Header=BB21_25 Depth=1
	s_or_saveexec_b64 s[2:3], s[2:3]
	v_mov_b32_e32 v2, s18
	s_xor_b64 exec, exec, s[2:3]
	s_cbranch_execz .LBB21_24
; %bb.28:                               ;   in Loop: Header=BB21_25 Depth=1
	v_add_u32_e32 v12, v20, v1
	v_add_u32_e32 v2, s4, v12
	v_lshl_add_u64 v[6:7], v[2:3], 2, s[8:9]
	v_add_u32_e32 v2, s4, v4
	v_lshl_add_u64 v[8:9], v[2:3], 2, s[8:9]
	global_load_dword v13, v[6:7], off
	global_load_dword v14, v[8:9], off
	v_add_u32_e32 v2, s5, v12
	v_lshl_add_u64 v[6:7], v[2:3], 2, s[8:9]
	v_add_u32_e32 v2, s5, v4
	v_lshl_add_u64 v[10:11], v[2:3], 2, s[8:9]
	s_waitcnt vmcnt(0)
	v_fma_f32 v2, -v5, v13, v14
	global_store_dword v[8:9], v2, off
	global_load_dword v13, v[6:7], off
	global_load_dword v14, v[10:11], off
	v_add_u32_e32 v2, s12, v12
	v_lshl_add_u64 v[6:7], v[2:3], 2, s[8:9]
	v_add_u32_e32 v2, s12, v4
	v_lshl_add_u64 v[8:9], v[2:3], 2, s[8:9]
	s_waitcnt vmcnt(0)
	v_fma_f32 v2, -v5, v13, v14
	global_store_dword v[10:11], v2, off
	;; [unrolled: 9-line block ×7, first 2 shown]
	global_load_dword v2, v[6:7], off
	s_nop 0
	global_load_dword v4, v[10:11], off
	s_waitcnt vmcnt(0)
	v_fma_f32 v2, -v5, v2, v4
	global_store_dword v[10:11], v2, off
	v_mov_b32_e32 v2, s22
	s_branch .LBB21_24
.LBB21_29:
	s_endpgm
	.section	.rodata,"a",@progbits
	.p2align	6, 0x0
	.amdhsa_kernel _ZN9rocsparseL19gtsv_LBM_rhs_kernelILj256ELj4ELj8EfEEviiiPKT2_S3_S3_PS1_S3_PKi
		.amdhsa_group_segment_fixed_size 0
		.amdhsa_private_segment_fixed_size 0
		.amdhsa_kernarg_size 64
		.amdhsa_user_sgpr_count 2
		.amdhsa_user_sgpr_dispatch_ptr 0
		.amdhsa_user_sgpr_queue_ptr 0
		.amdhsa_user_sgpr_kernarg_segment_ptr 1
		.amdhsa_user_sgpr_dispatch_id 0
		.amdhsa_user_sgpr_kernarg_preload_length 0
		.amdhsa_user_sgpr_kernarg_preload_offset 0
		.amdhsa_user_sgpr_private_segment_size 0
		.amdhsa_uses_dynamic_stack 0
		.amdhsa_enable_private_segment 0
		.amdhsa_system_sgpr_workgroup_id_x 1
		.amdhsa_system_sgpr_workgroup_id_y 1
		.amdhsa_system_sgpr_workgroup_id_z 0
		.amdhsa_system_sgpr_workgroup_info 0
		.amdhsa_system_vgpr_workitem_id 0
		.amdhsa_next_free_vgpr 64
		.amdhsa_next_free_sgpr 36
		.amdhsa_accum_offset 64
		.amdhsa_reserve_vcc 1
		.amdhsa_float_round_mode_32 0
		.amdhsa_float_round_mode_16_64 0
		.amdhsa_float_denorm_mode_32 3
		.amdhsa_float_denorm_mode_16_64 3
		.amdhsa_dx10_clamp 1
		.amdhsa_ieee_mode 1
		.amdhsa_fp16_overflow 0
		.amdhsa_tg_split 0
		.amdhsa_exception_fp_ieee_invalid_op 0
		.amdhsa_exception_fp_denorm_src 0
		.amdhsa_exception_fp_ieee_div_zero 0
		.amdhsa_exception_fp_ieee_overflow 0
		.amdhsa_exception_fp_ieee_underflow 0
		.amdhsa_exception_fp_ieee_inexact 0
		.amdhsa_exception_int_div_zero 0
	.end_amdhsa_kernel
	.section	.text._ZN9rocsparseL19gtsv_LBM_rhs_kernelILj256ELj4ELj8EfEEviiiPKT2_S3_S3_PS1_S3_PKi,"axG",@progbits,_ZN9rocsparseL19gtsv_LBM_rhs_kernelILj256ELj4ELj8EfEEviiiPKT2_S3_S3_PS1_S3_PKi,comdat
.Lfunc_end21:
	.size	_ZN9rocsparseL19gtsv_LBM_rhs_kernelILj256ELj4ELj8EfEEviiiPKT2_S3_S3_PS1_S3_PKi, .Lfunc_end21-_ZN9rocsparseL19gtsv_LBM_rhs_kernelILj256ELj4ELj8EfEEviiiPKT2_S3_S3_PS1_S3_PKi
                                        ; -- End function
	.set _ZN9rocsparseL19gtsv_LBM_rhs_kernelILj256ELj4ELj8EfEEviiiPKT2_S3_S3_PS1_S3_PKi.num_vgpr, 64
	.set _ZN9rocsparseL19gtsv_LBM_rhs_kernelILj256ELj4ELj8EfEEviiiPKT2_S3_S3_PS1_S3_PKi.num_agpr, 0
	.set _ZN9rocsparseL19gtsv_LBM_rhs_kernelILj256ELj4ELj8EfEEviiiPKT2_S3_S3_PS1_S3_PKi.numbered_sgpr, 36
	.set _ZN9rocsparseL19gtsv_LBM_rhs_kernelILj256ELj4ELj8EfEEviiiPKT2_S3_S3_PS1_S3_PKi.num_named_barrier, 0
	.set _ZN9rocsparseL19gtsv_LBM_rhs_kernelILj256ELj4ELj8EfEEviiiPKT2_S3_S3_PS1_S3_PKi.private_seg_size, 0
	.set _ZN9rocsparseL19gtsv_LBM_rhs_kernelILj256ELj4ELj8EfEEviiiPKT2_S3_S3_PS1_S3_PKi.uses_vcc, 1
	.set _ZN9rocsparseL19gtsv_LBM_rhs_kernelILj256ELj4ELj8EfEEviiiPKT2_S3_S3_PS1_S3_PKi.uses_flat_scratch, 0
	.set _ZN9rocsparseL19gtsv_LBM_rhs_kernelILj256ELj4ELj8EfEEviiiPKT2_S3_S3_PS1_S3_PKi.has_dyn_sized_stack, 0
	.set _ZN9rocsparseL19gtsv_LBM_rhs_kernelILj256ELj4ELj8EfEEviiiPKT2_S3_S3_PS1_S3_PKi.has_recursion, 0
	.set _ZN9rocsparseL19gtsv_LBM_rhs_kernelILj256ELj4ELj8EfEEviiiPKT2_S3_S3_PS1_S3_PKi.has_indirect_call, 0
	.section	.AMDGPU.csdata,"",@progbits
; Kernel info:
; codeLenInByte = 3880
; TotalNumSgprs: 42
; NumVgprs: 64
; NumAgprs: 0
; TotalNumVgprs: 64
; ScratchSize: 0
; MemoryBound: 0
; FloatMode: 240
; IeeeMode: 1
; LDSByteSize: 0 bytes/workgroup (compile time only)
; SGPRBlocks: 5
; VGPRBlocks: 7
; NumSGPRsForWavesPerEU: 42
; NumVGPRsForWavesPerEU: 64
; AccumOffset: 64
; Occupancy: 8
; WaveLimiterHint : 0
; COMPUTE_PGM_RSRC2:SCRATCH_EN: 0
; COMPUTE_PGM_RSRC2:USER_SGPR: 2
; COMPUTE_PGM_RSRC2:TRAP_HANDLER: 0
; COMPUTE_PGM_RSRC2:TGID_X_EN: 1
; COMPUTE_PGM_RSRC2:TGID_Y_EN: 1
; COMPUTE_PGM_RSRC2:TGID_Z_EN: 0
; COMPUTE_PGM_RSRC2:TIDIG_COMP_CNT: 0
; COMPUTE_PGM_RSRC3_GFX90A:ACCUM_OFFSET: 15
; COMPUTE_PGM_RSRC3_GFX90A:TG_SPLIT: 0
	.section	.text._ZN9rocsparseL19gtsv_LBM_rhs_kernelILj256ELj4ELj4EfEEviiiPKT2_S3_S3_PS1_S3_PKi,"axG",@progbits,_ZN9rocsparseL19gtsv_LBM_rhs_kernelILj256ELj4ELj4EfEEviiiPKT2_S3_S3_PS1_S3_PKi,comdat
	.globl	_ZN9rocsparseL19gtsv_LBM_rhs_kernelILj256ELj4ELj4EfEEviiiPKT2_S3_S3_PS1_S3_PKi ; -- Begin function _ZN9rocsparseL19gtsv_LBM_rhs_kernelILj256ELj4ELj4EfEEviiiPKT2_S3_S3_PS1_S3_PKi
	.p2align	8
	.type	_ZN9rocsparseL19gtsv_LBM_rhs_kernelILj256ELj4ELj4EfEEviiiPKT2_S3_S3_PS1_S3_PKi,@function
_ZN9rocsparseL19gtsv_LBM_rhs_kernelILj256ELj4ELj4EfEEviiiPKT2_S3_S3_PS1_S3_PKi: ; @_ZN9rocsparseL19gtsv_LBM_rhs_kernelILj256ELj4ELj4EfEEviiiPKT2_S3_S3_PS1_S3_PKi
; %bb.0:
	s_load_dword s23, s[0:1], 0x0
	v_lshl_or_b32 v0, s2, 8, v0
	s_waitcnt lgkmcnt(0)
	s_lshr_b32 s22, s23, 2
	v_cmp_gt_i32_e32 vcc, s22, v0
	s_and_saveexec_b64 s[4:5], vcc
	s_cbranch_execz .LBB22_29
; %bb.1:
	s_load_dwordx4 s[8:11], s[0:1], 0x28
	s_load_dwordx2 s[6:7], s[0:1], 0x38
	s_cmp_lt_i32 s23, 1
	v_add_u32_e32 v12, s22, v0
	s_mul_i32 s24, s3, s23
	s_cbranch_scc1 .LBB22_21
; %bb.2:
	s_load_dwordx4 s[12:15], s[0:1], 0x10
	s_load_dwordx2 s[16:17], s[0:1], 0x20
	v_ashrrev_i32_e32 v1, 31, v0
	s_lshl_b32 s27, s24, 2
	s_add_i32 s28, s27, s23
	s_waitcnt lgkmcnt(0)
	v_lshl_add_u64 v[2:3], v[0:1], 2, s[14:15]
	global_load_dword v14, v[2:3], off
	s_add_i32 s29, s28, s23
	s_mul_i32 s25, s22, 3
	s_lshl_b32 s26, s22, 1
	v_add_u32_e32 v13, s22, v12
	s_add_i32 s30, s29, s23
	v_mov_b32_e32 v3, 0
	s_mov_b64 s[18:19], 0
	v_mov_b32_e32 v1, 0
	s_branch .LBB22_5
.LBB22_3:                               ;   in Loop: Header=BB22_5 Depth=1
	s_or_b64 exec, exec, s[4:5]
	v_fma_f32 v14, -v14, v20, v16
	v_mov_b32_e32 v2, s22
.LBB22_4:                               ;   in Loop: Header=BB22_5 Depth=1
	s_or_b64 exec, exec, s[2:3]
	v_add_u32_e32 v1, v2, v1
	v_cmp_le_i32_e32 vcc, s23, v1
	s_or_b64 s[18:19], vcc, s[18:19]
	s_andn2_b64 exec, exec, s[18:19]
	s_cbranch_execz .LBB22_20
.LBB22_5:                               ; =>This Inner Loop Header: Depth=1
	v_add_u32_e32 v10, v1, v0
	v_ashrrev_i32_e32 v11, 31, v10
	v_lshl_add_u64 v[4:5], v[10:11], 2, s[16:17]
	global_load_dword v18, v[4:5], off
	v_cmp_gt_u32_e64 s[0:1], s25, v1
	v_mov_b32_e32 v15, 0
	s_and_saveexec_b64 s[2:3], s[0:1]
	s_cbranch_execz .LBB22_7
; %bb.6:                                ;   in Loop: Header=BB22_5 Depth=1
	v_add_u32_e32 v4, v12, v1
	v_ashrrev_i32_e32 v5, 31, v4
	v_lshl_add_u64 v[4:5], v[4:5], 2, s[12:13]
	global_load_dword v15, v[4:5], off
.LBB22_7:                               ;   in Loop: Header=BB22_5 Depth=1
	s_or_b64 exec, exec, s[2:3]
	v_mov_b32_e32 v17, 0
	v_mov_b32_e32 v16, 0
	s_and_saveexec_b64 s[2:3], s[0:1]
	s_cbranch_execz .LBB22_9
; %bb.8:                                ;   in Loop: Header=BB22_5 Depth=1
	v_add_u32_e32 v4, v12, v1
	v_ashrrev_i32_e32 v5, 31, v4
	v_lshl_add_u64 v[4:5], v[4:5], 2, s[14:15]
	global_load_dword v16, v[4:5], off
.LBB22_9:                               ;   in Loop: Header=BB22_5 Depth=1
	s_or_b64 exec, exec, s[2:3]
	s_and_saveexec_b64 s[2:3], s[0:1]
	s_cbranch_execz .LBB22_11
; %bb.10:                               ;   in Loop: Header=BB22_5 Depth=1
	v_add_u32_e32 v4, v12, v1
	v_ashrrev_i32_e32 v5, 31, v4
	v_lshl_add_u64 v[4:5], v[4:5], 2, s[16:17]
	global_load_dword v17, v[4:5], off
.LBB22_11:                              ;   in Loop: Header=BB22_5 Depth=1
	s_or_b64 exec, exec, s[2:3]
	v_cmp_gt_u32_e64 s[2:3], s26, v1
	v_mov_b32_e32 v19, 0
	s_and_saveexec_b64 s[4:5], s[2:3]
	s_cbranch_execz .LBB22_13
; %bb.12:                               ;   in Loop: Header=BB22_5 Depth=1
	v_add_u32_e32 v4, v13, v1
	v_ashrrev_i32_e32 v5, 31, v4
	v_lshl_add_u64 v[4:5], v[4:5], 2, s[12:13]
	global_load_dword v19, v[4:5], off
.LBB22_13:                              ;   in Loop: Header=BB22_5 Depth=1
	s_or_b64 exec, exec, s[4:5]
	v_lshl_add_u64 v[4:5], v[10:11], 2, s[6:7]
	v_add_u32_e32 v2, s27, v10
	global_load_dword v20, v[4:5], off
	v_lshl_add_u64 v[4:5], v[2:3], 2, s[8:9]
	v_add_u32_e32 v2, s28, v10
	v_lshl_add_u64 v[6:7], v[2:3], 2, s[8:9]
	v_add_u32_e32 v2, s29, v10
	;; [unrolled: 2-line block ×3, first 2 shown]
	v_lshl_add_u64 v[10:11], v[2:3], 2, s[8:9]
	global_load_dword v21, v[4:5], off
	global_load_dword v22, v[6:7], off
	;; [unrolled: 1-line block ×4, first 2 shown]
	v_cmp_ne_u32_e64 s[4:5], s25, v1
	s_waitcnt vmcnt(4)
	v_cmp_ne_u32_e32 vcc, 1, v20
	s_and_b64 s[4:5], s[4:5], vcc
	v_mul_f32_e32 v20, v18, v15
	s_and_saveexec_b64 s[20:21], s[4:5]
	s_xor_b64 s[4:5], exec, s[20:21]
	s_cbranch_execz .LBB22_17
; %bb.14:                               ;   in Loop: Header=BB22_5 Depth=1
	v_add_u32_e32 v25, v12, v1
	v_add_u32_e32 v2, s27, v25
	v_lshl_add_u64 v[30:31], v[2:3], 2, s[8:9]
	v_add_u32_e32 v2, s28, v25
	v_lshl_add_u64 v[32:33], v[2:3], 2, s[8:9]
	v_add_u32_e32 v2, s29, v25
	global_load_dword v27, v[30:31], off
	global_load_dword v28, v[32:33], off
	v_lshl_add_u64 v[34:35], v[2:3], 2, s[8:9]
	v_add_u32_e32 v2, s30, v25
	global_load_dword v29, v[34:35], off
	v_lshl_add_u64 v[36:37], v[2:3], 2, s[8:9]
	global_load_dword v2, v[36:37], off
	v_fma_f32 v20, v14, v16, -v20
	v_div_scale_f32 v25, s[20:21], v20, v20, 1.0
	v_rcp_f32_e32 v26, v25
	v_div_scale_f32 v38, vcc, 1.0, v20, 1.0
	v_fma_f32 v39, -v25, v26, 1.0
	v_fmac_f32_e32 v26, v39, v26
	v_mul_f32_e32 v39, v38, v26
	v_fma_f32 v40, -v25, v39, v38
	v_fmac_f32_e32 v39, v40, v26
	v_fma_f32 v25, -v25, v39, v38
	v_div_fmas_f32 v25, v25, v26, v39
	v_div_fixup_f32 v20, v25, v20, 1.0
	s_waitcnt vmcnt(7)
	v_mul_f32_e32 v25, v20, v21
	s_waitcnt vmcnt(6)
	v_mul_f32_e32 v26, v20, v22
	s_waitcnt vmcnt(5)
	v_mul_f32_e32 v21, v20, v23
	v_mul_f32_e32 v23, v15, v25
	s_waitcnt vmcnt(4)
	v_mul_f32_e32 v22, v20, v24
	v_mul_f32_e32 v24, v15, v26
	;; [unrolled: 1-line block ×4, first 2 shown]
	s_waitcnt vmcnt(3)
	v_mul_f32_e32 v27, v20, v27
	s_waitcnt vmcnt(2)
	v_mul_f32_e32 v28, v20, v28
	v_mul_f32_e32 v40, v18, v27
	v_fma_f32 v41, v14, v27, -v23
	s_waitcnt vmcnt(1)
	v_mul_f32_e32 v23, v20, v29
	v_fma_f32 v29, v16, v25, -v40
	v_mul_f32_e32 v40, v18, v28
	v_fma_f32 v42, v14, v28, -v24
	s_waitcnt vmcnt(0)
	v_mul_f32_e32 v24, v20, v2
	global_store_dword v[4:5], v29, off
	v_fma_f32 v2, v16, v26, -v40
	v_mul_f32_e32 v4, v18, v23
	global_store_dword v[6:7], v2, off
	v_fma_f32 v2, v16, v21, -v4
	;; [unrolled: 3-line block ×3, first 2 shown]
	v_fma_f32 v5, v14, v23, -v38
	v_fma_f32 v6, v14, v24, -v39
	global_store_dword v[10:11], v2, off
	global_store_dword v[30:31], v41, off
	;; [unrolled: 1-line block ×5, first 2 shown]
	v_mov_b32_e32 v2, 0
	s_and_saveexec_b64 s[20:21], s[2:3]
	s_cbranch_execz .LBB22_16
; %bb.15:                               ;   in Loop: Header=BB22_5 Depth=1
	v_add_u32_e32 v4, v13, v1
	v_add_u32_e32 v2, s27, v4
	v_lshl_add_u64 v[6:7], v[2:3], 2, s[8:9]
	v_add_u32_e32 v2, s28, v4
	global_load_dword v16, v[6:7], off
	v_lshl_add_u64 v[8:9], v[2:3], 2, s[8:9]
	global_load_dword v18, v[8:9], off
	v_mul_f32_e32 v29, v15, v19
	v_mul_f32_e32 v19, v14, v19
	;; [unrolled: 1-line block ×4, first 2 shown]
	v_fma_f32 v25, v29, v25, -v2
	v_add_u32_e32 v2, s29, v4
	v_fma_f32 v26, v29, v26, -v10
	v_lshl_add_u64 v[10:11], v[2:3], 2, s[8:9]
	v_add_u32_e32 v2, s30, v4
	v_lshl_add_u64 v[14:15], v[2:3], 2, s[8:9]
	v_ashrrev_i32_e32 v5, 31, v4
	v_lshl_add_u64 v[4:5], v[4:5], 2, s[14:15]
	global_load_dword v4, v[4:5], off
	v_mul_f32_e32 v5, v19, v23
	v_fma_f32 v5, v29, v21, -v5
	s_waitcnt vmcnt(2)
	v_add_f32_e32 v2, v25, v16
	global_store_dword v[6:7], v2, off
	s_waitcnt vmcnt(2)
	v_add_f32_e32 v2, v26, v18
	global_store_dword v[8:9], v2, off
	global_load_dword v6, v[10:11], off
	v_mul_f32_e32 v7, v19, v24
	global_load_dword v2, v[14:15], off
	v_fma_f32 v7, v29, v22, -v7
	v_mul_f32_e32 v8, v17, v19
	s_waitcnt vmcnt(1)
	v_add_f32_e32 v5, v5, v6
	global_store_dword v[10:11], v5, off
	s_waitcnt vmcnt(1)
	v_add_f32_e32 v2, v7, v2
	global_store_dword v[14:15], v2, off
	v_fma_f32 v2, -v20, v8, v4
.LBB22_16:                              ;   in Loop: Header=BB22_5 Depth=1
	s_or_b64 exec, exec, s[20:21]
	v_mov_b32_e32 v14, v2
                                        ; implicit-def: $vgpr15
                                        ; implicit-def: $vgpr16
                                        ; implicit-def: $vgpr20
                                        ; implicit-def: $vgpr4_vgpr5
                                        ; implicit-def: $vgpr21
                                        ; implicit-def: $vgpr6_vgpr7
                                        ; implicit-def: $vgpr22
                                        ; implicit-def: $vgpr8_vgpr9
                                        ; implicit-def: $vgpr23
                                        ; implicit-def: $vgpr10_vgpr11
                                        ; implicit-def: $vgpr24
.LBB22_17:                              ;   in Loop: Header=BB22_5 Depth=1
	s_or_saveexec_b64 s[2:3], s[4:5]
	v_mov_b32_e32 v2, s26
	s_xor_b64 exec, exec, s[2:3]
	s_cbranch_execz .LBB22_4
; %bb.18:                               ;   in Loop: Header=BB22_5 Depth=1
	v_div_scale_f32 v2, s[4:5], v14, v14, 1.0
	v_rcp_f32_e32 v17, v2
	v_div_scale_f32 v18, vcc, 1.0, v14, 1.0
	v_fma_f32 v19, -v2, v17, 1.0
	v_fmac_f32_e32 v17, v19, v17
	v_mul_f32_e32 v19, v18, v17
	v_fma_f32 v25, -v2, v19, v18
	v_fmac_f32_e32 v19, v25, v17
	v_fma_f32 v2, -v2, v19, v18
	v_div_fmas_f32 v2, v2, v17, v19
	v_div_fixup_f32 v14, v2, v14, 1.0
	s_waitcnt vmcnt(3)
	v_mul_f32_e32 v21, v14, v21
	s_waitcnt vmcnt(2)
	v_mul_f32_e32 v19, v14, v22
	;; [unrolled: 2-line block ×4, first 2 shown]
	global_store_dword v[4:5], v21, off
	global_store_dword v[6:7], v19, off
	;; [unrolled: 1-line block ×4, first 2 shown]
	s_and_saveexec_b64 s[4:5], s[0:1]
	s_cbranch_execz .LBB22_3
; %bb.19:                               ;   in Loop: Header=BB22_5 Depth=1
	v_add_u32_e32 v10, v12, v1
	v_add_u32_e32 v2, s27, v10
	v_lshl_add_u64 v[4:5], v[2:3], 2, s[8:9]
	v_add_u32_e32 v2, s28, v10
	global_load_dword v22, v[4:5], off
	v_lshl_add_u64 v[6:7], v[2:3], 2, s[8:9]
	global_load_dword v23, v[6:7], off
	v_add_u32_e32 v2, s29, v10
	v_lshl_add_u64 v[8:9], v[2:3], 2, s[8:9]
	v_add_u32_e32 v2, s30, v10
	v_lshl_add_u64 v[10:11], v[2:3], 2, s[8:9]
	s_waitcnt vmcnt(1)
	v_fma_f32 v2, -v15, v21, v22
	global_store_dword v[4:5], v2, off
	s_waitcnt vmcnt(1)
	v_fma_f32 v2, -v15, v19, v23
	global_store_dword v[6:7], v2, off
	global_load_dword v4, v[8:9], off
	s_nop 0
	global_load_dword v2, v[10:11], off
	s_waitcnt vmcnt(1)
	v_fma_f32 v4, -v15, v18, v4
	global_store_dword v[8:9], v4, off
	s_waitcnt vmcnt(1)
	v_fma_f32 v2, -v15, v17, v2
	global_store_dword v[10:11], v2, off
	s_branch .LBB22_3
.LBB22_20:
	s_or_b64 exec, exec, s[18:19]
	s_branch .LBB22_22
.LBB22_21:
	v_mov_b32_e32 v1, 0
.LBB22_22:
	v_subrev_u32_e32 v1, s22, v1
	v_add_u32_e32 v2, v1, v0
	v_ashrrev_i32_e32 v3, 31, v2
	s_waitcnt lgkmcnt(0)
	v_lshl_add_u64 v[2:3], v[2:3], 2, s[6:7]
	buffer_wbl2 sc1
	s_waitcnt vmcnt(0)
	buffer_inv sc1
	global_load_dword v2, v[2:3], off
	s_waitcnt vmcnt(0)
	v_mul_lo_u32 v2, v2, s22
	v_sub_u32_e32 v1, v1, v2
	v_cmp_lt_i32_e32 vcc, -1, v1
	s_and_b64 exec, exec, vcc
	s_cbranch_execz .LBB22_29
; %bb.23:
	s_lshl_b32 s4, s24, 2
	s_add_i32 s5, s4, s23
	s_add_i32 s12, s5, s23
	s_add_i32 s13, s12, s23
	s_lshl_b32 s14, s22, 1
	s_mov_b64 s[0:1], 0
	v_mov_b32_e32 v3, 0
	s_branch .LBB22_25
.LBB22_24:                              ;   in Loop: Header=BB22_25 Depth=1
	s_or_b64 exec, exec, s[2:3]
	v_sub_u32_e32 v1, v1, v2
	v_cmp_gt_i32_e32 vcc, 0, v1
	s_or_b64 s[0:1], vcc, s[0:1]
	s_andn2_b64 exec, exec, s[0:1]
	s_cbranch_execz .LBB22_29
.LBB22_25:                              ; =>This Inner Loop Header: Depth=1
	v_add_u32_e32 v4, v1, v0
	s_waitcnt vmcnt(0)
	v_ashrrev_i32_e32 v5, 31, v4
	v_lshlrev_b64 v[6:7], 2, v[4:5]
	v_lshl_add_u64 v[8:9], s[6:7], 0, v[6:7]
	global_load_dword v2, v[8:9], off
	v_lshl_add_u64 v[6:7], s[10:11], 0, v[6:7]
	global_load_dword v5, v[6:7], off
	s_waitcnt vmcnt(1)
	v_cmp_ne_u32_e32 vcc, 1, v2
	s_and_saveexec_b64 s[2:3], vcc
	s_xor_b64 s[2:3], exec, s[2:3]
	s_cbranch_execz .LBB22_27
; %bb.26:                               ;   in Loop: Header=BB22_25 Depth=1
	v_add_u32_e32 v13, v12, v1
	v_add_u32_e32 v2, s4, v13
	v_lshl_add_u64 v[6:7], v[2:3], 2, s[8:9]
	v_add_u32_e32 v2, s5, v13
	v_lshl_add_u64 v[8:9], v[2:3], 2, s[8:9]
	;; [unrolled: 2-line block ×5, first 2 shown]
	global_load_dword v13, v[6:7], off
	global_load_dword v18, v[16:17], off
	;; [unrolled: 1-line block ×5, first 2 shown]
	v_add_u32_e32 v2, s5, v4
	v_lshl_add_u64 v[6:7], v[2:3], 2, s[8:9]
	s_waitcnt vmcnt(3)
	v_fma_f32 v2, -v5, v13, v18
	global_store_dword v[16:17], v2, off
	global_load_dword v10, v[6:7], off
	v_add_u32_e32 v2, s12, v4
	v_lshl_add_u64 v[8:9], v[2:3], 2, s[8:9]
	s_waitcnt vmcnt(0)
	v_fma_f32 v2, -v5, v19, v10
	global_store_dword v[6:7], v2, off
	global_load_dword v10, v[8:9], off
	;; [unrolled: 6-line block ×3, first 2 shown]
	v_subrev_u32_e32 v2, s22, v1
	v_add_u32_e32 v8, v2, v0
	v_ashrrev_i32_e32 v9, 31, v8
	v_lshl_add_u64 v[10:11], v[8:9], 2, s[10:11]
	v_add_u32_e32 v2, s4, v8
	global_load_dword v9, v[10:11], off
	v_lshl_add_u64 v[10:11], v[2:3], 2, s[8:9]
	s_waitcnt vmcnt(1)
	v_fma_f32 v2, -v5, v21, v4
	global_store_dword v[6:7], v2, off
	global_load_dword v6, v[10:11], off
	v_add_u32_e32 v2, s5, v8
	v_lshl_add_u64 v[4:5], v[2:3], 2, s[8:9]
	s_waitcnt vmcnt(0)
	v_fma_f32 v2, -v9, v13, v6
	global_store_dword v[10:11], v2, off
	global_load_dword v10, v[4:5], off
	v_add_u32_e32 v2, s12, v8
	;; [unrolled: 6-line block ×3, first 2 shown]
	s_waitcnt vmcnt(0)
	v_fma_f32 v4, -v9, v20, v4
	global_store_dword v[6:7], v4, off
	v_lshl_add_u64 v[4:5], v[2:3], 2, s[8:9]
	global_load_dword v2, v[4:5], off
	s_waitcnt vmcnt(0)
	v_fma_f32 v2, -v9, v21, v2
	global_store_dword v[4:5], v2, off
                                        ; implicit-def: $vgpr4
                                        ; implicit-def: $vgpr5
.LBB22_27:                              ;   in Loop: Header=BB22_25 Depth=1
	s_or_saveexec_b64 s[2:3], s[2:3]
	v_mov_b32_e32 v2, s14
	s_xor_b64 exec, exec, s[2:3]
	s_cbranch_execz .LBB22_24
; %bb.28:                               ;   in Loop: Header=BB22_25 Depth=1
	v_add_u32_e32 v13, v12, v1
	v_add_u32_e32 v2, s4, v13
	v_lshl_add_u64 v[6:7], v[2:3], 2, s[8:9]
	v_add_u32_e32 v2, s4, v4
	v_lshl_add_u64 v[8:9], v[2:3], 2, s[8:9]
	global_load_dword v14, v[6:7], off
	global_load_dword v15, v[8:9], off
	v_add_u32_e32 v2, s5, v13
	v_lshl_add_u64 v[6:7], v[2:3], 2, s[8:9]
	v_add_u32_e32 v2, s5, v4
	v_lshl_add_u64 v[10:11], v[2:3], 2, s[8:9]
	s_waitcnt vmcnt(0)
	v_fma_f32 v2, -v5, v14, v15
	global_store_dword v[8:9], v2, off
	global_load_dword v14, v[6:7], off
	global_load_dword v15, v[10:11], off
	v_add_u32_e32 v2, s12, v13
	v_lshl_add_u64 v[6:7], v[2:3], 2, s[8:9]
	v_add_u32_e32 v2, s12, v4
	v_lshl_add_u64 v[8:9], v[2:3], 2, s[8:9]
	s_waitcnt vmcnt(0)
	v_fma_f32 v2, -v5, v14, v15
	global_store_dword v[10:11], v2, off
	;; [unrolled: 9-line block ×3, first 2 shown]
	global_load_dword v2, v[6:7], off
	s_nop 0
	global_load_dword v4, v[10:11], off
	s_waitcnt vmcnt(0)
	v_fma_f32 v2, -v5, v2, v4
	global_store_dword v[10:11], v2, off
	v_mov_b32_e32 v2, s22
	s_branch .LBB22_24
.LBB22_29:
	s_endpgm
	.section	.rodata,"a",@progbits
	.p2align	6, 0x0
	.amdhsa_kernel _ZN9rocsparseL19gtsv_LBM_rhs_kernelILj256ELj4ELj4EfEEviiiPKT2_S3_S3_PS1_S3_PKi
		.amdhsa_group_segment_fixed_size 0
		.amdhsa_private_segment_fixed_size 0
		.amdhsa_kernarg_size 64
		.amdhsa_user_sgpr_count 2
		.amdhsa_user_sgpr_dispatch_ptr 0
		.amdhsa_user_sgpr_queue_ptr 0
		.amdhsa_user_sgpr_kernarg_segment_ptr 1
		.amdhsa_user_sgpr_dispatch_id 0
		.amdhsa_user_sgpr_kernarg_preload_length 0
		.amdhsa_user_sgpr_kernarg_preload_offset 0
		.amdhsa_user_sgpr_private_segment_size 0
		.amdhsa_uses_dynamic_stack 0
		.amdhsa_enable_private_segment 0
		.amdhsa_system_sgpr_workgroup_id_x 1
		.amdhsa_system_sgpr_workgroup_id_y 1
		.amdhsa_system_sgpr_workgroup_id_z 0
		.amdhsa_system_sgpr_workgroup_info 0
		.amdhsa_system_vgpr_workitem_id 0
		.amdhsa_next_free_vgpr 43
		.amdhsa_next_free_sgpr 31
		.amdhsa_accum_offset 44
		.amdhsa_reserve_vcc 1
		.amdhsa_float_round_mode_32 0
		.amdhsa_float_round_mode_16_64 0
		.amdhsa_float_denorm_mode_32 3
		.amdhsa_float_denorm_mode_16_64 3
		.amdhsa_dx10_clamp 1
		.amdhsa_ieee_mode 1
		.amdhsa_fp16_overflow 0
		.amdhsa_tg_split 0
		.amdhsa_exception_fp_ieee_invalid_op 0
		.amdhsa_exception_fp_denorm_src 0
		.amdhsa_exception_fp_ieee_div_zero 0
		.amdhsa_exception_fp_ieee_overflow 0
		.amdhsa_exception_fp_ieee_underflow 0
		.amdhsa_exception_fp_ieee_inexact 0
		.amdhsa_exception_int_div_zero 0
	.end_amdhsa_kernel
	.section	.text._ZN9rocsparseL19gtsv_LBM_rhs_kernelILj256ELj4ELj4EfEEviiiPKT2_S3_S3_PS1_S3_PKi,"axG",@progbits,_ZN9rocsparseL19gtsv_LBM_rhs_kernelILj256ELj4ELj4EfEEviiiPKT2_S3_S3_PS1_S3_PKi,comdat
.Lfunc_end22:
	.size	_ZN9rocsparseL19gtsv_LBM_rhs_kernelILj256ELj4ELj4EfEEviiiPKT2_S3_S3_PS1_S3_PKi, .Lfunc_end22-_ZN9rocsparseL19gtsv_LBM_rhs_kernelILj256ELj4ELj4EfEEviiiPKT2_S3_S3_PS1_S3_PKi
                                        ; -- End function
	.set _ZN9rocsparseL19gtsv_LBM_rhs_kernelILj256ELj4ELj4EfEEviiiPKT2_S3_S3_PS1_S3_PKi.num_vgpr, 43
	.set _ZN9rocsparseL19gtsv_LBM_rhs_kernelILj256ELj4ELj4EfEEviiiPKT2_S3_S3_PS1_S3_PKi.num_agpr, 0
	.set _ZN9rocsparseL19gtsv_LBM_rhs_kernelILj256ELj4ELj4EfEEviiiPKT2_S3_S3_PS1_S3_PKi.numbered_sgpr, 31
	.set _ZN9rocsparseL19gtsv_LBM_rhs_kernelILj256ELj4ELj4EfEEviiiPKT2_S3_S3_PS1_S3_PKi.num_named_barrier, 0
	.set _ZN9rocsparseL19gtsv_LBM_rhs_kernelILj256ELj4ELj4EfEEviiiPKT2_S3_S3_PS1_S3_PKi.private_seg_size, 0
	.set _ZN9rocsparseL19gtsv_LBM_rhs_kernelILj256ELj4ELj4EfEEviiiPKT2_S3_S3_PS1_S3_PKi.uses_vcc, 1
	.set _ZN9rocsparseL19gtsv_LBM_rhs_kernelILj256ELj4ELj4EfEEviiiPKT2_S3_S3_PS1_S3_PKi.uses_flat_scratch, 0
	.set _ZN9rocsparseL19gtsv_LBM_rhs_kernelILj256ELj4ELj4EfEEviiiPKT2_S3_S3_PS1_S3_PKi.has_dyn_sized_stack, 0
	.set _ZN9rocsparseL19gtsv_LBM_rhs_kernelILj256ELj4ELj4EfEEviiiPKT2_S3_S3_PS1_S3_PKi.has_recursion, 0
	.set _ZN9rocsparseL19gtsv_LBM_rhs_kernelILj256ELj4ELj4EfEEviiiPKT2_S3_S3_PS1_S3_PKi.has_indirect_call, 0
	.section	.AMDGPU.csdata,"",@progbits
; Kernel info:
; codeLenInByte = 2428
; TotalNumSgprs: 37
; NumVgprs: 43
; NumAgprs: 0
; TotalNumVgprs: 43
; ScratchSize: 0
; MemoryBound: 0
; FloatMode: 240
; IeeeMode: 1
; LDSByteSize: 0 bytes/workgroup (compile time only)
; SGPRBlocks: 4
; VGPRBlocks: 5
; NumSGPRsForWavesPerEU: 37
; NumVGPRsForWavesPerEU: 43
; AccumOffset: 44
; Occupancy: 8
; WaveLimiterHint : 0
; COMPUTE_PGM_RSRC2:SCRATCH_EN: 0
; COMPUTE_PGM_RSRC2:USER_SGPR: 2
; COMPUTE_PGM_RSRC2:TRAP_HANDLER: 0
; COMPUTE_PGM_RSRC2:TGID_X_EN: 1
; COMPUTE_PGM_RSRC2:TGID_Y_EN: 1
; COMPUTE_PGM_RSRC2:TGID_Z_EN: 0
; COMPUTE_PGM_RSRC2:TIDIG_COMP_CNT: 0
; COMPUTE_PGM_RSRC3_GFX90A:ACCUM_OFFSET: 10
; COMPUTE_PGM_RSRC3_GFX90A:TG_SPLIT: 0
	.section	.text._ZN9rocsparseL19gtsv_LBM_rhs_kernelILj256ELj4ELj2EfEEviiiPKT2_S3_S3_PS1_S3_PKi,"axG",@progbits,_ZN9rocsparseL19gtsv_LBM_rhs_kernelILj256ELj4ELj2EfEEviiiPKT2_S3_S3_PS1_S3_PKi,comdat
	.globl	_ZN9rocsparseL19gtsv_LBM_rhs_kernelILj256ELj4ELj2EfEEviiiPKT2_S3_S3_PS1_S3_PKi ; -- Begin function _ZN9rocsparseL19gtsv_LBM_rhs_kernelILj256ELj4ELj2EfEEviiiPKT2_S3_S3_PS1_S3_PKi
	.p2align	8
	.type	_ZN9rocsparseL19gtsv_LBM_rhs_kernelILj256ELj4ELj2EfEEviiiPKT2_S3_S3_PS1_S3_PKi,@function
_ZN9rocsparseL19gtsv_LBM_rhs_kernelILj256ELj4ELj2EfEEviiiPKT2_S3_S3_PS1_S3_PKi: ; @_ZN9rocsparseL19gtsv_LBM_rhs_kernelILj256ELj4ELj2EfEEviiiPKT2_S3_S3_PS1_S3_PKi
; %bb.0:
	s_load_dword s23, s[0:1], 0x0
	v_lshl_or_b32 v0, s2, 8, v0
	s_waitcnt lgkmcnt(0)
	s_lshr_b32 s22, s23, 2
	v_cmp_gt_i32_e32 vcc, s22, v0
	s_and_saveexec_b64 s[4:5], vcc
	s_cbranch_execz .LBB23_29
; %bb.1:
	s_load_dwordx4 s[8:11], s[0:1], 0x28
	s_load_dwordx2 s[6:7], s[0:1], 0x38
	s_cmp_lt_i32 s23, 1
	v_add_u32_e32 v8, s22, v0
	s_mul_i32 s24, s3, s23
	s_cbranch_scc1 .LBB23_21
; %bb.2:
	s_load_dwordx4 s[12:15], s[0:1], 0x10
	s_load_dwordx2 s[16:17], s[0:1], 0x20
	v_ashrrev_i32_e32 v1, 31, v0
	s_lshl_b32 s27, s24, 1
	s_mul_i32 s25, s22, 3
	s_waitcnt lgkmcnt(0)
	v_lshl_add_u64 v[2:3], v[0:1], 2, s[14:15]
	global_load_dword v10, v[2:3], off
	s_lshl_b32 s26, s22, 1
	v_add_u32_e32 v9, s22, v8
	s_add_i32 s28, s27, s23
	v_mov_b32_e32 v3, 0
	s_mov_b64 s[18:19], 0
	v_mov_b32_e32 v1, 0
	s_branch .LBB23_5
.LBB23_3:                               ;   in Loop: Header=BB23_5 Depth=1
	s_or_b64 exec, exec, s[4:5]
	v_fma_f32 v10, -v10, v16, v12
	v_mov_b32_e32 v2, s22
.LBB23_4:                               ;   in Loop: Header=BB23_5 Depth=1
	s_or_b64 exec, exec, s[2:3]
	v_add_u32_e32 v1, v2, v1
	v_cmp_le_i32_e32 vcc, s23, v1
	s_or_b64 s[18:19], vcc, s[18:19]
	s_andn2_b64 exec, exec, s[18:19]
	s_cbranch_execz .LBB23_20
.LBB23_5:                               ; =>This Inner Loop Header: Depth=1
	v_add_u32_e32 v6, v1, v0
	v_ashrrev_i32_e32 v7, 31, v6
	v_lshl_add_u64 v[4:5], v[6:7], 2, s[16:17]
	global_load_dword v14, v[4:5], off
	v_cmp_gt_u32_e64 s[0:1], s25, v1
	v_mov_b32_e32 v11, 0
	s_and_saveexec_b64 s[2:3], s[0:1]
	s_cbranch_execz .LBB23_7
; %bb.6:                                ;   in Loop: Header=BB23_5 Depth=1
	v_add_u32_e32 v4, v8, v1
	v_ashrrev_i32_e32 v5, 31, v4
	v_lshl_add_u64 v[4:5], v[4:5], 2, s[12:13]
	global_load_dword v11, v[4:5], off
.LBB23_7:                               ;   in Loop: Header=BB23_5 Depth=1
	s_or_b64 exec, exec, s[2:3]
	v_mov_b32_e32 v13, 0
	v_mov_b32_e32 v12, 0
	s_and_saveexec_b64 s[2:3], s[0:1]
	s_cbranch_execz .LBB23_9
; %bb.8:                                ;   in Loop: Header=BB23_5 Depth=1
	v_add_u32_e32 v4, v8, v1
	v_ashrrev_i32_e32 v5, 31, v4
	v_lshl_add_u64 v[4:5], v[4:5], 2, s[14:15]
	global_load_dword v12, v[4:5], off
.LBB23_9:                               ;   in Loop: Header=BB23_5 Depth=1
	s_or_b64 exec, exec, s[2:3]
	s_and_saveexec_b64 s[2:3], s[0:1]
	s_cbranch_execz .LBB23_11
; %bb.10:                               ;   in Loop: Header=BB23_5 Depth=1
	v_add_u32_e32 v4, v8, v1
	v_ashrrev_i32_e32 v5, 31, v4
	v_lshl_add_u64 v[4:5], v[4:5], 2, s[16:17]
	global_load_dword v13, v[4:5], off
.LBB23_11:                              ;   in Loop: Header=BB23_5 Depth=1
	s_or_b64 exec, exec, s[2:3]
	v_cmp_gt_u32_e64 s[2:3], s26, v1
	v_mov_b32_e32 v15, 0
	s_and_saveexec_b64 s[4:5], s[2:3]
	s_cbranch_execz .LBB23_13
; %bb.12:                               ;   in Loop: Header=BB23_5 Depth=1
	v_add_u32_e32 v4, v9, v1
	v_ashrrev_i32_e32 v5, 31, v4
	v_lshl_add_u64 v[4:5], v[4:5], 2, s[12:13]
	global_load_dword v15, v[4:5], off
.LBB23_13:                              ;   in Loop: Header=BB23_5 Depth=1
	s_or_b64 exec, exec, s[4:5]
	v_lshl_add_u64 v[4:5], v[6:7], 2, s[6:7]
	global_load_dword v16, v[4:5], off
	v_add_u32_e32 v2, s27, v6
	v_lshl_add_u64 v[4:5], v[2:3], 2, s[8:9]
	v_add_u32_e32 v2, s28, v6
	v_lshl_add_u64 v[6:7], v[2:3], 2, s[8:9]
	global_load_dword v17, v[4:5], off
	global_load_dword v18, v[6:7], off
	v_cmp_ne_u32_e32 vcc, s25, v1
	s_waitcnt vmcnt(2)
	v_cmp_ne_u32_e64 s[4:5], 1, v16
	s_and_b64 s[4:5], vcc, s[4:5]
	v_mul_f32_e32 v16, v14, v11
	s_and_saveexec_b64 s[20:21], s[4:5]
	s_xor_b64 s[4:5], exec, s[20:21]
	s_cbranch_execz .LBB23_17
; %bb.14:                               ;   in Loop: Header=BB23_5 Depth=1
	v_add_u32_e32 v19, v8, v1
	v_add_u32_e32 v2, s27, v19
	v_lshl_add_u64 v[22:23], v[2:3], 2, s[8:9]
	v_add_u32_e32 v2, s28, v19
	v_lshl_add_u64 v[24:25], v[2:3], 2, s[8:9]
	global_load_dword v2, v[22:23], off
	global_load_dword v20, v[24:25], off
	v_fma_f32 v16, v10, v12, -v16
	v_div_scale_f32 v19, s[20:21], v16, v16, 1.0
	v_rcp_f32_e32 v21, v19
	v_div_scale_f32 v26, vcc, 1.0, v16, 1.0
	v_fma_f32 v27, -v19, v21, 1.0
	v_fmac_f32_e32 v21, v27, v21
	v_mul_f32_e32 v27, v26, v21
	v_fma_f32 v28, -v19, v27, v26
	v_fmac_f32_e32 v27, v28, v21
	v_fma_f32 v19, -v19, v27, v26
	v_div_fmas_f32 v19, v19, v21, v27
	v_div_fixup_f32 v16, v19, v16, 1.0
	s_waitcnt vmcnt(3)
	v_mul_f32_e32 v17, v16, v17
	s_waitcnt vmcnt(2)
	v_mul_f32_e32 v18, v16, v18
	v_mul_f32_e32 v21, v11, v17
	;; [unrolled: 1-line block ×3, first 2 shown]
	s_waitcnt vmcnt(1)
	v_mul_f32_e32 v19, v16, v2
	s_waitcnt vmcnt(0)
	v_mul_f32_e32 v20, v16, v20
	v_mul_f32_e32 v2, v14, v19
	v_fma_f32 v2, v12, v17, -v2
	v_mul_f32_e32 v14, v14, v20
	global_store_dword v[4:5], v2, off
	v_fma_f32 v2, v12, v18, -v14
	v_fma_f32 v21, v10, v19, -v21
	;; [unrolled: 1-line block ×3, first 2 shown]
	global_store_dword v[6:7], v2, off
	global_store_dword v[22:23], v21, off
	global_store_dword v[24:25], v26, off
	v_mov_b32_e32 v2, 0
	s_and_saveexec_b64 s[20:21], s[2:3]
	s_cbranch_execz .LBB23_16
; %bb.15:                               ;   in Loop: Header=BB23_5 Depth=1
	v_add_u32_e32 v4, v9, v1
	v_add_u32_e32 v2, s27, v4
	v_lshl_add_u64 v[6:7], v[2:3], 2, s[8:9]
	v_add_u32_e32 v2, s28, v4
	v_ashrrev_i32_e32 v5, 31, v4
	v_lshl_add_u64 v[22:23], v[2:3], 2, s[8:9]
	global_load_dword v2, v[6:7], off
	global_load_dword v12, v[22:23], off
	v_lshl_add_u64 v[4:5], v[4:5], 2, s[14:15]
	global_load_dword v4, v[4:5], off
	v_mul_f32_e32 v10, v10, v15
	v_mul_f32_e32 v5, v11, v15
	;; [unrolled: 1-line block ×4, first 2 shown]
	v_fma_f32 v11, v5, v17, -v11
	v_fma_f32 v5, v5, v18, -v14
	v_mul_f32_e32 v10, v13, v10
	s_waitcnt vmcnt(2)
	v_add_f32_e32 v2, v11, v2
	global_store_dword v[6:7], v2, off
	s_waitcnt vmcnt(2)
	v_add_f32_e32 v2, v5, v12
	global_store_dword v[22:23], v2, off
	s_waitcnt vmcnt(2)
	v_fma_f32 v2, -v16, v10, v4
.LBB23_16:                              ;   in Loop: Header=BB23_5 Depth=1
	s_or_b64 exec, exec, s[20:21]
	v_mov_b32_e32 v10, v2
                                        ; implicit-def: $vgpr16
                                        ; implicit-def: $vgpr12
                                        ; implicit-def: $vgpr17
                                        ; implicit-def: $vgpr18
                                        ; implicit-def: $vgpr4_vgpr5
                                        ; implicit-def: $vgpr6_vgpr7
                                        ; implicit-def: $vgpr11
.LBB23_17:                              ;   in Loop: Header=BB23_5 Depth=1
	s_or_saveexec_b64 s[2:3], s[4:5]
	v_mov_b32_e32 v2, s26
	s_xor_b64 exec, exec, s[2:3]
	s_cbranch_execz .LBB23_4
; %bb.18:                               ;   in Loop: Header=BB23_5 Depth=1
	v_div_scale_f32 v2, s[4:5], v10, v10, 1.0
	v_rcp_f32_e32 v13, v2
	v_div_scale_f32 v14, vcc, 1.0, v10, 1.0
	v_fma_f32 v15, -v2, v13, 1.0
	v_fmac_f32_e32 v13, v15, v13
	v_mul_f32_e32 v15, v14, v13
	v_fma_f32 v19, -v2, v15, v14
	v_fmac_f32_e32 v15, v19, v13
	v_fma_f32 v2, -v2, v15, v14
	v_div_fmas_f32 v2, v2, v13, v15
	v_div_fixup_f32 v10, v2, v10, 1.0
	s_waitcnt vmcnt(1)
	v_mul_f32_e32 v14, v10, v17
	s_waitcnt vmcnt(0)
	v_mul_f32_e32 v13, v10, v18
	global_store_dword v[4:5], v14, off
	global_store_dword v[6:7], v13, off
	s_and_saveexec_b64 s[4:5], s[0:1]
	s_cbranch_execz .LBB23_3
; %bb.19:                               ;   in Loop: Header=BB23_5 Depth=1
	v_add_u32_e32 v6, v8, v1
	v_add_u32_e32 v2, s27, v6
	v_lshl_add_u64 v[4:5], v[2:3], 2, s[8:9]
	v_add_u32_e32 v2, s28, v6
	v_lshl_add_u64 v[6:7], v[2:3], 2, s[8:9]
	global_load_dword v15, v[4:5], off
	global_load_dword v2, v[6:7], off
	s_waitcnt vmcnt(1)
	v_fma_f32 v14, -v11, v14, v15
	s_waitcnt vmcnt(0)
	v_fma_f32 v2, -v11, v13, v2
	global_store_dword v[4:5], v14, off
	global_store_dword v[6:7], v2, off
	s_branch .LBB23_3
.LBB23_20:
	s_or_b64 exec, exec, s[18:19]
	s_branch .LBB23_22
.LBB23_21:
	v_mov_b32_e32 v1, 0
.LBB23_22:
	v_subrev_u32_e32 v1, s22, v1
	v_add_u32_e32 v2, v1, v0
	v_ashrrev_i32_e32 v3, 31, v2
	s_waitcnt lgkmcnt(0)
	v_lshl_add_u64 v[2:3], v[2:3], 2, s[6:7]
	buffer_wbl2 sc1
	s_waitcnt vmcnt(0)
	buffer_inv sc1
	global_load_dword v2, v[2:3], off
	s_waitcnt vmcnt(0)
	v_mul_lo_u32 v2, v2, s22
	v_sub_u32_e32 v1, v1, v2
	v_cmp_lt_i32_e32 vcc, -1, v1
	s_and_b64 exec, exec, vcc
	s_cbranch_execz .LBB23_29
; %bb.23:
	s_lshl_b32 s4, s24, 1
	s_add_i32 s5, s4, s23
	s_lshl_b32 s12, s22, 1
	s_mov_b64 s[0:1], 0
	v_mov_b32_e32 v3, 0
	s_branch .LBB23_25
.LBB23_24:                              ;   in Loop: Header=BB23_25 Depth=1
	s_or_b64 exec, exec, s[2:3]
	v_sub_u32_e32 v1, v1, v2
	v_cmp_gt_i32_e32 vcc, 0, v1
	s_or_b64 s[0:1], vcc, s[0:1]
	s_andn2_b64 exec, exec, s[0:1]
	s_cbranch_execz .LBB23_29
.LBB23_25:                              ; =>This Inner Loop Header: Depth=1
	v_add_u32_e32 v4, v1, v0
	s_waitcnt vmcnt(0)
	v_ashrrev_i32_e32 v5, 31, v4
	v_lshlrev_b64 v[6:7], 2, v[4:5]
	v_lshl_add_u64 v[10:11], s[6:7], 0, v[6:7]
	global_load_dword v2, v[10:11], off
	v_lshl_add_u64 v[6:7], s[10:11], 0, v[6:7]
	global_load_dword v5, v[6:7], off
	s_waitcnt vmcnt(1)
	v_cmp_ne_u32_e32 vcc, 1, v2
	s_and_saveexec_b64 s[2:3], vcc
	s_xor_b64 s[2:3], exec, s[2:3]
	s_cbranch_execz .LBB23_27
; %bb.26:                               ;   in Loop: Header=BB23_25 Depth=1
	v_add_u32_e32 v9, v8, v1
	v_add_u32_e32 v2, s4, v9
	v_lshl_add_u64 v[6:7], v[2:3], 2, s[8:9]
	v_add_u32_e32 v2, s5, v9
	v_lshl_add_u64 v[10:11], v[2:3], 2, s[8:9]
	;; [unrolled: 2-line block ×3, first 2 shown]
	global_load_dword v9, v[6:7], off
	global_load_dword v14, v[12:13], off
	;; [unrolled: 1-line block ×3, first 2 shown]
	v_add_u32_e32 v2, s5, v4
	v_lshl_add_u64 v[6:7], v[2:3], 2, s[8:9]
	s_waitcnt vmcnt(1)
	v_fma_f32 v2, -v5, v9, v14
	global_store_dword v[12:13], v2, off
	global_load_dword v4, v[6:7], off
	v_subrev_u32_e32 v2, s22, v1
	v_add_u32_e32 v10, v2, v0
	v_ashrrev_i32_e32 v11, 31, v10
	v_lshl_add_u64 v[12:13], v[10:11], 2, s[10:11]
	v_add_u32_e32 v2, s4, v10
	global_load_dword v11, v[12:13], off
	v_lshl_add_u64 v[12:13], v[2:3], 2, s[8:9]
	s_waitcnt vmcnt(1)
	v_fma_f32 v2, -v5, v15, v4
	global_store_dword v[6:7], v2, off
	global_load_dword v4, v[12:13], off
	v_add_u32_e32 v2, s5, v10
	s_waitcnt vmcnt(0)
	v_fma_f32 v4, -v11, v9, v4
	global_store_dword v[12:13], v4, off
	v_lshl_add_u64 v[4:5], v[2:3], 2, s[8:9]
	global_load_dword v2, v[4:5], off
	s_waitcnt vmcnt(0)
	v_fma_f32 v2, -v11, v15, v2
	global_store_dword v[4:5], v2, off
                                        ; implicit-def: $vgpr4
                                        ; implicit-def: $vgpr5
.LBB23_27:                              ;   in Loop: Header=BB23_25 Depth=1
	s_or_saveexec_b64 s[2:3], s[2:3]
	v_mov_b32_e32 v2, s12
	s_xor_b64 exec, exec, s[2:3]
	s_cbranch_execz .LBB23_24
; %bb.28:                               ;   in Loop: Header=BB23_25 Depth=1
	v_add_u32_e32 v9, v8, v1
	v_add_u32_e32 v2, s4, v9
	v_lshl_add_u64 v[6:7], v[2:3], 2, s[8:9]
	v_add_u32_e32 v2, s4, v4
	v_lshl_add_u64 v[10:11], v[2:3], 2, s[8:9]
	global_load_dword v14, v[6:7], off
	global_load_dword v15, v[10:11], off
	v_add_u32_e32 v2, s5, v9
	v_lshl_add_u64 v[6:7], v[2:3], 2, s[8:9]
	v_add_u32_e32 v2, s5, v4
	v_lshl_add_u64 v[12:13], v[2:3], 2, s[8:9]
	s_waitcnt vmcnt(0)
	v_fma_f32 v2, -v5, v14, v15
	global_store_dword v[10:11], v2, off
	global_load_dword v2, v[6:7], off
	s_nop 0
	global_load_dword v4, v[12:13], off
	s_waitcnt vmcnt(0)
	v_fma_f32 v2, -v5, v2, v4
	global_store_dword v[12:13], v2, off
	v_mov_b32_e32 v2, s22
	s_branch .LBB23_24
.LBB23_29:
	s_endpgm
	.section	.rodata,"a",@progbits
	.p2align	6, 0x0
	.amdhsa_kernel _ZN9rocsparseL19gtsv_LBM_rhs_kernelILj256ELj4ELj2EfEEviiiPKT2_S3_S3_PS1_S3_PKi
		.amdhsa_group_segment_fixed_size 0
		.amdhsa_private_segment_fixed_size 0
		.amdhsa_kernarg_size 64
		.amdhsa_user_sgpr_count 2
		.amdhsa_user_sgpr_dispatch_ptr 0
		.amdhsa_user_sgpr_queue_ptr 0
		.amdhsa_user_sgpr_kernarg_segment_ptr 1
		.amdhsa_user_sgpr_dispatch_id 0
		.amdhsa_user_sgpr_kernarg_preload_length 0
		.amdhsa_user_sgpr_kernarg_preload_offset 0
		.amdhsa_user_sgpr_private_segment_size 0
		.amdhsa_uses_dynamic_stack 0
		.amdhsa_enable_private_segment 0
		.amdhsa_system_sgpr_workgroup_id_x 1
		.amdhsa_system_sgpr_workgroup_id_y 1
		.amdhsa_system_sgpr_workgroup_id_z 0
		.amdhsa_system_sgpr_workgroup_info 0
		.amdhsa_system_vgpr_workitem_id 0
		.amdhsa_next_free_vgpr 29
		.amdhsa_next_free_sgpr 29
		.amdhsa_accum_offset 32
		.amdhsa_reserve_vcc 1
		.amdhsa_float_round_mode_32 0
		.amdhsa_float_round_mode_16_64 0
		.amdhsa_float_denorm_mode_32 3
		.amdhsa_float_denorm_mode_16_64 3
		.amdhsa_dx10_clamp 1
		.amdhsa_ieee_mode 1
		.amdhsa_fp16_overflow 0
		.amdhsa_tg_split 0
		.amdhsa_exception_fp_ieee_invalid_op 0
		.amdhsa_exception_fp_denorm_src 0
		.amdhsa_exception_fp_ieee_div_zero 0
		.amdhsa_exception_fp_ieee_overflow 0
		.amdhsa_exception_fp_ieee_underflow 0
		.amdhsa_exception_fp_ieee_inexact 0
		.amdhsa_exception_int_div_zero 0
	.end_amdhsa_kernel
	.section	.text._ZN9rocsparseL19gtsv_LBM_rhs_kernelILj256ELj4ELj2EfEEviiiPKT2_S3_S3_PS1_S3_PKi,"axG",@progbits,_ZN9rocsparseL19gtsv_LBM_rhs_kernelILj256ELj4ELj2EfEEviiiPKT2_S3_S3_PS1_S3_PKi,comdat
.Lfunc_end23:
	.size	_ZN9rocsparseL19gtsv_LBM_rhs_kernelILj256ELj4ELj2EfEEviiiPKT2_S3_S3_PS1_S3_PKi, .Lfunc_end23-_ZN9rocsparseL19gtsv_LBM_rhs_kernelILj256ELj4ELj2EfEEviiiPKT2_S3_S3_PS1_S3_PKi
                                        ; -- End function
	.set _ZN9rocsparseL19gtsv_LBM_rhs_kernelILj256ELj4ELj2EfEEviiiPKT2_S3_S3_PS1_S3_PKi.num_vgpr, 29
	.set _ZN9rocsparseL19gtsv_LBM_rhs_kernelILj256ELj4ELj2EfEEviiiPKT2_S3_S3_PS1_S3_PKi.num_agpr, 0
	.set _ZN9rocsparseL19gtsv_LBM_rhs_kernelILj256ELj4ELj2EfEEviiiPKT2_S3_S3_PS1_S3_PKi.numbered_sgpr, 29
	.set _ZN9rocsparseL19gtsv_LBM_rhs_kernelILj256ELj4ELj2EfEEviiiPKT2_S3_S3_PS1_S3_PKi.num_named_barrier, 0
	.set _ZN9rocsparseL19gtsv_LBM_rhs_kernelILj256ELj4ELj2EfEEviiiPKT2_S3_S3_PS1_S3_PKi.private_seg_size, 0
	.set _ZN9rocsparseL19gtsv_LBM_rhs_kernelILj256ELj4ELj2EfEEviiiPKT2_S3_S3_PS1_S3_PKi.uses_vcc, 1
	.set _ZN9rocsparseL19gtsv_LBM_rhs_kernelILj256ELj4ELj2EfEEviiiPKT2_S3_S3_PS1_S3_PKi.uses_flat_scratch, 0
	.set _ZN9rocsparseL19gtsv_LBM_rhs_kernelILj256ELj4ELj2EfEEviiiPKT2_S3_S3_PS1_S3_PKi.has_dyn_sized_stack, 0
	.set _ZN9rocsparseL19gtsv_LBM_rhs_kernelILj256ELj4ELj2EfEEviiiPKT2_S3_S3_PS1_S3_PKi.has_recursion, 0
	.set _ZN9rocsparseL19gtsv_LBM_rhs_kernelILj256ELj4ELj2EfEEviiiPKT2_S3_S3_PS1_S3_PKi.has_indirect_call, 0
	.section	.AMDGPU.csdata,"",@progbits
; Kernel info:
; codeLenInByte = 1692
; TotalNumSgprs: 35
; NumVgprs: 29
; NumAgprs: 0
; TotalNumVgprs: 29
; ScratchSize: 0
; MemoryBound: 0
; FloatMode: 240
; IeeeMode: 1
; LDSByteSize: 0 bytes/workgroup (compile time only)
; SGPRBlocks: 4
; VGPRBlocks: 3
; NumSGPRsForWavesPerEU: 35
; NumVGPRsForWavesPerEU: 29
; AccumOffset: 32
; Occupancy: 8
; WaveLimiterHint : 0
; COMPUTE_PGM_RSRC2:SCRATCH_EN: 0
; COMPUTE_PGM_RSRC2:USER_SGPR: 2
; COMPUTE_PGM_RSRC2:TRAP_HANDLER: 0
; COMPUTE_PGM_RSRC2:TGID_X_EN: 1
; COMPUTE_PGM_RSRC2:TGID_Y_EN: 1
; COMPUTE_PGM_RSRC2:TGID_Z_EN: 0
; COMPUTE_PGM_RSRC2:TIDIG_COMP_CNT: 0
; COMPUTE_PGM_RSRC3_GFX90A:ACCUM_OFFSET: 7
; COMPUTE_PGM_RSRC3_GFX90A:TG_SPLIT: 0
	.section	.text._ZN9rocsparseL19gtsv_LBM_rhs_kernelILj256ELj4ELj1EfEEviiiPKT2_S3_S3_PS1_S3_PKi,"axG",@progbits,_ZN9rocsparseL19gtsv_LBM_rhs_kernelILj256ELj4ELj1EfEEviiiPKT2_S3_S3_PS1_S3_PKi,comdat
	.globl	_ZN9rocsparseL19gtsv_LBM_rhs_kernelILj256ELj4ELj1EfEEviiiPKT2_S3_S3_PS1_S3_PKi ; -- Begin function _ZN9rocsparseL19gtsv_LBM_rhs_kernelILj256ELj4ELj1EfEEviiiPKT2_S3_S3_PS1_S3_PKi
	.p2align	8
	.type	_ZN9rocsparseL19gtsv_LBM_rhs_kernelILj256ELj4ELj1EfEEviiiPKT2_S3_S3_PS1_S3_PKi,@function
_ZN9rocsparseL19gtsv_LBM_rhs_kernelILj256ELj4ELj1EfEEviiiPKT2_S3_S3_PS1_S3_PKi: ; @_ZN9rocsparseL19gtsv_LBM_rhs_kernelILj256ELj4ELj1EfEEviiiPKT2_S3_S3_PS1_S3_PKi
; %bb.0:
	s_load_dword s24, s[0:1], 0x0
	v_lshl_or_b32 v0, s2, 8, v0
	s_waitcnt lgkmcnt(0)
	s_lshr_b32 s22, s24, 2
	v_cmp_gt_i32_e32 vcc, s22, v0
	s_and_saveexec_b64 s[4:5], vcc
	s_cbranch_execz .LBB24_29
; %bb.1:
	s_load_dwordx4 s[8:11], s[0:1], 0x28
	s_load_dwordx2 s[6:7], s[0:1], 0x38
	s_cmp_lt_i32 s24, 1
	s_mul_i32 s23, s24, s3
	s_cbranch_scc1 .LBB24_21
; %bb.2:
	s_load_dwordx4 s[12:15], s[0:1], 0x10
	s_load_dwordx2 s[16:17], s[0:1], 0x20
	v_ashrrev_i32_e32 v1, 31, v0
	v_add_u32_e32 v13, s22, v0
	s_mul_i32 s25, s22, 3
	s_waitcnt lgkmcnt(0)
	v_lshl_add_u64 v[2:3], v[0:1], 2, s[14:15]
	global_load_dword v5, v[2:3], off
	s_lshl_b32 s26, s22, 1
	v_add_u32_e32 v14, s22, v13
	v_add_u32_e32 v15, s23, v13
	v_mov_b32_e32 v3, 0
	s_mov_b64 s[18:19], 0
	v_mov_b32_e32 v1, 0
	s_branch .LBB24_5
.LBB24_3:                               ;   in Loop: Header=BB24_5 Depth=1
	s_or_b64 exec, exec, s[4:5]
	v_fma_f32 v5, -v5, v7, v16
	v_mov_b32_e32 v2, s22
.LBB24_4:                               ;   in Loop: Header=BB24_5 Depth=1
	s_or_b64 exec, exec, s[2:3]
	v_add_u32_e32 v1, v2, v1
	v_cmp_le_i32_e32 vcc, s24, v1
	s_or_b64 s[18:19], vcc, s[18:19]
	s_andn2_b64 exec, exec, s[18:19]
	s_cbranch_execz .LBB24_20
.LBB24_5:                               ; =>This Inner Loop Header: Depth=1
	v_add_u32_e32 v8, v1, v0
	v_ashrrev_i32_e32 v9, 31, v8
	v_lshl_add_u64 v[6:7], v[8:9], 2, s[16:17]
	global_load_dword v18, v[6:7], off
	v_cmp_gt_u32_e64 s[0:1], s25, v1
	v_add_u32_e32 v6, v13, v1
	v_mov_b32_e32 v4, 0
	s_and_saveexec_b64 s[2:3], s[0:1]
	s_cbranch_execz .LBB24_7
; %bb.6:                                ;   in Loop: Header=BB24_5 Depth=1
	v_ashrrev_i32_e32 v7, 31, v6
	s_waitcnt vmcnt(1)
	v_lshl_add_u64 v[10:11], v[6:7], 2, s[12:13]
	global_load_dword v4, v[10:11], off
.LBB24_7:                               ;   in Loop: Header=BB24_5 Depth=1
	s_or_b64 exec, exec, s[2:3]
	v_mov_b32_e32 v17, 0
	v_mov_b32_e32 v16, 0
	s_and_saveexec_b64 s[2:3], s[0:1]
	s_cbranch_execz .LBB24_9
; %bb.8:                                ;   in Loop: Header=BB24_5 Depth=1
	v_ashrrev_i32_e32 v7, 31, v6
	s_waitcnt vmcnt(1)
	v_lshl_add_u64 v[10:11], v[6:7], 2, s[14:15]
	global_load_dword v16, v[10:11], off
.LBB24_9:                               ;   in Loop: Header=BB24_5 Depth=1
	s_or_b64 exec, exec, s[2:3]
	s_and_saveexec_b64 s[2:3], s[0:1]
	s_cbranch_execz .LBB24_11
; %bb.10:                               ;   in Loop: Header=BB24_5 Depth=1
	v_ashrrev_i32_e32 v7, 31, v6
	v_lshl_add_u64 v[6:7], v[6:7], 2, s[16:17]
	global_load_dword v17, v[6:7], off
.LBB24_11:                              ;   in Loop: Header=BB24_5 Depth=1
	s_or_b64 exec, exec, s[2:3]
	v_cmp_gt_u32_e64 s[2:3], s26, v1
	v_mov_b32_e32 v6, 0
	s_and_saveexec_b64 s[4:5], s[2:3]
	s_cbranch_execz .LBB24_13
; %bb.12:                               ;   in Loop: Header=BB24_5 Depth=1
	v_add_u32_e32 v6, v14, v1
	v_ashrrev_i32_e32 v7, 31, v6
	v_lshl_add_u64 v[6:7], v[6:7], 2, s[12:13]
	global_load_dword v6, v[6:7], off
.LBB24_13:                              ;   in Loop: Header=BB24_5 Depth=1
	s_or_b64 exec, exec, s[4:5]
	s_waitcnt vmcnt(1)
	v_lshl_add_u64 v[10:11], v[8:9], 2, s[6:7]
	global_load_dword v7, v[10:11], off
	v_add_u32_e32 v2, s23, v8
	v_lshl_add_u64 v[8:9], v[2:3], 2, s[8:9]
	global_load_dword v10, v[8:9], off
	v_cmp_ne_u32_e32 vcc, s25, v1
	s_waitcnt vmcnt(1)
	v_cmp_ne_u32_e64 s[4:5], 1, v7
	s_and_b64 s[4:5], vcc, s[4:5]
	v_mul_f32_e32 v7, v18, v4
	s_and_saveexec_b64 s[20:21], s[4:5]
	s_xor_b64 s[4:5], exec, s[20:21]
	s_cbranch_execz .LBB24_17
; %bb.14:                               ;   in Loop: Header=BB24_5 Depth=1
	v_add_u32_e32 v2, v15, v1
	v_lshl_add_u64 v[20:21], v[2:3], 2, s[8:9]
	global_load_dword v11, v[20:21], off
	v_fma_f32 v2, v5, v16, -v7
	v_div_scale_f32 v7, s[20:21], v2, v2, 1.0
	v_rcp_f32_e32 v12, v7
	v_div_scale_f32 v19, vcc, 1.0, v2, 1.0
	v_fma_f32 v22, -v7, v12, 1.0
	v_fmac_f32_e32 v12, v22, v12
	v_mul_f32_e32 v22, v19, v12
	v_fma_f32 v23, -v7, v22, v19
	v_fmac_f32_e32 v22, v23, v12
	v_fma_f32 v7, -v7, v22, v19
	v_div_fmas_f32 v7, v7, v12, v22
	v_div_fixup_f32 v12, v7, v2, 1.0
	s_waitcnt vmcnt(0)
	v_pk_mul_f32 v[10:11], v[12:13], v[10:11] op_sel_hi:[0,1]
	v_mul_f32_e32 v2, v18, v11
	v_mul_f32_e32 v7, v4, v10
	v_fma_f32 v2, v16, v10, -v2
	v_fma_f32 v7, v5, v11, -v7
	global_store_dword v[8:9], v2, off
	global_store_dword v[20:21], v7, off
	v_mov_b32_e32 v2, 0
	s_and_saveexec_b64 s[20:21], s[2:3]
	s_cbranch_execz .LBB24_16
; %bb.15:                               ;   in Loop: Header=BB24_5 Depth=1
	v_add_u32_e32 v8, v14, v1
	v_add_u32_e32 v2, s23, v8
	v_lshl_add_u64 v[18:19], v[2:3], 2, s[8:9]
	v_ashrrev_i32_e32 v9, 31, v8
	global_load_dword v2, v[18:19], off
	v_lshl_add_u64 v[8:9], v[8:9], 2, s[14:15]
	global_load_dword v8, v[8:9], off
	v_pk_mul_f32 v[4:5], v[4:5], v[6:7] op_sel_hi:[1,0]
	s_nop 0
	v_pk_mul_f32 v[6:7], v[4:5], v[10:11]
	v_mul_f32_e32 v4, v17, v5
	v_sub_f32_e32 v5, v6, v7
	s_waitcnt vmcnt(1)
	v_add_f32_e32 v2, v5, v2
	global_store_dword v[18:19], v2, off
	s_waitcnt vmcnt(1)
	v_fma_f32 v2, -v12, v4, v8
.LBB24_16:                              ;   in Loop: Header=BB24_5 Depth=1
	s_or_b64 exec, exec, s[20:21]
	v_mov_b32_e32 v5, v2
                                        ; implicit-def: $vgpr7
                                        ; implicit-def: $vgpr16
                                        ; implicit-def: $vgpr10
                                        ; implicit-def: $vgpr8_vgpr9
.LBB24_17:                              ;   in Loop: Header=BB24_5 Depth=1
	s_or_saveexec_b64 s[2:3], s[4:5]
	v_mov_b32_e32 v2, s26
	s_xor_b64 exec, exec, s[2:3]
	s_cbranch_execz .LBB24_4
; %bb.18:                               ;   in Loop: Header=BB24_5 Depth=1
	v_div_scale_f32 v2, s[4:5], v5, v5, 1.0
	v_rcp_f32_e32 v6, v2
	v_div_scale_f32 v11, vcc, 1.0, v5, 1.0
	v_fma_f32 v12, -v2, v6, 1.0
	v_fmac_f32_e32 v6, v12, v6
	v_mul_f32_e32 v12, v11, v6
	v_fma_f32 v17, -v2, v12, v11
	v_fmac_f32_e32 v12, v17, v6
	v_fma_f32 v2, -v2, v12, v11
	v_div_fmas_f32 v2, v2, v6, v12
	v_div_fixup_f32 v5, v2, v5, 1.0
	s_waitcnt vmcnt(0)
	v_mul_f32_e32 v6, v5, v10
	global_store_dword v[8:9], v6, off
	s_and_saveexec_b64 s[4:5], s[0:1]
	s_cbranch_execz .LBB24_3
; %bb.19:                               ;   in Loop: Header=BB24_5 Depth=1
	v_add_u32_e32 v2, v15, v1
	v_lshl_add_u64 v[8:9], v[2:3], 2, s[8:9]
	global_load_dword v2, v[8:9], off
	s_waitcnt vmcnt(0)
	v_fma_f32 v2, -v4, v6, v2
	global_store_dword v[8:9], v2, off
	s_branch .LBB24_3
.LBB24_20:
	s_or_b64 exec, exec, s[18:19]
	s_branch .LBB24_22
.LBB24_21:
	v_mov_b32_e32 v1, 0
.LBB24_22:
	v_subrev_u32_e32 v1, s22, v1
	v_add_u32_e32 v2, v1, v0
	v_ashrrev_i32_e32 v3, 31, v2
	s_waitcnt lgkmcnt(0)
	v_lshl_add_u64 v[2:3], v[2:3], 2, s[6:7]
	buffer_wbl2 sc1
	s_waitcnt vmcnt(0)
	buffer_inv sc1
	global_load_dword v2, v[2:3], off
	s_waitcnt vmcnt(0)
	v_mul_lo_u32 v2, v2, s22
	v_sub_u32_e32 v1, v1, v2
	v_cmp_lt_i32_e32 vcc, -1, v1
	s_and_b64 exec, exec, vcc
	s_cbranch_execz .LBB24_29
; %bb.23:
	s_add_i32 s0, s23, s22
	v_add_u32_e32 v6, s0, v0
	s_lshl_b32 s4, s22, 1
	s_mov_b64 s[0:1], 0
	v_mov_b32_e32 v3, 0
	s_branch .LBB24_25
.LBB24_24:                              ;   in Loop: Header=BB24_25 Depth=1
	s_or_b64 exec, exec, s[2:3]
	v_sub_u32_e32 v1, v1, v2
	v_cmp_gt_i32_e32 vcc, 0, v1
	s_or_b64 s[0:1], vcc, s[0:1]
	s_andn2_b64 exec, exec, s[0:1]
	s_cbranch_execz .LBB24_29
.LBB24_25:                              ; =>This Inner Loop Header: Depth=1
	v_add_u32_e32 v4, v1, v0
	s_waitcnt vmcnt(0)
	v_ashrrev_i32_e32 v5, 31, v4
	v_lshlrev_b64 v[8:9], 2, v[4:5]
	v_lshl_add_u64 v[10:11], s[6:7], 0, v[8:9]
	global_load_dword v2, v[10:11], off
	v_lshl_add_u64 v[8:9], s[10:11], 0, v[8:9]
	global_load_dword v5, v[8:9], off
	s_waitcnt vmcnt(1)
	v_cmp_ne_u32_e32 vcc, 1, v2
	s_and_saveexec_b64 s[2:3], vcc
	s_xor_b64 s[2:3], exec, s[2:3]
	s_cbranch_execz .LBB24_27
; %bb.26:                               ;   in Loop: Header=BB24_25 Depth=1
	v_add_u32_e32 v2, v6, v1
	v_lshl_add_u64 v[8:9], v[2:3], 2, s[8:9]
	v_add_u32_e32 v2, s23, v4
	v_lshl_add_u64 v[10:11], v[2:3], 2, s[8:9]
	global_load_dword v7, v[8:9], off
	global_load_dword v4, v[10:11], off
	v_subrev_u32_e32 v2, s22, v1
	v_add_u32_e32 v8, v2, v0
	v_ashrrev_i32_e32 v9, 31, v8
	v_add_u32_e32 v2, s23, v8
	v_lshl_add_u64 v[8:9], v[8:9], 2, s[10:11]
	global_load_dword v8, v[8:9], off
	s_waitcnt vmcnt(1)
	v_fma_f32 v4, -v5, v7, v4
	global_store_dword v[10:11], v4, off
	v_lshl_add_u64 v[4:5], v[2:3], 2, s[8:9]
	global_load_dword v2, v[4:5], off
	s_waitcnt vmcnt(0)
	v_fma_f32 v2, -v8, v7, v2
	global_store_dword v[4:5], v2, off
                                        ; implicit-def: $vgpr4
                                        ; implicit-def: $vgpr5
.LBB24_27:                              ;   in Loop: Header=BB24_25 Depth=1
	s_or_saveexec_b64 s[2:3], s[2:3]
	v_mov_b32_e32 v2, s4
	s_xor_b64 exec, exec, s[2:3]
	s_cbranch_execz .LBB24_24
; %bb.28:                               ;   in Loop: Header=BB24_25 Depth=1
	v_add_u32_e32 v2, v6, v1
	v_lshl_add_u64 v[8:9], v[2:3], 2, s[8:9]
	v_add_u32_e32 v2, s23, v4
	v_lshl_add_u64 v[10:11], v[2:3], 2, s[8:9]
	global_load_dword v2, v[8:9], off
	global_load_dword v4, v[10:11], off
	s_waitcnt vmcnt(0)
	v_fma_f32 v2, -v5, v2, v4
	global_store_dword v[10:11], v2, off
	v_mov_b32_e32 v2, s22
	s_branch .LBB24_24
.LBB24_29:
	s_endpgm
	.section	.rodata,"a",@progbits
	.p2align	6, 0x0
	.amdhsa_kernel _ZN9rocsparseL19gtsv_LBM_rhs_kernelILj256ELj4ELj1EfEEviiiPKT2_S3_S3_PS1_S3_PKi
		.amdhsa_group_segment_fixed_size 0
		.amdhsa_private_segment_fixed_size 0
		.amdhsa_kernarg_size 64
		.amdhsa_user_sgpr_count 2
		.amdhsa_user_sgpr_dispatch_ptr 0
		.amdhsa_user_sgpr_queue_ptr 0
		.amdhsa_user_sgpr_kernarg_segment_ptr 1
		.amdhsa_user_sgpr_dispatch_id 0
		.amdhsa_user_sgpr_kernarg_preload_length 0
		.amdhsa_user_sgpr_kernarg_preload_offset 0
		.amdhsa_user_sgpr_private_segment_size 0
		.amdhsa_uses_dynamic_stack 0
		.amdhsa_enable_private_segment 0
		.amdhsa_system_sgpr_workgroup_id_x 1
		.amdhsa_system_sgpr_workgroup_id_y 1
		.amdhsa_system_sgpr_workgroup_id_z 0
		.amdhsa_system_sgpr_workgroup_info 0
		.amdhsa_system_vgpr_workitem_id 0
		.amdhsa_next_free_vgpr 24
		.amdhsa_next_free_sgpr 27
		.amdhsa_accum_offset 24
		.amdhsa_reserve_vcc 1
		.amdhsa_float_round_mode_32 0
		.amdhsa_float_round_mode_16_64 0
		.amdhsa_float_denorm_mode_32 3
		.amdhsa_float_denorm_mode_16_64 3
		.amdhsa_dx10_clamp 1
		.amdhsa_ieee_mode 1
		.amdhsa_fp16_overflow 0
		.amdhsa_tg_split 0
		.amdhsa_exception_fp_ieee_invalid_op 0
		.amdhsa_exception_fp_denorm_src 0
		.amdhsa_exception_fp_ieee_div_zero 0
		.amdhsa_exception_fp_ieee_overflow 0
		.amdhsa_exception_fp_ieee_underflow 0
		.amdhsa_exception_fp_ieee_inexact 0
		.amdhsa_exception_int_div_zero 0
	.end_amdhsa_kernel
	.section	.text._ZN9rocsparseL19gtsv_LBM_rhs_kernelILj256ELj4ELj1EfEEviiiPKT2_S3_S3_PS1_S3_PKi,"axG",@progbits,_ZN9rocsparseL19gtsv_LBM_rhs_kernelILj256ELj4ELj1EfEEviiiPKT2_S3_S3_PS1_S3_PKi,comdat
.Lfunc_end24:
	.size	_ZN9rocsparseL19gtsv_LBM_rhs_kernelILj256ELj4ELj1EfEEviiiPKT2_S3_S3_PS1_S3_PKi, .Lfunc_end24-_ZN9rocsparseL19gtsv_LBM_rhs_kernelILj256ELj4ELj1EfEEviiiPKT2_S3_S3_PS1_S3_PKi
                                        ; -- End function
	.set _ZN9rocsparseL19gtsv_LBM_rhs_kernelILj256ELj4ELj1EfEEviiiPKT2_S3_S3_PS1_S3_PKi.num_vgpr, 24
	.set _ZN9rocsparseL19gtsv_LBM_rhs_kernelILj256ELj4ELj1EfEEviiiPKT2_S3_S3_PS1_S3_PKi.num_agpr, 0
	.set _ZN9rocsparseL19gtsv_LBM_rhs_kernelILj256ELj4ELj1EfEEviiiPKT2_S3_S3_PS1_S3_PKi.numbered_sgpr, 27
	.set _ZN9rocsparseL19gtsv_LBM_rhs_kernelILj256ELj4ELj1EfEEviiiPKT2_S3_S3_PS1_S3_PKi.num_named_barrier, 0
	.set _ZN9rocsparseL19gtsv_LBM_rhs_kernelILj256ELj4ELj1EfEEviiiPKT2_S3_S3_PS1_S3_PKi.private_seg_size, 0
	.set _ZN9rocsparseL19gtsv_LBM_rhs_kernelILj256ELj4ELj1EfEEviiiPKT2_S3_S3_PS1_S3_PKi.uses_vcc, 1
	.set _ZN9rocsparseL19gtsv_LBM_rhs_kernelILj256ELj4ELj1EfEEviiiPKT2_S3_S3_PS1_S3_PKi.uses_flat_scratch, 0
	.set _ZN9rocsparseL19gtsv_LBM_rhs_kernelILj256ELj4ELj1EfEEviiiPKT2_S3_S3_PS1_S3_PKi.has_dyn_sized_stack, 0
	.set _ZN9rocsparseL19gtsv_LBM_rhs_kernelILj256ELj4ELj1EfEEviiiPKT2_S3_S3_PS1_S3_PKi.has_recursion, 0
	.set _ZN9rocsparseL19gtsv_LBM_rhs_kernelILj256ELj4ELj1EfEEviiiPKT2_S3_S3_PS1_S3_PKi.has_indirect_call, 0
	.section	.AMDGPU.csdata,"",@progbits
; Kernel info:
; codeLenInByte = 1312
; TotalNumSgprs: 33
; NumVgprs: 24
; NumAgprs: 0
; TotalNumVgprs: 24
; ScratchSize: 0
; MemoryBound: 0
; FloatMode: 240
; IeeeMode: 1
; LDSByteSize: 0 bytes/workgroup (compile time only)
; SGPRBlocks: 4
; VGPRBlocks: 2
; NumSGPRsForWavesPerEU: 33
; NumVGPRsForWavesPerEU: 24
; AccumOffset: 24
; Occupancy: 8
; WaveLimiterHint : 0
; COMPUTE_PGM_RSRC2:SCRATCH_EN: 0
; COMPUTE_PGM_RSRC2:USER_SGPR: 2
; COMPUTE_PGM_RSRC2:TRAP_HANDLER: 0
; COMPUTE_PGM_RSRC2:TGID_X_EN: 1
; COMPUTE_PGM_RSRC2:TGID_Y_EN: 1
; COMPUTE_PGM_RSRC2:TGID_Z_EN: 0
; COMPUTE_PGM_RSRC2:TIDIG_COMP_CNT: 0
; COMPUTE_PGM_RSRC3_GFX90A:ACCUM_OFFSET: 5
; COMPUTE_PGM_RSRC3_GFX90A:TG_SPLIT: 0
	.section	.text._ZN9rocsparseL29gtsv_spike_block_level_kernelILj256ELj4EfEEviiiPT1_PKS1_S4_S2_S2_S2_S2_S2_,"axG",@progbits,_ZN9rocsparseL29gtsv_spike_block_level_kernelILj256ELj4EfEEviiiPT1_PKS1_S4_S2_S2_S2_S2_S2_,comdat
	.globl	_ZN9rocsparseL29gtsv_spike_block_level_kernelILj256ELj4EfEEviiiPT1_PKS1_S4_S2_S2_S2_S2_S2_ ; -- Begin function _ZN9rocsparseL29gtsv_spike_block_level_kernelILj256ELj4EfEEviiiPT1_PKS1_S4_S2_S2_S2_S2_S2_
	.p2align	8
	.type	_ZN9rocsparseL29gtsv_spike_block_level_kernelILj256ELj4EfEEviiiPT1_PKS1_S4_S2_S2_S2_S2_S2_,@function
_ZN9rocsparseL29gtsv_spike_block_level_kernelILj256ELj4EfEEviiiPT1_PKS1_S4_S2_S2_S2_S2_S2_: ; @_ZN9rocsparseL29gtsv_spike_block_level_kernelILj256ELj4EfEEviiiPT1_PKS1_S4_S2_S2_S2_S2_S2_
; %bb.0:
	s_load_dword s14, s[0:1], 0x0
	s_load_dwordx2 s[8:9], s[0:1], 0x18
	v_lshl_or_b32 v2, s2, 8, v0
	v_mov_b32_e32 v4, 0
	v_mov_b32_e32 v3, 0
	s_waitcnt lgkmcnt(0)
	s_lshr_b32 s18, s14, 2
	v_cmp_gt_i32_e64 s[4:5], s18, v2
	s_and_saveexec_b64 s[6:7], s[4:5]
	s_cbranch_execz .LBB25_2
; %bb.1:
	v_ashrrev_i32_e32 v3, 31, v2
	v_lshl_add_u64 v[6:7], v[2:3], 2, s[8:9]
	global_load_dword v3, v[6:7], off
.LBB25_2:
	s_or_b64 exec, exec, s[6:7]
	s_load_dwordx2 s[6:7], s[0:1], 0x20
	v_lshlrev_b32_e32 v1, 2, v0
	v_or_b32_e32 v6, 0x800, v1
	s_waitcnt vmcnt(0)
	ds_write_b32 v1, v3 offset:2048
	s_and_saveexec_b64 s[10:11], s[4:5]
	s_cbranch_execz .LBB25_4
; %bb.3:
	v_mad_u64_u32 v[4:5], s[12:13], s18, 3, v[2:3]
	v_mov_b32_e32 v5, 0
	v_lshl_add_u64 v[4:5], v[4:5], 2, s[8:9]
	global_load_dword v4, v[4:5], off
.LBB25_4:
	s_or_b64 exec, exec, s[10:11]
	s_waitcnt vmcnt(0)
	ds_write_b32 v6, v4 offset:1024
	v_mov_b32_e32 v4, 0
	v_mov_b32_e32 v3, 0
	s_and_saveexec_b64 s[8:9], s[4:5]
	s_cbranch_execz .LBB25_6
; %bb.5:
	v_ashrrev_i32_e32 v3, 31, v2
	s_waitcnt lgkmcnt(0)
	v_lshl_add_u64 v[8:9], v[2:3], 2, s[6:7]
	global_load_dword v3, v[8:9], off
.LBB25_6:
	s_or_b64 exec, exec, s[8:9]
	s_load_dwordx2 s[12:13], s[0:1], 0x10
	s_waitcnt vmcnt(0)
	ds_write_b32 v1, v3
	s_and_saveexec_b64 s[8:9], s[4:5]
	s_cbranch_execz .LBB25_8
; %bb.7:
	v_mad_u64_u32 v[4:5], s[10:11], s18, 3, v[2:3]
	v_mov_b32_e32 v5, 0
	s_waitcnt lgkmcnt(0)
	v_lshl_add_u64 v[4:5], v[4:5], 2, s[6:7]
	global_load_dword v4, v[4:5], off
.LBB25_8:
	s_or_b64 exec, exec, s[8:9]
	s_mul_i32 s14, s14, s3
	s_waitcnt vmcnt(0)
	ds_write_b32 v1, v4 offset:1024
	v_mov_b32_e32 v3, 0
	v_add_u32_e32 v4, s14, v2
	v_mov_b32_e32 v7, 0
	s_waitcnt lgkmcnt(0)
	s_and_saveexec_b64 s[6:7], s[4:5]
	s_cbranch_execz .LBB25_10
; %bb.9:
	v_ashrrev_i32_e32 v5, 31, v4
	v_lshl_add_u64 v[8:9], v[4:5], 2, s[12:13]
	global_load_dword v7, v[8:9], off
.LBB25_10:
	s_or_b64 exec, exec, s[6:7]
	v_or_b32_e32 v5, 0x1000, v1
	s_mul_i32 s19, s18, 3
	s_waitcnt vmcnt(0)
	ds_write_b32 v1, v7 offset:4096
	s_and_saveexec_b64 s[6:7], s[4:5]
	s_cbranch_execz .LBB25_12
; %bb.11:
	s_mul_i32 s8, s18, 3
	s_add_i32 s8, s8, s14
	v_add_u32_e32 v8, s8, v2
	v_mov_b32_e32 v9, 0
	v_lshl_add_u64 v[8:9], v[8:9], 2, s[12:13]
	global_load_dword v3, v[8:9], off
.LBB25_12:
	s_or_b64 exec, exec, s[6:7]
	s_movk_i32 s6, 0x80
	v_cmp_gt_u32_e32 vcc, s6, v0
	s_waitcnt vmcnt(0)
	ds_write_b32 v5, v3 offset:1024
	s_waitcnt lgkmcnt(0)
	s_barrier
	s_and_saveexec_b64 s[6:7], vcc
	s_cbranch_execz .LBB25_14
; %bb.13:
	v_add_u32_e32 v3, v6, v1
	v_add_u32_e32 v7, v1, v1
	ds_read2st64_b64 v[8:11], v3 offset1:2
	ds_read2st64_b64 v[12:15], v7 offset1:2
	v_add_u32_e32 v22, v5, v1
	ds_read2st64_b64 v[16:19], v22 offset1:2
	s_waitcnt lgkmcnt(1)
	v_fma_f32 v20, -v9, v14, 1.0
	v_div_scale_f32 v21, s[8:9], v20, v20, 1.0
	v_rcp_f32_e32 v23, v21
	v_div_scale_f32 v24, vcc, 1.0, v20, 1.0
	v_fma_f32 v25, -v21, v23, 1.0
	v_fmac_f32_e32 v23, v25, v23
	v_mul_f32_e32 v25, v24, v23
	v_fma_f32 v26, -v21, v25, v24
	v_fmac_f32_e32 v25, v26, v23
	v_fma_f32 v21, -v21, v25, v24
	v_div_fmas_f32 v21, v21, v23, v25
	v_div_fixup_f32 v23, v21, v20, 1.0
	s_waitcnt lgkmcnt(0)
	v_fma_f32 v20, -v14, v17, v18
	v_fma_f32 v17, -v9, v18, v17
	v_mul_f32_e32 v14, v14, v13
	v_mul_f32_e32 v9, v9, v10
	;; [unrolled: 1-line block ×4, first 2 shown]
	v_mul_f32_e64 v14, v14, -v23
	v_mul_f32_e32 v13, v23, v13
	v_mul_f32_e64 v9, v9, -v23
	v_mul_f32_e32 v10, v23, v10
	v_fma_f32 v16, -v17, v12, v16
	v_fma_f32 v21, -v11, v20, v19
	;; [unrolled: 1-line block ×3, first 2 shown]
	v_mul_f32_e64 v12, v13, -v12
	v_fma_f32 v15, -v14, v11, v15
	v_mul_f32_e64 v11, v10, -v11
	ds_write2st64_b64 v22, v[16:17], v[20:21] offset1:2
	ds_write2st64_b64 v7, v[12:13], v[14:15] offset1:2
	;; [unrolled: 1-line block ×3, first 2 shown]
.LBB25_14:
	s_or_b64 exec, exec, s[6:7]
	v_cmp_gt_u32_e32 vcc, 64, v0
	s_waitcnt lgkmcnt(0)
	s_barrier
	s_and_saveexec_b64 s[6:7], vcc
	s_cbranch_execz .LBB25_16
; %bb.15:
	v_lshlrev_b32_e32 v3, 4, v0
	v_add_u32_e32 v7, 0x800, v3
	v_add_u32_e32 v20, 0x400, v3
	ds_read2_b32 v[8:9], v7 offset1:2
	ds_read2_b32 v[10:11], v20 offset0:1 offset1:3
	v_mad_u32_u24 v21, v0, 12, v5
	v_add_u32_e32 v22, 0x400, v21
	v_add_u32_e32 v25, 0xc00, v3
	s_waitcnt lgkmcnt(0)
	v_fma_f32 v16, -v9, v10, 1.0
	v_div_scale_f32 v17, s[8:9], v16, v16, 1.0
	v_rcp_f32_e32 v18, v17
	v_div_scale_f32 v19, vcc, 1.0, v16, 1.0
	v_fma_f32 v12, -v17, v18, 1.0
	v_fmac_f32_e32 v18, v12, v18
	v_mul_f32_e32 v23, v19, v18
	v_fma_f32 v12, -v17, v23, v19
	v_fmac_f32_e32 v23, v12, v18
	ds_read2_b32 v[12:13], v22 offset0:1 offset1:3
	ds_read2_b32 v[14:15], v21 offset1:2
	v_fma_f32 v17, -v17, v23, v19
	v_div_fmas_f32 v17, v17, v18, v23
	v_div_fixup_f32 v23, v17, v16, 1.0
	ds_read2_b32 v[18:19], v25 offset0:1 offset1:3
	s_waitcnt lgkmcnt(1)
	v_fma_f32 v16, -v10, v15, v12
	v_mul_f32_e32 v24, v23, v16
	ds_read2_b32 v[16:17], v3 offset1:2
	v_fma_f32 v12, -v9, v12, v15
	v_mul_f32_e32 v12, v12, v23
	s_waitcnt lgkmcnt(1)
	v_mul_f32_e32 v9, v9, v18
	v_mul_f32_e64 v9, v9, -v23
	s_waitcnt lgkmcnt(0)
	v_fma_f32 v14, -v12, v16, v14
	ds_write2_b32 v21, v14, v12 offset1:2
	v_fma_f32 v12, -v19, v24, v13
	ds_write2_b32 v22, v24, v12 offset0:1 offset1:3
	v_mul_f32_e32 v10, v10, v17
	v_mul_f32_e32 v12, v23, v17
	v_fma_f32 v8, -v9, v16, v8
	v_mul_f32_e64 v10, v10, -v23
	ds_write2_b32 v7, v8, v9 offset1:2
	v_mul_f32_e64 v7, v12, -v16
	v_mul_f32_e32 v13, v23, v18
	ds_write2_b32 v3, v7, v12 offset1:2
	v_fma_f32 v3, -v10, v19, v11
	ds_write2_b32 v20, v10, v3 offset0:1 offset1:3
	v_mul_f32_e64 v3, v13, -v19
	ds_write2_b32 v25, v13, v3 offset0:1 offset1:3
.LBB25_16:
	s_or_b64 exec, exec, s[6:7]
	v_cmp_gt_u32_e32 vcc, 32, v0
	s_waitcnt lgkmcnt(0)
	s_barrier
	s_and_saveexec_b64 s[6:7], vcc
	s_cbranch_execz .LBB25_18
; %bb.17:
	v_lshlrev_b32_e32 v3, 5, v0
	v_add_u32_e32 v7, 0x800, v3
	v_add_u32_e32 v20, 0x400, v3
	ds_read2_b32 v[8:9], v7 offset1:4
	ds_read2_b32 v[10:11], v20 offset0:3 offset1:7
	v_add_u32_e32 v21, 0x1400, v3
	v_add_u32_e32 v23, 0x1000, v3
	ds_read2_b32 v[12:13], v21 offset0:3 offset1:7
	v_add_u32_e32 v25, 0xc00, v3
	s_waitcnt lgkmcnt(1)
	v_fma_f32 v16, -v9, v10, 1.0
	v_div_scale_f32 v17, s[8:9], v16, v16, 1.0
	v_rcp_f32_e32 v18, v17
	v_div_scale_f32 v19, vcc, 1.0, v16, 1.0
	v_fma_f32 v14, -v17, v18, 1.0
	v_fmac_f32_e32 v18, v14, v18
	v_mul_f32_e32 v22, v19, v18
	v_fma_f32 v14, -v17, v22, v19
	v_fmac_f32_e32 v22, v14, v18
	ds_read2_b32 v[14:15], v23 offset1:4
	v_fma_f32 v17, -v17, v22, v19
	v_div_fmas_f32 v17, v17, v18, v22
	v_div_fixup_f32 v22, v17, v16, 1.0
	ds_read2_b32 v[18:19], v25 offset0:3 offset1:7
	s_waitcnt lgkmcnt(1)
	v_fma_f32 v16, -v10, v15, v12
	v_mul_f32_e32 v24, v22, v16
	ds_read2_b32 v[16:17], v3 offset1:4
	v_fma_f32 v12, -v9, v12, v15
	v_mul_f32_e32 v12, v12, v22
	s_waitcnt lgkmcnt(1)
	v_mul_f32_e32 v9, v9, v18
	v_mul_f32_e64 v9, v9, -v22
	s_waitcnt lgkmcnt(0)
	v_fma_f32 v14, -v12, v16, v14
	ds_write2_b32 v23, v14, v12 offset1:4
	v_fma_f32 v12, -v19, v24, v13
	ds_write2_b32 v21, v24, v12 offset0:3 offset1:7
	v_mul_f32_e32 v10, v10, v17
	v_mul_f32_e32 v12, v22, v17
	v_fma_f32 v8, -v9, v16, v8
	v_mul_f32_e64 v10, v10, -v22
	ds_write2_b32 v7, v8, v9 offset1:4
	v_mul_f32_e64 v7, v12, -v16
	v_mul_f32_e32 v13, v22, v18
	ds_write2_b32 v3, v7, v12 offset1:4
	v_fma_f32 v3, -v10, v19, v11
	ds_write2_b32 v20, v10, v3 offset0:3 offset1:7
	v_mul_f32_e64 v3, v13, -v19
	ds_write2_b32 v25, v13, v3 offset0:3 offset1:7
.LBB25_18:
	s_or_b64 exec, exec, s[6:7]
	v_cmp_gt_u32_e32 vcc, 16, v0
	s_waitcnt lgkmcnt(0)
	s_barrier
	s_and_saveexec_b64 s[6:7], vcc
	s_cbranch_execz .LBB25_20
; %bb.19:
	v_lshlrev_b32_e32 v3, 6, v0
	v_add_u32_e32 v7, 0x800, v3
	v_add_u32_e32 v20, 0x400, v3
	ds_read2_b32 v[8:9], v7 offset1:8
	ds_read2_b32 v[10:11], v20 offset0:7 offset1:15
	v_add_u32_e32 v21, 0x1400, v3
	v_add_u32_e32 v23, 0x1000, v3
	ds_read2_b32 v[12:13], v21 offset0:7 offset1:15
	v_add_u32_e32 v25, 0xc00, v3
	s_waitcnt lgkmcnt(1)
	v_fma_f32 v16, -v9, v10, 1.0
	v_div_scale_f32 v17, s[8:9], v16, v16, 1.0
	v_rcp_f32_e32 v18, v17
	v_div_scale_f32 v19, vcc, 1.0, v16, 1.0
	v_fma_f32 v14, -v17, v18, 1.0
	v_fmac_f32_e32 v18, v14, v18
	v_mul_f32_e32 v22, v19, v18
	v_fma_f32 v14, -v17, v22, v19
	v_fmac_f32_e32 v22, v14, v18
	ds_read2_b32 v[14:15], v23 offset1:8
	v_fma_f32 v17, -v17, v22, v19
	v_div_fmas_f32 v17, v17, v18, v22
	v_div_fixup_f32 v22, v17, v16, 1.0
	ds_read2_b32 v[18:19], v25 offset0:7 offset1:15
	s_waitcnt lgkmcnt(1)
	v_fma_f32 v16, -v10, v15, v12
	v_mul_f32_e32 v24, v22, v16
	ds_read2_b32 v[16:17], v3 offset1:8
	v_fma_f32 v12, -v9, v12, v15
	v_mul_f32_e32 v12, v12, v22
	s_waitcnt lgkmcnt(1)
	v_mul_f32_e32 v9, v9, v18
	v_mul_f32_e64 v9, v9, -v22
	s_waitcnt lgkmcnt(0)
	v_fma_f32 v14, -v12, v16, v14
	ds_write2_b32 v23, v14, v12 offset1:8
	v_fma_f32 v12, -v19, v24, v13
	ds_write2_b32 v21, v24, v12 offset0:7 offset1:15
	v_mul_f32_e32 v10, v10, v17
	v_mul_f32_e32 v12, v22, v17
	v_fma_f32 v8, -v9, v16, v8
	v_mul_f32_e64 v10, v10, -v22
	ds_write2_b32 v7, v8, v9 offset1:8
	v_mul_f32_e64 v7, v12, -v16
	v_mul_f32_e32 v13, v22, v18
	ds_write2_b32 v3, v7, v12 offset1:8
	v_fma_f32 v3, -v10, v19, v11
	ds_write2_b32 v20, v10, v3 offset0:7 offset1:15
	v_mul_f32_e64 v3, v13, -v19
	ds_write2_b32 v25, v13, v3 offset0:7 offset1:15
.LBB25_20:
	;; [unrolled: 58-line block ×4, first 2 shown]
	s_or_b64 exec, exec, s[6:7]
	v_cmp_gt_u32_e32 vcc, 2, v0
	s_waitcnt lgkmcnt(0)
	s_barrier
	s_and_saveexec_b64 s[6:7], vcc
	s_cbranch_execz .LBB25_26
; %bb.25:
	v_lshlrev_b32_e32 v3, 9, v0
	v_add_u32_e32 v7, 0xfc, v3
	ds_read2st64_b32 v[8:9], v7 offset0:4 offset1:5
	ds_read2st64_b32 v[10:11], v3 offset0:8 offset1:9
	;; [unrolled: 1-line block ×3, first 2 shown]
	ds_read2st64_b32 v[14:15], v3 offset1:1
	ds_read2st64_b32 v[16:17], v7 offset0:12 offset1:13
	ds_read2st64_b32 v[18:19], v7 offset0:20 offset1:21
	s_waitcnt lgkmcnt(4)
	v_fma_f32 v20, -v11, v8, 1.0
	v_div_scale_f32 v21, s[8:9], v20, v20, 1.0
	v_rcp_f32_e32 v22, v21
	s_nop 0
	v_fma_f32 v23, -v21, v22, 1.0
	v_fmac_f32_e32 v22, v23, v22
	v_div_scale_f32 v23, vcc, 1.0, v20, 1.0
	v_mul_f32_e32 v24, v23, v22
	v_fma_f32 v25, -v21, v24, v23
	v_fmac_f32_e32 v24, v25, v22
	v_fma_f32 v21, -v21, v24, v23
	v_div_fmas_f32 v21, v21, v22, v24
	v_div_fixup_f32 v20, v21, v20, 1.0
	s_waitcnt lgkmcnt(0)
	v_fma_f32 v21, -v8, v13, v18
	v_fma_f32 v13, -v11, v18, v13
	v_mul_f32_e32 v13, v13, v20
	v_mul_f32_e32 v21, v20, v21
	v_fma_f32 v12, -v13, v14, v12
	v_mul_f32_e32 v11, v11, v16
	ds_write2st64_b32 v3, v12, v13 offset0:16 offset1:17
	v_fma_f32 v12, -v17, v21, v19
	v_mul_f32_e64 v11, v11, -v20
	ds_write2st64_b32 v7, v21, v12 offset0:20 offset1:21
	v_mul_f32_e32 v8, v8, v15
	v_mul_f32_e32 v12, v20, v15
	v_fma_f32 v10, -v11, v14, v10
	v_mul_f32_e64 v8, v8, -v20
	ds_write2st64_b32 v3, v10, v11 offset0:8 offset1:9
	v_mul_f32_e64 v10, v12, -v14
	v_mul_f32_e32 v13, v20, v16
	ds_write2st64_b32 v3, v10, v12 offset1:1
	v_fma_f32 v3, -v8, v17, v9
	ds_write2st64_b32 v7, v8, v3 offset0:4 offset1:5
	v_mul_f32_e64 v3, v13, -v17
	ds_write2st64_b32 v7, v13, v3 offset0:12 offset1:13
.LBB25_26:
	s_or_b64 exec, exec, s[6:7]
	v_cmp_eq_u32_e64 s[6:7], 0, v0
	s_waitcnt lgkmcnt(0)
	s_barrier
	s_and_saveexec_b64 s[8:9], s[6:7]
	s_cbranch_execz .LBB25_28
; %bb.27:
	s_movk_i32 s10, 0xa00
	v_add_u32_e64 v3, s10, 0
	v_mov_b32_e32 v0, 0
	ds_read2_b32 v[8:9], v3 offset1:255
	ds_read_b32 v7, v0 offset:1532
	v_mov_b32_e32 v18, 0x7fc
	ds_read2_b32 v[10:11], v18 offset1:1
	ds_read_b32 v19, v0 offset:6140
	v_mov_b32_e32 v21, 0xffc
	ds_read2_b32 v[12:13], v21 offset1:1
	s_waitcnt lgkmcnt(3)
	v_fma_f32 v16, -v8, v7, 1.0
	v_div_scale_f32 v17, s[10:11], v16, v16, 1.0
	v_rcp_f32_e32 v20, v17
	v_div_scale_f32 v22, vcc, 1.0, v16, 1.0
	s_movk_i32 s10, 0x1200
	v_fma_f32 v14, -v17, v20, 1.0
	v_fmac_f32_e32 v20, v14, v20
	v_mul_f32_e32 v23, v22, v20
	v_fma_f32 v14, -v17, v23, v22
	v_fmac_f32_e32 v23, v14, v20
	v_add_u32_e64 v24, s10, 0
	ds_read2_b32 v[14:15], v24 offset1:255
	v_fma_f32 v17, -v17, v23, v22
	v_div_fmas_f32 v17, v17, v20, v23
	v_div_fixup_f32 v20, v17, v16, 1.0
	ds_read2st64_b32 v[16:17], v0 offset1:2
	s_waitcnt lgkmcnt(1)
	v_fma_f32 v22, -v7, v14, v15
	v_fma_f32 v14, -v8, v15, v14
	v_mul_f32_e32 v22, v20, v22
	v_mul_f32_e32 v14, v14, v20
	ds_write2_b32 v24, v14, v22 offset1:255
	s_waitcnt lgkmcnt(1)
	v_fma_f32 v13, -v14, v16, v13
	v_fma_f32 v14, -v12, v22, v19
	v_mul_f32_e32 v8, v8, v9
	ds_write_b32 v0, v14 offset:6140
	v_mul_f32_e32 v7, v7, v17
	v_mul_f32_e32 v14, v20, v17
	v_mul_f32_e64 v8, v8, -v20
	v_mul_f32_e32 v9, v20, v9
	v_mul_f32_e64 v7, v7, -v20
	ds_write2_b32 v3, v8, v9 offset1:255
	v_fma_f32 v3, -v8, v16, v11
	v_mul_f32_e64 v8, v14, -v16
	ds_write_b32 v0, v7 offset:1532
	ds_write2st64_b32 v0, v8, v14 offset1:2
	v_fma_f32 v0, -v7, v12, v10
	ds_write2_b32 v18, v0, v3 offset1:1
	v_mul_f32_e64 v0, v9, -v12
	ds_write2_b32 v21, v0, v13 offset1:1
.LBB25_28:
	s_or_b64 exec, exec, s[8:9]
	s_load_dwordx2 s[14:15], s[0:1], 0x48
	s_load_dwordx4 s[8:11], s[0:1], 0x38
	s_waitcnt lgkmcnt(0)
	s_barrier
	s_and_saveexec_b64 s[16:17], s[4:5]
	s_cbranch_execnz .LBB25_31
; %bb.29:
	s_or_b64 exec, exec, s[16:17]
	s_and_saveexec_b64 s[4:5], s[6:7]
	s_cbranch_execnz .LBB25_35
.LBB25_30:
	s_endpgm
.LBB25_31:
	s_cmp_eq_u32 s3, 0
	s_cbranch_scc1 .LBB25_39
; %bb.32:
	s_mul_i32 s18, s18, 3
	s_cbranch_execnz .LBB25_34
.LBB25_33:
	s_load_dwordx4 s[20:23], s[0:1], 0x28
	ds_read2st64_b32 v[6:7], v6 offset1:4
	ds_read2st64_b32 v[0:1], v1 offset1:4
	v_ashrrev_i32_e32 v3, 31, v2
	v_add_u32_e32 v8, s19, v2
	v_lshlrev_b64 v[2:3], 2, v[2:3]
	v_mov_b32_e32 v9, 0
	s_waitcnt lgkmcnt(0)
	v_lshl_add_u64 v[10:11], s[20:21], 0, v[2:3]
	v_lshlrev_b64 v[8:9], 2, v[8:9]
	v_lshl_add_u64 v[2:3], s[22:23], 0, v[2:3]
	global_store_dword v[10:11], v6, off
	v_lshl_add_u64 v[10:11], s[20:21], 0, v[8:9]
	global_store_dword v[2:3], v0, off
	v_lshl_add_u64 v[2:3], s[22:23], 0, v[8:9]
	s_mov_b32 s18, s19
	global_store_dword v[10:11], v7, off
	global_store_dword v[2:3], v1, off
.LBB25_34:
	ds_read2st64_b32 v[0:1], v5 offset1:4
	v_ashrrev_i32_e32 v5, 31, v4
	v_add_u32_e32 v2, s18, v4
	v_mov_b32_e32 v3, 0
	v_lshl_add_u64 v[4:5], v[4:5], 2, s[12:13]
	v_lshl_add_u64 v[2:3], v[2:3], 2, s[12:13]
	s_waitcnt lgkmcnt(0)
	global_store_dword v[4:5], v0, off
	global_store_dword v[2:3], v1, off
	s_or_b64 exec, exec, s[16:17]
	s_and_saveexec_b64 s[4:5], s[6:7]
	s_cbranch_execz .LBB25_30
.LBB25_35:
	s_cmp_eq_u32 s3, 0
	s_cbranch_scc1 .LBB25_40
; %bb.36:
	s_load_dword s6, s[0:1], 0x50
	s_cbranch_execnz .LBB25_38
.LBB25_37:
	s_waitcnt lgkmcnt(0)
	s_load_dword s6, s[0:1], 0x50
	v_mov_b32_e32 v0, 0x7fc
	ds_read2_b32 v[0:1], v0 offset1:1
	s_mov_b32 s4, s3
	s_ashr_i32 s3, s2, 31
	s_lshl_b64 s[12:13], s[2:3], 2
	s_mov_b32 s3, s4
	s_add_u32 s4, s10, s12
	v_mov_b32_e32 v2, 0
	s_addc_u32 s5, s11, s13
	ds_read_b32 v3, v2 offset:4092
	ds_read_b32 v4, v2
	s_waitcnt lgkmcnt(0)
	s_add_i32 s0, s6, s2
	s_mov_b32 s1, 0
	s_lshl_b64 s[0:1], s[0:1], 2
	global_store_dword v2, v1, s[4:5]
	s_add_u32 s4, s10, s0
	s_addc_u32 s5, s11, s1
	global_store_dword v2, v3, s[4:5]
	s_add_u32 s4, s14, s12
	s_addc_u32 s5, s15, s13
	s_add_u32 s0, s14, s0
	s_addc_u32 s1, s15, s1
	global_store_dword v2, v4, s[4:5]
	global_store_dword v2, v0, s[0:1]
.LBB25_38:
	s_waitcnt lgkmcnt(0)
	s_mul_i32 s0, s6, s3
	s_lshl_b32 s0, s0, 1
	s_add_i32 s0, s0, s2
	s_mov_b32 s1, 0
	v_mov_b32_e32 v0, 0
	s_lshl_b64 s[2:3], s[0:1], 2
	ds_read_b32 v1, v0 offset:4096
	ds_read_b32 v2, v0 offset:6140
	s_add_u32 s2, s8, s2
	s_addc_u32 s3, s9, s3
	s_add_i32 s0, s0, s6
	s_lshl_b64 s[0:1], s[0:1], 2
	s_add_u32 s0, s8, s0
	s_addc_u32 s1, s9, s1
	s_waitcnt lgkmcnt(1)
	global_store_dword v0, v1, s[2:3]
	s_waitcnt lgkmcnt(0)
	global_store_dword v0, v2, s[0:1]
	s_endpgm
.LBB25_39:
                                        ; implicit-def: $sgpr18
	s_branch .LBB25_33
.LBB25_40:
                                        ; implicit-def: $sgpr6
	s_branch .LBB25_37
	.section	.rodata,"a",@progbits
	.p2align	6, 0x0
	.amdhsa_kernel _ZN9rocsparseL29gtsv_spike_block_level_kernelILj256ELj4EfEEviiiPT1_PKS1_S4_S2_S2_S2_S2_S2_
		.amdhsa_group_segment_fixed_size 6144
		.amdhsa_private_segment_fixed_size 0
		.amdhsa_kernarg_size 336
		.amdhsa_user_sgpr_count 2
		.amdhsa_user_sgpr_dispatch_ptr 0
		.amdhsa_user_sgpr_queue_ptr 0
		.amdhsa_user_sgpr_kernarg_segment_ptr 1
		.amdhsa_user_sgpr_dispatch_id 0
		.amdhsa_user_sgpr_kernarg_preload_length 0
		.amdhsa_user_sgpr_kernarg_preload_offset 0
		.amdhsa_user_sgpr_private_segment_size 0
		.amdhsa_uses_dynamic_stack 0
		.amdhsa_enable_private_segment 0
		.amdhsa_system_sgpr_workgroup_id_x 1
		.amdhsa_system_sgpr_workgroup_id_y 1
		.amdhsa_system_sgpr_workgroup_id_z 0
		.amdhsa_system_sgpr_workgroup_info 0
		.amdhsa_system_vgpr_workitem_id 0
		.amdhsa_next_free_vgpr 27
		.amdhsa_next_free_sgpr 24
		.amdhsa_accum_offset 28
		.amdhsa_reserve_vcc 1
		.amdhsa_float_round_mode_32 0
		.amdhsa_float_round_mode_16_64 0
		.amdhsa_float_denorm_mode_32 3
		.amdhsa_float_denorm_mode_16_64 3
		.amdhsa_dx10_clamp 1
		.amdhsa_ieee_mode 1
		.amdhsa_fp16_overflow 0
		.amdhsa_tg_split 0
		.amdhsa_exception_fp_ieee_invalid_op 0
		.amdhsa_exception_fp_denorm_src 0
		.amdhsa_exception_fp_ieee_div_zero 0
		.amdhsa_exception_fp_ieee_overflow 0
		.amdhsa_exception_fp_ieee_underflow 0
		.amdhsa_exception_fp_ieee_inexact 0
		.amdhsa_exception_int_div_zero 0
	.end_amdhsa_kernel
	.section	.text._ZN9rocsparseL29gtsv_spike_block_level_kernelILj256ELj4EfEEviiiPT1_PKS1_S4_S2_S2_S2_S2_S2_,"axG",@progbits,_ZN9rocsparseL29gtsv_spike_block_level_kernelILj256ELj4EfEEviiiPT1_PKS1_S4_S2_S2_S2_S2_S2_,comdat
.Lfunc_end25:
	.size	_ZN9rocsparseL29gtsv_spike_block_level_kernelILj256ELj4EfEEviiiPT1_PKS1_S4_S2_S2_S2_S2_S2_, .Lfunc_end25-_ZN9rocsparseL29gtsv_spike_block_level_kernelILj256ELj4EfEEviiiPT1_PKS1_S4_S2_S2_S2_S2_S2_
                                        ; -- End function
	.set _ZN9rocsparseL29gtsv_spike_block_level_kernelILj256ELj4EfEEviiiPT1_PKS1_S4_S2_S2_S2_S2_S2_.num_vgpr, 27
	.set _ZN9rocsparseL29gtsv_spike_block_level_kernelILj256ELj4EfEEviiiPT1_PKS1_S4_S2_S2_S2_S2_S2_.num_agpr, 0
	.set _ZN9rocsparseL29gtsv_spike_block_level_kernelILj256ELj4EfEEviiiPT1_PKS1_S4_S2_S2_S2_S2_S2_.numbered_sgpr, 24
	.set _ZN9rocsparseL29gtsv_spike_block_level_kernelILj256ELj4EfEEviiiPT1_PKS1_S4_S2_S2_S2_S2_S2_.num_named_barrier, 0
	.set _ZN9rocsparseL29gtsv_spike_block_level_kernelILj256ELj4EfEEviiiPT1_PKS1_S4_S2_S2_S2_S2_S2_.private_seg_size, 0
	.set _ZN9rocsparseL29gtsv_spike_block_level_kernelILj256ELj4EfEEviiiPT1_PKS1_S4_S2_S2_S2_S2_S2_.uses_vcc, 1
	.set _ZN9rocsparseL29gtsv_spike_block_level_kernelILj256ELj4EfEEviiiPT1_PKS1_S4_S2_S2_S2_S2_S2_.uses_flat_scratch, 0
	.set _ZN9rocsparseL29gtsv_spike_block_level_kernelILj256ELj4EfEEviiiPT1_PKS1_S4_S2_S2_S2_S2_S2_.has_dyn_sized_stack, 0
	.set _ZN9rocsparseL29gtsv_spike_block_level_kernelILj256ELj4EfEEviiiPT1_PKS1_S4_S2_S2_S2_S2_S2_.has_recursion, 0
	.set _ZN9rocsparseL29gtsv_spike_block_level_kernelILj256ELj4EfEEviiiPT1_PKS1_S4_S2_S2_S2_S2_S2_.has_indirect_call, 0
	.section	.AMDGPU.csdata,"",@progbits
; Kernel info:
; codeLenInByte = 3748
; TotalNumSgprs: 30
; NumVgprs: 27
; NumAgprs: 0
; TotalNumVgprs: 27
; ScratchSize: 0
; MemoryBound: 0
; FloatMode: 240
; IeeeMode: 1
; LDSByteSize: 6144 bytes/workgroup (compile time only)
; SGPRBlocks: 3
; VGPRBlocks: 3
; NumSGPRsForWavesPerEU: 30
; NumVGPRsForWavesPerEU: 27
; AccumOffset: 28
; Occupancy: 8
; WaveLimiterHint : 0
; COMPUTE_PGM_RSRC2:SCRATCH_EN: 0
; COMPUTE_PGM_RSRC2:USER_SGPR: 2
; COMPUTE_PGM_RSRC2:TRAP_HANDLER: 0
; COMPUTE_PGM_RSRC2:TGID_X_EN: 1
; COMPUTE_PGM_RSRC2:TGID_Y_EN: 1
; COMPUTE_PGM_RSRC2:TGID_Z_EN: 0
; COMPUTE_PGM_RSRC2:TIDIG_COMP_CNT: 0
; COMPUTE_PGM_RSRC3_GFX90A:ACCUM_OFFSET: 6
; COMPUTE_PGM_RSRC3_GFX90A:TG_SPLIT: 0
	.section	.text._ZN9rocsparseL33gtsv_solve_spike_propagate_kernelILj256ELj4EfEEviiiPT1_PKS1_S4_S4_,"axG",@progbits,_ZN9rocsparseL33gtsv_solve_spike_propagate_kernelILj256ELj4EfEEviiiPT1_PKS1_S4_S4_,comdat
	.globl	_ZN9rocsparseL33gtsv_solve_spike_propagate_kernelILj256ELj4EfEEviiiPT1_PKS1_S4_S4_ ; -- Begin function _ZN9rocsparseL33gtsv_solve_spike_propagate_kernelILj256ELj4EfEEviiiPT1_PKS1_S4_S4_
	.p2align	8
	.type	_ZN9rocsparseL33gtsv_solve_spike_propagate_kernelILj256ELj4EfEEviiiPT1_PKS1_S4_S4_,@function
_ZN9rocsparseL33gtsv_solve_spike_propagate_kernelILj256ELj4EfEEviiiPT1_PKS1_S4_S4_: ; @_ZN9rocsparseL33gtsv_solve_spike_propagate_kernelILj256ELj4EfEEviiiPT1_PKS1_S4_S4_
; %bb.0:
	s_load_dword s8, s[0:1], 0x0
	v_lshl_or_b32 v2, s2, 8, v0
	v_mov_b32_e32 v4, 0
	v_ashrrev_i32_e32 v3, 31, v2
	v_mov_b32_e32 v5, 0
	s_waitcnt lgkmcnt(0)
	s_lshr_b32 s12, s8, 2
	v_cmp_le_i32_e64 s[4:5], s12, v2
	v_cmp_gt_i32_e32 vcc, s12, v2
	s_and_saveexec_b64 s[6:7], vcc
	s_cbranch_execz .LBB26_2
; %bb.1:
	s_load_dwordx2 s[10:11], s[0:1], 0x18
	v_mad_u64_u32 v[4:5], s[14:15], s12, 3, v[2:3]
	v_mov_b32_e32 v5, 0
	s_waitcnt lgkmcnt(0)
	v_lshl_add_u64 v[6:7], v[2:3], 2, s[10:11]
	v_lshl_add_u64 v[8:9], v[4:5], 2, s[10:11]
	global_load_dword v4, v[6:7], off
	global_load_dword v5, v[8:9], off
.LBB26_2:
	s_or_b64 exec, exec, s[6:7]
	s_load_dwordx2 s[6:7], s[0:1], 0x10
	v_lshlrev_b32_e32 v1, 2, v0
	v_add_u32_e32 v6, 16, v1
	s_waitcnt vmcnt(0)
	ds_write2st64_b32 v6, v4, v5 offset0:16 offset1:20
	s_and_saveexec_b64 s[10:11], s[4:5]
	s_xor_b64 s[4:5], exec, s[10:11]
; %bb.3:
	v_mov_b32_e32 v3, 0
	ds_write2st64_b32 v6, v3, v3 offset0:8 offset1:12
; %bb.4:
	s_or_saveexec_b64 s[4:5], s[4:5]
	v_mov_b32_e32 v4, 0
	s_mul_i32 s8, s8, s3
	v_mov_b32_e32 v5, 0
	s_xor_b64 exec, exec, s[4:5]
	s_cbranch_execz .LBB26_6
; %bb.5:
	s_load_dwordx2 s[10:11], s[0:1], 0x20
	v_mad_u64_u32 v[6:7], s[14:15], s12, 3, v[2:3]
	v_mov_b32_e32 v7, 0
	s_waitcnt lgkmcnt(0)
	v_lshl_add_u64 v[10:11], v[6:7], 2, s[10:11]
	v_add_u32_e32 v6, s8, v6
	v_lshl_add_u64 v[8:9], v[2:3], 2, s[10:11]
	v_lshl_add_u64 v[6:7], v[6:7], 2, s[6:7]
	global_load_dword v3, v[8:9], off
	global_load_dword v12, v[10:11], off
	;; [unrolled: 1-line block ×3, first 2 shown]
	v_add_u32_e32 v6, 16, v1
	s_waitcnt vmcnt(1)
	ds_write2st64_b32 v6, v3, v12 offset0:8 offset1:12
.LBB26_6:
	s_or_b64 exec, exec, s[4:5]
	v_add_u32_e32 v2, s8, v2
	s_waitcnt vmcnt(0)
	ds_write_b32 v1, v5 offset:4
	s_and_saveexec_b64 s[4:5], vcc
	s_cbranch_execz .LBB26_8
; %bb.7:
	v_ashrrev_i32_e32 v3, 31, v2
	s_waitcnt lgkmcnt(0)
	v_lshl_add_u64 v[4:5], v[2:3], 2, s[6:7]
	global_load_dword v4, v[4:5], off
.LBB26_8:
	s_or_b64 exec, exec, s[4:5]
	s_mov_b32 s14, 0
	v_cmp_eq_u32_e64 s[4:5], 0, v0
	s_waitcnt vmcnt(0)
	ds_write_b32 v1, v4 offset:1028
	s_waitcnt lgkmcnt(0)
	s_barrier
	s_and_saveexec_b64 s[8:9], s[4:5]
	s_cbranch_execz .LBB26_14
; %bb.9:
	s_load_dword s13, s[0:1], 0x30
	s_load_dwordx2 s[10:11], s[0:1], 0x28
	s_cmp_lt_i32 s2, 1
	s_waitcnt lgkmcnt(0)
	s_mul_i32 s3, s3, s13
	s_cbranch_scc1 .LBB26_11
; %bb.10:
	s_lshl_b32 s0, s3, 1
	s_add_i32 s1, s2, s13
	s_add_i32 s0, s1, s0
	s_add_i32 s0, s0, -1
	s_mov_b32 s1, 0
	s_lshl_b64 s[0:1], s[0:1], 2
	s_add_u32 s0, s10, s0
	s_addc_u32 s1, s11, s1
	s_load_dword s14, s[0:1], 0x0
.LBB26_11:
	s_add_i32 s0, s13, -1
	v_mov_b32_e32 v3, 0
	s_waitcnt lgkmcnt(0)
	v_mov_b32_e32 v4, s14
	s_mov_b32 s1, 0
	s_cmp_ge_u32 s2, s0
	s_mov_b32 s14, 0
	ds_write_b32 v3, v4
	s_cbranch_scc1 .LBB26_13
; %bb.12:
	s_lshl_b32 s0, s3, 1
	s_add_i32 s0, s2, s0
	s_add_i32 s14, s0, 1
	s_mov_b32 s15, 0
	s_lshl_b64 s[14:15], s[14:15], 2
	s_add_u32 s14, s10, s14
	s_addc_u32 s15, s11, s15
	s_load_dword s14, s[14:15], 0x0
.LBB26_13:
	s_lshl_b32 s0, s3, 1
	s_add_i32 s0, s0, s2
	s_lshl_b64 s[2:3], s[0:1], 2
	s_add_u32 s2, s10, s2
	s_addc_u32 s3, s11, s3
	s_add_i32 s0, s0, s13
	s_lshl_b64 s[0:1], s[0:1], 2
	s_add_u32 s0, s10, s0
	s_addc_u32 s1, s11, s1
	s_load_dword s10, s[0:1], 0x0
	s_load_dword s11, s[2:3], 0x0
	s_waitcnt lgkmcnt(0)
	v_mov_b32_e32 v4, s14
	ds_write_b32 v3, v4 offset:2052
	v_mov_b32_e32 v4, s10
	v_mov_b32_e32 v5, s11
	ds_write_b64 v3, v[4:5] offset:1024
.LBB26_14:
	s_or_b64 exec, exec, s[8:9]
	s_waitcnt lgkmcnt(0)
	s_barrier
	s_and_saveexec_b64 s[0:1], s[4:5]
	s_cbranch_execz .LBB26_16
; %bb.15:
	s_movk_i32 s2, 0xa10
	v_mov_b32_e32 v3, 0
	v_add_u32_e64 v6, s2, 0
	v_add_u32_e64 v8, 4, 0
	s_movk_i32 s2, 0x1210
	ds_read2st64_b32 v[4:5], v3 offset1:2
	ds_read2_b32 v[6:7], v6 offset1:255
	ds_read2st64_b32 v[8:9], v8 offset0:6 offset1:8
	v_add_u32_e64 v10, s2, 0
	ds_read2_b32 v[10:11], v10 offset1:255
	s_waitcnt lgkmcnt(1)
	v_fma_f32 v5, -v7, v9, v5
	s_waitcnt lgkmcnt(0)
	v_fma_f32 v5, -v11, v4, v5
	ds_write_b32 v3, v5 offset:512
	v_fma_f32 v5, -v6, v9, v8
	v_fma_f32 v4, -v10, v4, v5
	ds_write_b32 v3, v4 offset:1540
.LBB26_16:
	s_or_b64 exec, exec, s[0:1]
	v_cmp_gt_u32_e64 s[0:1], 2, v0
	s_waitcnt lgkmcnt(0)
	s_barrier
	s_and_saveexec_b64 s[2:3], s[0:1]
	s_cbranch_execz .LBB26_18
; %bb.17:
	s_movk_i32 s0, 0x1fc
	v_mad_u32_u24 v3, v0, s0, v1
	v_lshlrev_b32_e32 v10, 9, v0
	v_add_u32_e32 v6, 0x910, v10
	v_add_u32_e32 v8, 4, v3
	ds_read2st64_b32 v[4:5], v3 offset1:1
	ds_read2_b32 v[6:7], v6 offset1:255
	ds_read2st64_b32 v[8:9], v8 offset0:5 offset1:6
	v_add_u32_e32 v10, 0x1110, v10
	ds_read2_b32 v[10:11], v10 offset1:255
	s_waitcnt lgkmcnt(1)
	v_fma_f32 v5, -v7, v9, v5
	s_waitcnt lgkmcnt(0)
	v_fma_f32 v5, -v11, v4, v5
	ds_write_b32 v3, v5 offset:256
	v_fma_f32 v5, -v6, v9, v8
	v_fma_f32 v4, -v10, v4, v5
	ds_write_b32 v3, v4 offset:1284
.LBB26_18:
	s_or_b64 exec, exec, s[2:3]
	v_cmp_gt_u32_e64 s[0:1], 4, v0
	s_waitcnt lgkmcnt(0)
	s_barrier
	s_and_saveexec_b64 s[2:3], s[0:1]
	s_cbranch_execz .LBB26_20
; %bb.19:
	v_lshlrev_b32_e32 v3, 8, v0
	v_add_u32_e32 v6, 0x890, v3
	v_add_u32_e32 v8, 0x400, v3
	ds_read2_b32 v[4:5], v3 offset1:32
	ds_read2_b32 v[6:7], v6 offset1:255
	ds_read2_b32 v[8:9], v8 offset0:33 offset1:65
	v_add_u32_e32 v10, 0x1090, v3
	ds_read2_b32 v[10:11], v10 offset1:255
	s_waitcnt lgkmcnt(1)
	v_fma_f32 v5, -v7, v9, v5
	s_waitcnt lgkmcnt(0)
	v_fma_f32 v5, -v11, v4, v5
	ds_write_b32 v3, v5 offset:128
	v_fma_f32 v5, -v6, v9, v8
	v_fma_f32 v4, -v10, v4, v5
	ds_write_b32 v3, v4 offset:1156
.LBB26_20:
	s_or_b64 exec, exec, s[2:3]
	v_cmp_gt_u32_e64 s[0:1], 8, v0
	s_waitcnt lgkmcnt(0)
	s_barrier
	s_and_saveexec_b64 s[2:3], s[0:1]
	s_cbranch_execz .LBB26_22
; %bb.21:
	v_lshlrev_b32_e32 v3, 7, v0
	v_add_u32_e32 v6, 0x850, v3
	v_add_u32_e32 v8, 0x400, v3
	ds_read2_b32 v[4:5], v3 offset1:16
	ds_read2_b32 v[6:7], v6 offset1:255
	ds_read2_b32 v[8:9], v8 offset0:17 offset1:33
	v_add_u32_e32 v10, 0x1050, v3
	ds_read2_b32 v[10:11], v10 offset1:255
	s_waitcnt lgkmcnt(1)
	v_fma_f32 v5, -v7, v9, v5
	s_waitcnt lgkmcnt(0)
	v_fma_f32 v5, -v11, v4, v5
	ds_write_b32 v3, v5 offset:64
	v_fma_f32 v5, -v6, v9, v8
	v_fma_f32 v4, -v10, v4, v5
	ds_write_b32 v3, v4 offset:1092
.LBB26_22:
	;; [unrolled: 24-line block ×5, first 2 shown]
	s_or_b64 exec, exec, s[2:3]
	s_movk_i32 s0, 0x80
	v_cmp_gt_u32_e64 s[0:1], s0, v0
	s_waitcnt lgkmcnt(0)
	s_barrier
	s_and_saveexec_b64 s[2:3], s[0:1]
	s_cbranch_execz .LBB26_30
; %bb.29:
	v_lshlrev_b32_e32 v0, 3, v0
	v_add_u32_e32 v3, 0x814, v0
	ds_read2_b64 v[4:7], v0 offset1:129
	ds_read2_b32 v[8:9], v3 offset1:255
	v_add_u32_e32 v3, 0x1014, v0
	ds_read2_b32 v[10:11], v3 offset1:255
	s_waitcnt lgkmcnt(1)
	v_fma_f32 v3, -v9, v7, v5
	v_fma_f32 v5, -v8, v7, v6
	s_waitcnt lgkmcnt(0)
	v_fma_f32 v3, -v11, v4, v3
	ds_write_b32 v0, v3 offset:4
	v_fma_f32 v3, -v10, v4, v5
	ds_write_b32 v0, v3 offset:1032
.LBB26_30:
	s_or_b64 exec, exec, s[2:3]
	s_waitcnt lgkmcnt(0)
	s_barrier
	s_and_saveexec_b64 s[0:1], vcc
	s_cbranch_execz .LBB26_32
; %bb.31:
	v_add_u32_e32 v0, 4, v1
	ds_read2st64_b32 v[0:1], v0 offset1:4
	v_ashrrev_i32_e32 v3, 31, v2
	v_lshl_add_u64 v[4:5], v[2:3], 2, s[6:7]
	v_mad_u64_u32 v[2:3], s[0:1], s12, 3, v[2:3]
	v_mov_b32_e32 v3, 0
	v_lshl_add_u64 v[2:3], v[2:3], 2, s[6:7]
	s_waitcnt lgkmcnt(0)
	global_store_dword v[4:5], v1, off
	global_store_dword v[2:3], v0, off
.LBB26_32:
	s_endpgm
	.section	.rodata,"a",@progbits
	.p2align	6, 0x0
	.amdhsa_kernel _ZN9rocsparseL33gtsv_solve_spike_propagate_kernelILj256ELj4EfEEviiiPT1_PKS1_S4_S4_
		.amdhsa_group_segment_fixed_size 6160
		.amdhsa_private_segment_fixed_size 0
		.amdhsa_kernarg_size 304
		.amdhsa_user_sgpr_count 2
		.amdhsa_user_sgpr_dispatch_ptr 0
		.amdhsa_user_sgpr_queue_ptr 0
		.amdhsa_user_sgpr_kernarg_segment_ptr 1
		.amdhsa_user_sgpr_dispatch_id 0
		.amdhsa_user_sgpr_kernarg_preload_length 0
		.amdhsa_user_sgpr_kernarg_preload_offset 0
		.amdhsa_user_sgpr_private_segment_size 0
		.amdhsa_uses_dynamic_stack 0
		.amdhsa_enable_private_segment 0
		.amdhsa_system_sgpr_workgroup_id_x 1
		.amdhsa_system_sgpr_workgroup_id_y 1
		.amdhsa_system_sgpr_workgroup_id_z 0
		.amdhsa_system_sgpr_workgroup_info 0
		.amdhsa_system_vgpr_workitem_id 0
		.amdhsa_next_free_vgpr 13
		.amdhsa_next_free_sgpr 16
		.amdhsa_accum_offset 16
		.amdhsa_reserve_vcc 1
		.amdhsa_float_round_mode_32 0
		.amdhsa_float_round_mode_16_64 0
		.amdhsa_float_denorm_mode_32 3
		.amdhsa_float_denorm_mode_16_64 3
		.amdhsa_dx10_clamp 1
		.amdhsa_ieee_mode 1
		.amdhsa_fp16_overflow 0
		.amdhsa_tg_split 0
		.amdhsa_exception_fp_ieee_invalid_op 0
		.amdhsa_exception_fp_denorm_src 0
		.amdhsa_exception_fp_ieee_div_zero 0
		.amdhsa_exception_fp_ieee_overflow 0
		.amdhsa_exception_fp_ieee_underflow 0
		.amdhsa_exception_fp_ieee_inexact 0
		.amdhsa_exception_int_div_zero 0
	.end_amdhsa_kernel
	.section	.text._ZN9rocsparseL33gtsv_solve_spike_propagate_kernelILj256ELj4EfEEviiiPT1_PKS1_S4_S4_,"axG",@progbits,_ZN9rocsparseL33gtsv_solve_spike_propagate_kernelILj256ELj4EfEEviiiPT1_PKS1_S4_S4_,comdat
.Lfunc_end26:
	.size	_ZN9rocsparseL33gtsv_solve_spike_propagate_kernelILj256ELj4EfEEviiiPT1_PKS1_S4_S4_, .Lfunc_end26-_ZN9rocsparseL33gtsv_solve_spike_propagate_kernelILj256ELj4EfEEviiiPT1_PKS1_S4_S4_
                                        ; -- End function
	.set _ZN9rocsparseL33gtsv_solve_spike_propagate_kernelILj256ELj4EfEEviiiPT1_PKS1_S4_S4_.num_vgpr, 13
	.set _ZN9rocsparseL33gtsv_solve_spike_propagate_kernelILj256ELj4EfEEviiiPT1_PKS1_S4_S4_.num_agpr, 0
	.set _ZN9rocsparseL33gtsv_solve_spike_propagate_kernelILj256ELj4EfEEviiiPT1_PKS1_S4_S4_.numbered_sgpr, 16
	.set _ZN9rocsparseL33gtsv_solve_spike_propagate_kernelILj256ELj4EfEEviiiPT1_PKS1_S4_S4_.num_named_barrier, 0
	.set _ZN9rocsparseL33gtsv_solve_spike_propagate_kernelILj256ELj4EfEEviiiPT1_PKS1_S4_S4_.private_seg_size, 0
	.set _ZN9rocsparseL33gtsv_solve_spike_propagate_kernelILj256ELj4EfEEviiiPT1_PKS1_S4_S4_.uses_vcc, 1
	.set _ZN9rocsparseL33gtsv_solve_spike_propagate_kernelILj256ELj4EfEEviiiPT1_PKS1_S4_S4_.uses_flat_scratch, 0
	.set _ZN9rocsparseL33gtsv_solve_spike_propagate_kernelILj256ELj4EfEEviiiPT1_PKS1_S4_S4_.has_dyn_sized_stack, 0
	.set _ZN9rocsparseL33gtsv_solve_spike_propagate_kernelILj256ELj4EfEEviiiPT1_PKS1_S4_S4_.has_recursion, 0
	.set _ZN9rocsparseL33gtsv_solve_spike_propagate_kernelILj256ELj4EfEEviiiPT1_PKS1_S4_S4_.has_indirect_call, 0
	.section	.AMDGPU.csdata,"",@progbits
; Kernel info:
; codeLenInByte = 1844
; TotalNumSgprs: 22
; NumVgprs: 13
; NumAgprs: 0
; TotalNumVgprs: 13
; ScratchSize: 0
; MemoryBound: 0
; FloatMode: 240
; IeeeMode: 1
; LDSByteSize: 6160 bytes/workgroup (compile time only)
; SGPRBlocks: 2
; VGPRBlocks: 1
; NumSGPRsForWavesPerEU: 22
; NumVGPRsForWavesPerEU: 13
; AccumOffset: 16
; Occupancy: 8
; WaveLimiterHint : 0
; COMPUTE_PGM_RSRC2:SCRATCH_EN: 0
; COMPUTE_PGM_RSRC2:USER_SGPR: 2
; COMPUTE_PGM_RSRC2:TRAP_HANDLER: 0
; COMPUTE_PGM_RSRC2:TGID_X_EN: 1
; COMPUTE_PGM_RSRC2:TGID_Y_EN: 1
; COMPUTE_PGM_RSRC2:TGID_Z_EN: 0
; COMPUTE_PGM_RSRC2:TIDIG_COMP_CNT: 0
; COMPUTE_PGM_RSRC3_GFX90A:ACCUM_OFFSET: 3
; COMPUTE_PGM_RSRC3_GFX90A:TG_SPLIT: 0
	.section	.text._ZN9rocsparseL39gtsv_spike_backward_substitution_kernelILj256ELj4EfEEviiiPT1_PKS1_S4_,"axG",@progbits,_ZN9rocsparseL39gtsv_spike_backward_substitution_kernelILj256ELj4EfEEviiiPT1_PKS1_S4_,comdat
	.globl	_ZN9rocsparseL39gtsv_spike_backward_substitution_kernelILj256ELj4EfEEviiiPT1_PKS1_S4_ ; -- Begin function _ZN9rocsparseL39gtsv_spike_backward_substitution_kernelILj256ELj4EfEEviiiPT1_PKS1_S4_
	.p2align	8
	.type	_ZN9rocsparseL39gtsv_spike_backward_substitution_kernelILj256ELj4EfEEviiiPT1_PKS1_S4_,@function
_ZN9rocsparseL39gtsv_spike_backward_substitution_kernelILj256ELj4EfEEviiiPT1_PKS1_S4_: ; @_ZN9rocsparseL39gtsv_spike_backward_substitution_kernelILj256ELj4EfEEviiiPT1_PKS1_S4_
; %bb.0:
	s_load_dword s6, s[0:1], 0x0
	v_lshl_or_b32 v0, s2, 8, v0
	s_waitcnt lgkmcnt(0)
	s_lshr_b32 s12, s6, 2
	v_cmp_gt_i32_e32 vcc, s12, v0
	s_and_saveexec_b64 s[4:5], vcc
	s_cbranch_execz .LBB27_6
; %bb.1:
	s_load_dwordx2 s[8:9], s[0:1], 0x10
	v_cmp_lt_i32_e32 vcc, 0, v0
	v_mov_b32_e32 v2, 0
	s_mul_i32 s2, s6, s3
	s_and_saveexec_b64 s[4:5], vcc
	s_cbranch_execz .LBB27_3
; %bb.2:
	s_mul_i32 s7, s12, 3
	s_mul_i32 s3, s6, s3
	s_add_i32 s7, s7, s3
	v_add3_u32 v2, v0, s7, -1
	v_mov_b32_e32 v3, 0
	s_waitcnt lgkmcnt(0)
	v_lshl_add_u64 v[2:3], v[2:3], 2, s[8:9]
	global_load_dword v2, v[2:3], off
.LBB27_3:
	s_or_b64 exec, exec, s[4:5]
	v_add_u32_e32 v1, 4, v0
	v_cmp_le_u32_e32 vcc, s6, v1
	s_and_saveexec_b64 s[4:5], vcc
	s_xor_b64 s[4:5], exec, s[4:5]
	s_or_saveexec_b64 s[10:11], s[4:5]
	s_load_dwordx4 s[4:7], s[0:1], 0x18
	v_mov_b32_e32 v1, 0
	v_mov_b32_e32 v3, s2
	s_xor_b64 exec, exec, s[10:11]
	s_cbranch_execz .LBB27_5
; %bb.4:
	s_ashr_i32 s3, s2, 31
	v_ashrrev_i32_e32 v1, 31, v0
	v_lshl_add_u64 v[4:5], v[0:1], 0, s[2:3]
	s_waitcnt lgkmcnt(0)
	v_lshl_add_u64 v[4:5], v[4:5], 2, s[8:9]
	global_load_dword v1, v[4:5], off offset:4
	v_mov_b32_e32 v3, s2
.LBB27_5:
	s_or_b64 exec, exec, s[10:11]
	v_add_u32_e32 v4, s12, v0
	v_add_u32_e32 v6, v4, v3
	v_ashrrev_i32_e32 v5, 31, v4
	v_ashrrev_i32_e32 v7, 31, v6
	v_lshlrev_b64 v[8:9], 2, v[4:5]
	s_waitcnt lgkmcnt(0)
	v_lshl_add_u64 v[6:7], v[6:7], 2, s[8:9]
	v_lshl_add_u64 v[10:11], s[4:5], 0, v[8:9]
	global_load_dword v0, v[6:7], off
	global_load_dword v12, v[10:11], off
	v_lshl_add_u64 v[8:9], s[6:7], 0, v[8:9]
	global_load_dword v13, v[8:9], off
	v_add_u32_e32 v4, s12, v4
	v_add_u32_e32 v8, v4, v3
	v_ashrrev_i32_e32 v5, 31, v4
	v_ashrrev_i32_e32 v9, 31, v8
	v_lshlrev_b64 v[4:5], 2, v[4:5]
	v_lshl_add_u64 v[8:9], v[8:9], 2, s[8:9]
	v_lshl_add_u64 v[10:11], s[4:5], 0, v[4:5]
	global_load_dword v3, v[10:11], off
	v_lshl_add_u64 v[4:5], s[6:7], 0, v[4:5]
	global_load_dword v4, v[4:5], off
	s_waitcnt vmcnt(3)
	v_fma_f32 v0, -v2, v12, v0
	s_waitcnt vmcnt(2)
	v_fma_f32 v0, -v1, v13, v0
	global_store_dword v[6:7], v0, off
	global_load_dword v0, v[8:9], off
	s_waitcnt vmcnt(0)
	v_fma_f32 v0, -v2, v3, v0
	v_fma_f32 v0, -v1, v4, v0
	global_store_dword v[8:9], v0, off
.LBB27_6:
	s_endpgm
	.section	.rodata,"a",@progbits
	.p2align	6, 0x0
	.amdhsa_kernel _ZN9rocsparseL39gtsv_spike_backward_substitution_kernelILj256ELj4EfEEviiiPT1_PKS1_S4_
		.amdhsa_group_segment_fixed_size 0
		.amdhsa_private_segment_fixed_size 0
		.amdhsa_kernarg_size 40
		.amdhsa_user_sgpr_count 2
		.amdhsa_user_sgpr_dispatch_ptr 0
		.amdhsa_user_sgpr_queue_ptr 0
		.amdhsa_user_sgpr_kernarg_segment_ptr 1
		.amdhsa_user_sgpr_dispatch_id 0
		.amdhsa_user_sgpr_kernarg_preload_length 0
		.amdhsa_user_sgpr_kernarg_preload_offset 0
		.amdhsa_user_sgpr_private_segment_size 0
		.amdhsa_uses_dynamic_stack 0
		.amdhsa_enable_private_segment 0
		.amdhsa_system_sgpr_workgroup_id_x 1
		.amdhsa_system_sgpr_workgroup_id_y 1
		.amdhsa_system_sgpr_workgroup_id_z 0
		.amdhsa_system_sgpr_workgroup_info 0
		.amdhsa_system_vgpr_workitem_id 0
		.amdhsa_next_free_vgpr 14
		.amdhsa_next_free_sgpr 13
		.amdhsa_accum_offset 16
		.amdhsa_reserve_vcc 1
		.amdhsa_float_round_mode_32 0
		.amdhsa_float_round_mode_16_64 0
		.amdhsa_float_denorm_mode_32 3
		.amdhsa_float_denorm_mode_16_64 3
		.amdhsa_dx10_clamp 1
		.amdhsa_ieee_mode 1
		.amdhsa_fp16_overflow 0
		.amdhsa_tg_split 0
		.amdhsa_exception_fp_ieee_invalid_op 0
		.amdhsa_exception_fp_denorm_src 0
		.amdhsa_exception_fp_ieee_div_zero 0
		.amdhsa_exception_fp_ieee_overflow 0
		.amdhsa_exception_fp_ieee_underflow 0
		.amdhsa_exception_fp_ieee_inexact 0
		.amdhsa_exception_int_div_zero 0
	.end_amdhsa_kernel
	.section	.text._ZN9rocsparseL39gtsv_spike_backward_substitution_kernelILj256ELj4EfEEviiiPT1_PKS1_S4_,"axG",@progbits,_ZN9rocsparseL39gtsv_spike_backward_substitution_kernelILj256ELj4EfEEviiiPT1_PKS1_S4_,comdat
.Lfunc_end27:
	.size	_ZN9rocsparseL39gtsv_spike_backward_substitution_kernelILj256ELj4EfEEviiiPT1_PKS1_S4_, .Lfunc_end27-_ZN9rocsparseL39gtsv_spike_backward_substitution_kernelILj256ELj4EfEEviiiPT1_PKS1_S4_
                                        ; -- End function
	.set _ZN9rocsparseL39gtsv_spike_backward_substitution_kernelILj256ELj4EfEEviiiPT1_PKS1_S4_.num_vgpr, 14
	.set _ZN9rocsparseL39gtsv_spike_backward_substitution_kernelILj256ELj4EfEEviiiPT1_PKS1_S4_.num_agpr, 0
	.set _ZN9rocsparseL39gtsv_spike_backward_substitution_kernelILj256ELj4EfEEviiiPT1_PKS1_S4_.numbered_sgpr, 13
	.set _ZN9rocsparseL39gtsv_spike_backward_substitution_kernelILj256ELj4EfEEviiiPT1_PKS1_S4_.num_named_barrier, 0
	.set _ZN9rocsparseL39gtsv_spike_backward_substitution_kernelILj256ELj4EfEEviiiPT1_PKS1_S4_.private_seg_size, 0
	.set _ZN9rocsparseL39gtsv_spike_backward_substitution_kernelILj256ELj4EfEEviiiPT1_PKS1_S4_.uses_vcc, 1
	.set _ZN9rocsparseL39gtsv_spike_backward_substitution_kernelILj256ELj4EfEEviiiPT1_PKS1_S4_.uses_flat_scratch, 0
	.set _ZN9rocsparseL39gtsv_spike_backward_substitution_kernelILj256ELj4EfEEviiiPT1_PKS1_S4_.has_dyn_sized_stack, 0
	.set _ZN9rocsparseL39gtsv_spike_backward_substitution_kernelILj256ELj4EfEEviiiPT1_PKS1_S4_.has_recursion, 0
	.set _ZN9rocsparseL39gtsv_spike_backward_substitution_kernelILj256ELj4EfEEviiiPT1_PKS1_S4_.has_indirect_call, 0
	.section	.AMDGPU.csdata,"",@progbits
; Kernel info:
; codeLenInByte = 412
; TotalNumSgprs: 19
; NumVgprs: 14
; NumAgprs: 0
; TotalNumVgprs: 14
; ScratchSize: 0
; MemoryBound: 0
; FloatMode: 240
; IeeeMode: 1
; LDSByteSize: 0 bytes/workgroup (compile time only)
; SGPRBlocks: 2
; VGPRBlocks: 1
; NumSGPRsForWavesPerEU: 19
; NumVGPRsForWavesPerEU: 14
; AccumOffset: 16
; Occupancy: 8
; WaveLimiterHint : 0
; COMPUTE_PGM_RSRC2:SCRATCH_EN: 0
; COMPUTE_PGM_RSRC2:USER_SGPR: 2
; COMPUTE_PGM_RSRC2:TRAP_HANDLER: 0
; COMPUTE_PGM_RSRC2:TGID_X_EN: 1
; COMPUTE_PGM_RSRC2:TGID_Y_EN: 1
; COMPUTE_PGM_RSRC2:TGID_Z_EN: 0
; COMPUTE_PGM_RSRC2:TIDIG_COMP_CNT: 0
; COMPUTE_PGM_RSRC3_GFX90A:ACCUM_OFFSET: 3
; COMPUTE_PGM_RSRC3_GFX90A:TG_SPLIT: 0
	.section	.text._ZN9rocsparseL32gtsv_transpose_back_array_kernelILj256ELj4EfEEviiiPKT1_PS1_,"axG",@progbits,_ZN9rocsparseL32gtsv_transpose_back_array_kernelILj256ELj4EfEEviiiPKT1_PS1_,comdat
	.globl	_ZN9rocsparseL32gtsv_transpose_back_array_kernelILj256ELj4EfEEviiiPKT1_PS1_ ; -- Begin function _ZN9rocsparseL32gtsv_transpose_back_array_kernelILj256ELj4EfEEviiiPKT1_PS1_
	.p2align	8
	.type	_ZN9rocsparseL32gtsv_transpose_back_array_kernelILj256ELj4EfEEviiiPKT1_PS1_,@function
_ZN9rocsparseL32gtsv_transpose_back_array_kernelILj256ELj4EfEEviiiPKT1_PS1_: ; @_ZN9rocsparseL32gtsv_transpose_back_array_kernelILj256ELj4EfEEviiiPKT1_PS1_
; %bb.0:
	s_load_dwordx4 s[4:7], s[0:1], 0x0
	v_lshl_or_b32 v0, s2, 8, v0
	v_lshlrev_b32_e32 v2, 2, v0
	s_waitcnt lgkmcnt(0)
	v_cvt_f32_u32_e32 v1, s5
	s_sub_i32 s2, 0, s5
	v_rcp_iflag_f32_e32 v1, v1
	s_nop 0
	v_mul_f32_e32 v1, 0x4f7ffffe, v1
	v_cvt_u32_f32_e32 v1, v1
	v_mul_lo_u32 v3, s2, v1
	v_mul_hi_u32 v3, v1, v3
	v_add_u32_e32 v1, v1, v3
	v_mul_hi_u32 v1, v2, v1
	v_mul_lo_u32 v3, v1, s5
	v_sub_u32_e32 v3, v2, v3
	v_add_u32_e32 v4, 1, v1
	v_cmp_le_u32_e32 vcc, s5, v3
	s_nop 1
	v_cndmask_b32_e32 v1, v1, v4, vcc
	v_subrev_u32_e32 v4, s5, v3
	v_cndmask_b32_e32 v3, v3, v4, vcc
	v_add_u32_e32 v4, 1, v1
	v_cmp_le_u32_e32 vcc, s5, v3
	s_nop 1
	v_cndmask_b32_e32 v1, v1, v4, vcc
	v_mul_lo_u32 v3, v1, s5
	v_sub_u32_e32 v2, v2, v3
	v_add_u32_e32 v1, v1, v2
	v_cmp_gt_i32_e32 vcc, s4, v1
	s_and_saveexec_b64 s[8:9], vcc
	s_cbranch_execz .LBB28_2
; %bb.1:
	s_load_dwordx4 s[8:11], s[0:1], 0x10
	s_mul_i32 s0, s5, s3
	v_add_u32_e32 v2, s0, v0
	v_ashrrev_i32_e32 v3, 31, v2
	s_mul_i32 s0, s6, s3
	s_waitcnt lgkmcnt(0)
	v_lshl_add_u64 v[2:3], v[2:3], 2, s[8:9]
	global_load_dword v2, v[2:3], off
	v_add_u32_e32 v0, s0, v1
	v_ashrrev_i32_e32 v1, 31, v0
	v_lshl_add_u64 v[0:1], v[0:1], 2, s[10:11]
	s_waitcnt vmcnt(0)
	global_store_dword v[0:1], v2, off
.LBB28_2:
	s_endpgm
	.section	.rodata,"a",@progbits
	.p2align	6, 0x0
	.amdhsa_kernel _ZN9rocsparseL32gtsv_transpose_back_array_kernelILj256ELj4EfEEviiiPKT1_PS1_
		.amdhsa_group_segment_fixed_size 0
		.amdhsa_private_segment_fixed_size 0
		.amdhsa_kernarg_size 32
		.amdhsa_user_sgpr_count 2
		.amdhsa_user_sgpr_dispatch_ptr 0
		.amdhsa_user_sgpr_queue_ptr 0
		.amdhsa_user_sgpr_kernarg_segment_ptr 1
		.amdhsa_user_sgpr_dispatch_id 0
		.amdhsa_user_sgpr_kernarg_preload_length 0
		.amdhsa_user_sgpr_kernarg_preload_offset 0
		.amdhsa_user_sgpr_private_segment_size 0
		.amdhsa_uses_dynamic_stack 0
		.amdhsa_enable_private_segment 0
		.amdhsa_system_sgpr_workgroup_id_x 1
		.amdhsa_system_sgpr_workgroup_id_y 1
		.amdhsa_system_sgpr_workgroup_id_z 0
		.amdhsa_system_sgpr_workgroup_info 0
		.amdhsa_system_vgpr_workitem_id 0
		.amdhsa_next_free_vgpr 5
		.amdhsa_next_free_sgpr 12
		.amdhsa_accum_offset 8
		.amdhsa_reserve_vcc 1
		.amdhsa_float_round_mode_32 0
		.amdhsa_float_round_mode_16_64 0
		.amdhsa_float_denorm_mode_32 3
		.amdhsa_float_denorm_mode_16_64 3
		.amdhsa_dx10_clamp 1
		.amdhsa_ieee_mode 1
		.amdhsa_fp16_overflow 0
		.amdhsa_tg_split 0
		.amdhsa_exception_fp_ieee_invalid_op 0
		.amdhsa_exception_fp_denorm_src 0
		.amdhsa_exception_fp_ieee_div_zero 0
		.amdhsa_exception_fp_ieee_overflow 0
		.amdhsa_exception_fp_ieee_underflow 0
		.amdhsa_exception_fp_ieee_inexact 0
		.amdhsa_exception_int_div_zero 0
	.end_amdhsa_kernel
	.section	.text._ZN9rocsparseL32gtsv_transpose_back_array_kernelILj256ELj4EfEEviiiPKT1_PS1_,"axG",@progbits,_ZN9rocsparseL32gtsv_transpose_back_array_kernelILj256ELj4EfEEviiiPKT1_PS1_,comdat
.Lfunc_end28:
	.size	_ZN9rocsparseL32gtsv_transpose_back_array_kernelILj256ELj4EfEEviiiPKT1_PS1_, .Lfunc_end28-_ZN9rocsparseL32gtsv_transpose_back_array_kernelILj256ELj4EfEEviiiPKT1_PS1_
                                        ; -- End function
	.set _ZN9rocsparseL32gtsv_transpose_back_array_kernelILj256ELj4EfEEviiiPKT1_PS1_.num_vgpr, 5
	.set _ZN9rocsparseL32gtsv_transpose_back_array_kernelILj256ELj4EfEEviiiPKT1_PS1_.num_agpr, 0
	.set _ZN9rocsparseL32gtsv_transpose_back_array_kernelILj256ELj4EfEEviiiPKT1_PS1_.numbered_sgpr, 12
	.set _ZN9rocsparseL32gtsv_transpose_back_array_kernelILj256ELj4EfEEviiiPKT1_PS1_.num_named_barrier, 0
	.set _ZN9rocsparseL32gtsv_transpose_back_array_kernelILj256ELj4EfEEviiiPKT1_PS1_.private_seg_size, 0
	.set _ZN9rocsparseL32gtsv_transpose_back_array_kernelILj256ELj4EfEEviiiPKT1_PS1_.uses_vcc, 1
	.set _ZN9rocsparseL32gtsv_transpose_back_array_kernelILj256ELj4EfEEviiiPKT1_PS1_.uses_flat_scratch, 0
	.set _ZN9rocsparseL32gtsv_transpose_back_array_kernelILj256ELj4EfEEviiiPKT1_PS1_.has_dyn_sized_stack, 0
	.set _ZN9rocsparseL32gtsv_transpose_back_array_kernelILj256ELj4EfEEviiiPKT1_PS1_.has_recursion, 0
	.set _ZN9rocsparseL32gtsv_transpose_back_array_kernelILj256ELj4EfEEviiiPKT1_PS1_.has_indirect_call, 0
	.section	.AMDGPU.csdata,"",@progbits
; Kernel info:
; codeLenInByte = 236
; TotalNumSgprs: 18
; NumVgprs: 5
; NumAgprs: 0
; TotalNumVgprs: 5
; ScratchSize: 0
; MemoryBound: 0
; FloatMode: 240
; IeeeMode: 1
; LDSByteSize: 0 bytes/workgroup (compile time only)
; SGPRBlocks: 2
; VGPRBlocks: 0
; NumSGPRsForWavesPerEU: 18
; NumVGPRsForWavesPerEU: 5
; AccumOffset: 8
; Occupancy: 8
; WaveLimiterHint : 0
; COMPUTE_PGM_RSRC2:SCRATCH_EN: 0
; COMPUTE_PGM_RSRC2:USER_SGPR: 2
; COMPUTE_PGM_RSRC2:TRAP_HANDLER: 0
; COMPUTE_PGM_RSRC2:TGID_X_EN: 1
; COMPUTE_PGM_RSRC2:TGID_Y_EN: 1
; COMPUTE_PGM_RSRC2:TGID_Z_EN: 0
; COMPUTE_PGM_RSRC2:TIDIG_COMP_CNT: 0
; COMPUTE_PGM_RSRC3_GFX90A:ACCUM_OFFSET: 1
; COMPUTE_PGM_RSRC3_GFX90A:TG_SPLIT: 0
	.section	.text._ZN9rocsparseL42gtsv_transpose_and_pad_array_shared_kernelILj256ELj8EfEEviiiPKT1_PS1_S1_,"axG",@progbits,_ZN9rocsparseL42gtsv_transpose_and_pad_array_shared_kernelILj256ELj8EfEEviiiPKT1_PS1_S1_,comdat
	.globl	_ZN9rocsparseL42gtsv_transpose_and_pad_array_shared_kernelILj256ELj8EfEEviiiPKT1_PS1_S1_ ; -- Begin function _ZN9rocsparseL42gtsv_transpose_and_pad_array_shared_kernelILj256ELj8EfEEviiiPKT1_PS1_S1_
	.p2align	8
	.type	_ZN9rocsparseL42gtsv_transpose_and_pad_array_shared_kernelILj256ELj8EfEEviiiPKT1_PS1_S1_,@function
_ZN9rocsparseL42gtsv_transpose_and_pad_array_shared_kernelILj256ELj8EfEEviiiPKT1_PS1_S1_: ; @_ZN9rocsparseL42gtsv_transpose_and_pad_array_shared_kernelILj256ELj8EfEEviiiPKT1_PS1_S1_
; %bb.0:
	s_load_dwordx4 s[4:7], s[0:1], 0x0
	s_waitcnt lgkmcnt(0)
	s_load_dword s7, s[0:1], 0x20
	v_lshl_or_b32 v1, s2, 8, v0
	v_cmp_gt_i32_e32 vcc, s4, v1
	s_waitcnt lgkmcnt(0)
	v_mov_b32_e32 v4, s7
	s_and_saveexec_b64 s[8:9], vcc
	s_cbranch_execz .LBB29_2
; %bb.1:
	s_load_dwordx2 s[10:11], s[0:1], 0x10
	s_mul_i32 s4, s6, s3
	v_add_u32_e32 v2, s4, v1
	v_ashrrev_i32_e32 v3, 31, v2
	s_waitcnt lgkmcnt(0)
	v_lshl_add_u64 v[2:3], v[2:3], 2, s[10:11]
	global_load_dword v4, v[2:3], off
.LBB29_2:
	s_or_b64 exec, exec, s[8:9]
	v_lshrrev_b32_e32 v2, 5, v0
	v_and_b32_e32 v3, 31, v0
	v_lshlrev_b32_e32 v0, 2, v0
	s_waitcnt vmcnt(0)
	ds_write_b32 v0, v4
	s_lshr_b32 s4, s5, 3
	v_lshl_or_b32 v0, s2, 5, v3
	v_mad_u64_u32 v[0:1], s[6:7], s4, v2, v[0:1]
	v_cmp_gt_i32_e32 vcc, s5, v0
	s_waitcnt lgkmcnt(0)
	s_barrier
	s_and_saveexec_b64 s[6:7], vcc
	s_cbranch_execz .LBB29_4
; %bb.3:
	v_lshlrev_b32_e32 v1, 2, v2
	s_load_dwordx2 s[0:1], s[0:1], 0x18
	v_lshl_or_b32 v1, v3, 5, v1
	ds_read_b32 v2, v1
	s_mul_i32 s2, s5, s3
	v_add_u32_e32 v0, s2, v0
	v_ashrrev_i32_e32 v1, 31, v0
	s_waitcnt lgkmcnt(0)
	v_lshl_add_u64 v[0:1], v[0:1], 2, s[0:1]
	global_store_dword v[0:1], v2, off
.LBB29_4:
	s_endpgm
	.section	.rodata,"a",@progbits
	.p2align	6, 0x0
	.amdhsa_kernel _ZN9rocsparseL42gtsv_transpose_and_pad_array_shared_kernelILj256ELj8EfEEviiiPKT1_PS1_S1_
		.amdhsa_group_segment_fixed_size 1024
		.amdhsa_private_segment_fixed_size 0
		.amdhsa_kernarg_size 36
		.amdhsa_user_sgpr_count 2
		.amdhsa_user_sgpr_dispatch_ptr 0
		.amdhsa_user_sgpr_queue_ptr 0
		.amdhsa_user_sgpr_kernarg_segment_ptr 1
		.amdhsa_user_sgpr_dispatch_id 0
		.amdhsa_user_sgpr_kernarg_preload_length 0
		.amdhsa_user_sgpr_kernarg_preload_offset 0
		.amdhsa_user_sgpr_private_segment_size 0
		.amdhsa_uses_dynamic_stack 0
		.amdhsa_enable_private_segment 0
		.amdhsa_system_sgpr_workgroup_id_x 1
		.amdhsa_system_sgpr_workgroup_id_y 1
		.amdhsa_system_sgpr_workgroup_id_z 0
		.amdhsa_system_sgpr_workgroup_info 0
		.amdhsa_system_vgpr_workitem_id 0
		.amdhsa_next_free_vgpr 5
		.amdhsa_next_free_sgpr 12
		.amdhsa_accum_offset 8
		.amdhsa_reserve_vcc 1
		.amdhsa_float_round_mode_32 0
		.amdhsa_float_round_mode_16_64 0
		.amdhsa_float_denorm_mode_32 3
		.amdhsa_float_denorm_mode_16_64 3
		.amdhsa_dx10_clamp 1
		.amdhsa_ieee_mode 1
		.amdhsa_fp16_overflow 0
		.amdhsa_tg_split 0
		.amdhsa_exception_fp_ieee_invalid_op 0
		.amdhsa_exception_fp_denorm_src 0
		.amdhsa_exception_fp_ieee_div_zero 0
		.amdhsa_exception_fp_ieee_overflow 0
		.amdhsa_exception_fp_ieee_underflow 0
		.amdhsa_exception_fp_ieee_inexact 0
		.amdhsa_exception_int_div_zero 0
	.end_amdhsa_kernel
	.section	.text._ZN9rocsparseL42gtsv_transpose_and_pad_array_shared_kernelILj256ELj8EfEEviiiPKT1_PS1_S1_,"axG",@progbits,_ZN9rocsparseL42gtsv_transpose_and_pad_array_shared_kernelILj256ELj8EfEEviiiPKT1_PS1_S1_,comdat
.Lfunc_end29:
	.size	_ZN9rocsparseL42gtsv_transpose_and_pad_array_shared_kernelILj256ELj8EfEEviiiPKT1_PS1_S1_, .Lfunc_end29-_ZN9rocsparseL42gtsv_transpose_and_pad_array_shared_kernelILj256ELj8EfEEviiiPKT1_PS1_S1_
                                        ; -- End function
	.set _ZN9rocsparseL42gtsv_transpose_and_pad_array_shared_kernelILj256ELj8EfEEviiiPKT1_PS1_S1_.num_vgpr, 5
	.set _ZN9rocsparseL42gtsv_transpose_and_pad_array_shared_kernelILj256ELj8EfEEviiiPKT1_PS1_S1_.num_agpr, 0
	.set _ZN9rocsparseL42gtsv_transpose_and_pad_array_shared_kernelILj256ELj8EfEEviiiPKT1_PS1_S1_.numbered_sgpr, 12
	.set _ZN9rocsparseL42gtsv_transpose_and_pad_array_shared_kernelILj256ELj8EfEEviiiPKT1_PS1_S1_.num_named_barrier, 0
	.set _ZN9rocsparseL42gtsv_transpose_and_pad_array_shared_kernelILj256ELj8EfEEviiiPKT1_PS1_S1_.private_seg_size, 0
	.set _ZN9rocsparseL42gtsv_transpose_and_pad_array_shared_kernelILj256ELj8EfEEviiiPKT1_PS1_S1_.uses_vcc, 1
	.set _ZN9rocsparseL42gtsv_transpose_and_pad_array_shared_kernelILj256ELj8EfEEviiiPKT1_PS1_S1_.uses_flat_scratch, 0
	.set _ZN9rocsparseL42gtsv_transpose_and_pad_array_shared_kernelILj256ELj8EfEEviiiPKT1_PS1_S1_.has_dyn_sized_stack, 0
	.set _ZN9rocsparseL42gtsv_transpose_and_pad_array_shared_kernelILj256ELj8EfEEviiiPKT1_PS1_S1_.has_recursion, 0
	.set _ZN9rocsparseL42gtsv_transpose_and_pad_array_shared_kernelILj256ELj8EfEEviiiPKT1_PS1_S1_.has_indirect_call, 0
	.section	.AMDGPU.csdata,"",@progbits
; Kernel info:
; codeLenInByte = 220
; TotalNumSgprs: 18
; NumVgprs: 5
; NumAgprs: 0
; TotalNumVgprs: 5
; ScratchSize: 0
; MemoryBound: 0
; FloatMode: 240
; IeeeMode: 1
; LDSByteSize: 1024 bytes/workgroup (compile time only)
; SGPRBlocks: 2
; VGPRBlocks: 0
; NumSGPRsForWavesPerEU: 18
; NumVGPRsForWavesPerEU: 5
; AccumOffset: 8
; Occupancy: 8
; WaveLimiterHint : 0
; COMPUTE_PGM_RSRC2:SCRATCH_EN: 0
; COMPUTE_PGM_RSRC2:USER_SGPR: 2
; COMPUTE_PGM_RSRC2:TRAP_HANDLER: 0
; COMPUTE_PGM_RSRC2:TGID_X_EN: 1
; COMPUTE_PGM_RSRC2:TGID_Y_EN: 1
; COMPUTE_PGM_RSRC2:TGID_Z_EN: 0
; COMPUTE_PGM_RSRC2:TIDIG_COMP_CNT: 0
; COMPUTE_PGM_RSRC3_GFX90A:ACCUM_OFFSET: 1
; COMPUTE_PGM_RSRC3_GFX90A:TG_SPLIT: 0
	.section	.text._ZN9rocsparseL18gtsv_LBM_wv_kernelILj256ELj8EfEEviiiPKT1_S3_S3_PS1_S4_S4_Pi,"axG",@progbits,_ZN9rocsparseL18gtsv_LBM_wv_kernelILj256ELj8EfEEviiiPKT1_S3_S3_PS1_S4_S4_Pi,comdat
	.globl	_ZN9rocsparseL18gtsv_LBM_wv_kernelILj256ELj8EfEEviiiPKT1_S3_S3_PS1_S4_S4_Pi ; -- Begin function _ZN9rocsparseL18gtsv_LBM_wv_kernelILj256ELj8EfEEviiiPKT1_S3_S3_PS1_S4_S4_Pi
	.p2align	8
	.type	_ZN9rocsparseL18gtsv_LBM_wv_kernelILj256ELj8EfEEviiiPKT1_S3_S3_PS1_S4_S4_Pi,@function
_ZN9rocsparseL18gtsv_LBM_wv_kernelILj256ELj8EfEEviiiPKT1_S3_S3_PS1_S4_S4_Pi: ; @_ZN9rocsparseL18gtsv_LBM_wv_kernelILj256ELj8EfEEviiiPKT1_S3_S3_PS1_S4_S4_Pi
; %bb.0:
	s_load_dword s27, s[0:1], 0x0
	v_lshl_or_b32 v0, s2, 8, v0
	s_waitcnt lgkmcnt(0)
	s_lshr_b32 s26, s27, 3
	v_cmp_gt_i32_e32 vcc, s26, v0
	s_and_saveexec_b64 s[2:3], vcc
	s_cbranch_execz .LBB30_30
; %bb.1:
	s_load_dwordx2 s[16:17], s[0:1], 0x10
	s_load_dwordx8 s[8:15], s[0:1], 0x20
	v_ashrrev_i32_e32 v1, 31, v0
	v_lshlrev_b64 v[2:3], 2, v[0:1]
	s_mul_i32 s28, s26, 7
	s_waitcnt lgkmcnt(0)
	v_lshl_add_u64 v[4:5], s[16:17], 0, v[2:3]
	global_load_dword v10, v[4:5], off
	v_add_u32_e32 v4, s28, v0
	v_mov_b32_e32 v5, 0
	v_lshlrev_b64 v[6:7], 2, v[4:5]
	v_lshl_add_u64 v[8:9], s[8:9], 0, v[6:7]
	global_load_dword v4, v[8:9], off
	s_load_dwordx2 s[6:7], s[0:1], 0x40
	v_lshl_add_u64 v[2:3], s[10:11], 0, v[2:3]
	s_cmp_lt_i32 s27, 1
	v_add_u32_e32 v13, s26, v0
	v_lshl_add_u64 v[6:7], s[12:13], 0, v[6:7]
	s_waitcnt vmcnt(1)
	global_store_dword v[2:3], v10, off
	s_waitcnt vmcnt(1)
	global_store_dword v[6:7], v4, off
	v_mov_b32_e32 v4, v5
	s_cbranch_scc1 .LBB30_23
; %bb.2:
	s_load_dwordx2 s[18:19], s[0:1], 0x18
	s_mov_b32 s22, 0x372fe950
	s_mul_i32 s29, s26, 6
	s_lshl_b32 s30, s26, 1
	s_mov_b64 s[20:21], 0
	s_waitcnt lgkmcnt(0)
	v_lshl_add_u64 v[4:5], v[0:1], 2, s[18:19]
	global_load_dword v6, v[4:5], off
	v_add_u32_e32 v1, s26, v13
	v_mov_b32_e32 v4, 0
	s_mov_b32 s23, 0x3fe3c6ef
	v_mov_b32_e32 v24, 2
	v_mov_b32_e32 v25, 1
	s_branch .LBB30_5
.LBB30_3:                               ;   in Loop: Header=BB30_5 Depth=1
	s_or_b64 exec, exec, s[4:5]
	v_fma_f32 v6, -v6, v27, v8
	v_mov_b32_e32 v5, s26
.LBB30_4:                               ;   in Loop: Header=BB30_5 Depth=1
	s_or_b64 exec, exec, s[2:3]
	v_add_u32_e32 v4, v5, v4
	v_cmp_le_i32_e32 vcc, s27, v4
	s_or_b64 s[20:21], vcc, s[20:21]
	s_andn2_b64 exec, exec, s[20:21]
	s_cbranch_execz .LBB30_22
.LBB30_5:                               ; =>This Inner Loop Header: Depth=1
	v_add_u32_e32 v10, v4, v0
	v_ashrrev_i32_e32 v11, 31, v10
	v_lshl_add_u64 v[8:9], v[10:11], 2, s[8:9]
	global_load_dword v9, v[8:9], off
	v_cmp_gt_u32_e64 s[0:1], s28, v4
	v_mov_b32_e32 v7, 0
	s_and_saveexec_b64 s[2:3], s[0:1]
	s_cbranch_execz .LBB30_7
; %bb.6:                                ;   in Loop: Header=BB30_5 Depth=1
	v_add_u32_e32 v14, v13, v4
	v_ashrrev_i32_e32 v15, 31, v14
	v_lshl_add_u64 v[14:15], v[14:15], 2, s[16:17]
	global_load_dword v7, v[14:15], off
.LBB30_7:                               ;   in Loop: Header=BB30_5 Depth=1
	s_or_b64 exec, exec, s[2:3]
	v_mov_b32_e32 v26, 0
	v_mov_b32_e32 v8, 0
	s_and_saveexec_b64 s[2:3], s[0:1]
	s_cbranch_execz .LBB30_9
; %bb.8:                                ;   in Loop: Header=BB30_5 Depth=1
	v_add_u32_e32 v14, v13, v4
	v_ashrrev_i32_e32 v15, 31, v14
	v_lshl_add_u64 v[14:15], v[14:15], 2, s[18:19]
	global_load_dword v8, v[14:15], off
.LBB30_9:                               ;   in Loop: Header=BB30_5 Depth=1
	s_or_b64 exec, exec, s[2:3]
	s_and_saveexec_b64 s[2:3], s[0:1]
	s_cbranch_execz .LBB30_11
; %bb.10:                               ;   in Loop: Header=BB30_5 Depth=1
	v_add_u32_e32 v14, v13, v4
	v_ashrrev_i32_e32 v15, 31, v14
	v_lshl_add_u64 v[14:15], v[14:15], 2, s[8:9]
	global_load_dword v26, v[14:15], off
.LBB30_11:                              ;   in Loop: Header=BB30_5 Depth=1
	s_or_b64 exec, exec, s[2:3]
	v_cmp_gt_u32_e64 s[2:3], s29, v4
	v_mov_b32_e32 v12, 0
	s_and_saveexec_b64 s[4:5], s[2:3]
	s_cbranch_execz .LBB30_13
; %bb.12:                               ;   in Loop: Header=BB30_5 Depth=1
	v_add_u32_e32 v14, v1, v4
	v_ashrrev_i32_e32 v15, 31, v14
	v_lshl_add_u64 v[14:15], v[14:15], 2, s[16:17]
	global_load_dword v12, v[14:15], off
.LBB30_13:                              ;   in Loop: Header=BB30_5 Depth=1
	s_or_b64 exec, exec, s[4:5]
	s_waitcnt vmcnt(0)
	v_cmp_gt_f32_e32 vcc, 0, v7
	v_mul_f32_e32 v27, v9, v7
	v_cmp_ne_u32_e64 s[4:5], s28, v4
	v_cndmask_b32_e64 v5, v7, -v7, vcc
	v_cmp_gt_f32_e32 vcc, 0, v12
	s_nop 1
	v_cndmask_b32_e64 v14, v12, -v12, vcc
	v_cmp_lt_f32_e32 vcc, v5, v14
	s_nop 1
	v_cndmask_b32_e32 v5, v5, v14, vcc
	v_cmp_gt_f32_e32 vcc, 0, v8
	s_nop 1
	v_cndmask_b32_e64 v14, v8, -v8, vcc
	v_cmp_lt_f32_e32 vcc, v14, v5
	s_nop 1
	v_cndmask_b32_e32 v5, v14, v5, vcc
	;; [unrolled: 6-line block ×4, first 2 shown]
	v_cmp_gt_f32_e32 vcc, 0, v6
	v_cvt_f64_f32_e32 v[14:15], v5
	s_nop 0
	v_cndmask_b32_e64 v5, v6, -v6, vcc
	v_cmp_gt_f32_e32 vcc, 0, v27
	v_cvt_f64_f32_e32 v[16:17], v5
	v_mul_f64 v[14:15], v[16:17], v[14:15]
	v_cndmask_b32_e64 v5, v27, -v27, vcc
	v_cvt_f64_f32_e32 v[16:17], v5
	v_mul_f64 v[16:17], v[16:17], s[22:23]
	v_cmp_nge_f64_e32 vcc, v[14:15], v[16:17]
	s_and_b64 s[4:5], s[4:5], vcc
	s_and_saveexec_b64 s[24:25], s[4:5]
	s_xor_b64 s[4:5], exec, s[24:25]
	s_cbranch_execz .LBB30_19
; %bb.14:                               ;   in Loop: Header=BB30_5 Depth=1
	v_add_u32_e32 v16, v13, v4
	v_ashrrev_i32_e32 v17, 31, v16
	v_ashrrev_i32_e32 v5, 31, v4
	v_lshlrev_b64 v[16:17], 2, v[16:17]
	v_lshl_add_u64 v[28:29], v[4:5], 2, v[2:3]
	v_lshl_add_u64 v[20:21], s[10:11], 0, v[16:17]
	v_lshlrev_b64 v[10:11], 2, v[10:11]
	global_load_dword v14, v[28:29], off
	global_load_dword v15, v[20:21], off
	v_lshl_add_u64 v[30:31], s[12:13], 0, v[10:11]
	v_lshl_add_u64 v[18:19], s[12:13], 0, v[16:17]
	global_load_dword v22, v[30:31], off
	global_load_dword v23, v[18:19], off
	v_fma_f32 v5, v6, v8, -v27
	v_div_scale_f32 v36, s[24:25], v5, v5, 1.0
	v_rcp_f32_e32 v37, v36
	v_lshl_add_u64 v[32:33], s[14:15], 0, v[10:11]
	v_lshl_add_u64 v[34:35], s[6:7], 0, v[10:11]
	v_div_scale_f32 v38, vcc, 1.0, v5, 1.0
	v_fma_f32 v10, -v36, v37, 1.0
	v_fmac_f32_e32 v37, v10, v37
	v_mul_f32_e32 v10, v38, v37
	v_fma_f32 v11, -v36, v10, v38
	v_fmac_f32_e32 v10, v11, v37
	v_fma_f32 v11, -v36, v10, v38
	v_div_fmas_f32 v10, v11, v37, v10
	v_mul_f32_e64 v27, v26, -v9
	v_div_fixup_f32 v10, v10, v5, 1.0
	v_mul_f32_e32 v5, v10, v27
	global_store_dword v[32:33], v5, off
	s_waitcnt vmcnt(3)
	v_pk_mul_f32 v[32:33], v[8:9], v[14:15]
	s_nop 0
	v_sub_f32_e32 v5, v32, v33
	v_mul_f32_e32 v5, v10, v5
	s_waitcnt vmcnt(1)
	v_pk_mul_f32 v[8:9], v[8:9], v[22:23]
	s_nop 0
	v_sub_f32_e32 v8, v8, v9
	v_mul_f32_e32 v8, v10, v8
	global_store_dword v[28:29], v5, off
	global_store_dword v[30:31], v8, off
	;; [unrolled: 1-line block ×3, first 2 shown]
	s_and_saveexec_b64 s[24:25], s[0:1]
	s_cbranch_execz .LBB30_16
; %bb.15:                               ;   in Loop: Header=BB30_5 Depth=1
	v_mov_b32_e32 v8, v15
	v_mov_b32_e32 v9, v14
	v_pk_mul_f32 v[8:9], v[6:7], v[8:9]
	s_nop 0
	v_sub_f32_e32 v5, v8, v9
	v_mov_b32_e32 v8, v23
	v_mov_b32_e32 v9, v22
	v_mul_f32_e32 v5, v10, v5
	v_pk_mul_f32 v[8:9], v[6:7], v[8:9]
	global_store_dword v[20:21], v5, off
	v_sub_f32_e32 v5, v8, v9
	v_mul_f32_e32 v5, v10, v5
	global_store_dword v[18:19], v5, off
	v_mul_f32_e32 v5, v6, v26
	v_mul_f32_e32 v5, v10, v5
	v_lshl_add_u64 v[8:9], s[14:15], 0, v[16:17]
	global_store_dword v[8:9], v5, off
	v_lshl_add_u64 v[8:9], s[6:7], 0, v[16:17]
	global_store_dword v[8:9], v24, off
.LBB30_16:                              ;   in Loop: Header=BB30_5 Depth=1
	s_or_b64 exec, exec, s[24:25]
	v_mov_b32_e32 v5, 0
	s_and_saveexec_b64 s[24:25], s[2:3]
	s_cbranch_execz .LBB30_18
; %bb.17:                               ;   in Loop: Header=BB30_5 Depth=1
	v_add_u32_e32 v8, v1, v4
	v_ashrrev_i32_e32 v9, 31, v8
	v_lshlrev_b64 v[8:9], 2, v[8:9]
	v_lshl_add_u64 v[16:17], s[10:11], 0, v[8:9]
	v_lshl_add_u64 v[8:9], s[18:19], 0, v[8:9]
	global_load_dword v11, v[8:9], off
	global_load_dword v5, v[16:17], off
	v_xor_b32_e32 v8, 0x80000000, v7
	v_mov_b32_e32 v9, v6
	v_pk_mul_f32 v[6:7], v[12:13], v[8:9] op_sel_hi:[0,1]
	v_mul_f32_e32 v12, v26, v7
	s_waitcnt vmcnt(1)
	v_pk_mul_f32 v[8:9], v[6:7], v[10:11] op_sel_hi:[1,0] neg_lo:[0,1]
	s_nop 0
	v_pk_mul_f32 v[6:7], v[8:9], v[14:15]
	s_nop 0
	v_sub_f32_e32 v6, v6, v7
	s_waitcnt vmcnt(0)
	v_add_f32_e32 v5, v6, v5
	global_store_dword v[16:17], v5, off
	v_fma_f32 v5, -v10, v12, v11
.LBB30_18:                              ;   in Loop: Header=BB30_5 Depth=1
	s_or_b64 exec, exec, s[24:25]
	v_mov_b32_e32 v6, v5
                                        ; implicit-def: $vgpr27
                                        ; implicit-def: $vgpr8
                                        ; implicit-def: $vgpr10_vgpr11
.LBB30_19:                              ;   in Loop: Header=BB30_5 Depth=1
	s_or_saveexec_b64 s[2:3], s[4:5]
	v_mov_b32_e32 v5, s30
	s_xor_b64 exec, exec, s[2:3]
	s_cbranch_execz .LBB30_4
; %bb.20:                               ;   in Loop: Header=BB30_5 Depth=1
	v_ashrrev_i32_e32 v5, 31, v4
	v_lshl_add_u64 v[14:15], v[4:5], 2, v[2:3]
	v_lshlrev_b64 v[10:11], 2, v[10:11]
	global_load_dword v5, v[14:15], off
	v_lshl_add_u64 v[16:17], s[12:13], 0, v[10:11]
	global_load_dword v12, v[16:17], off
	v_div_scale_f32 v20, s[4:5], v6, v6, 1.0
	v_rcp_f32_e32 v21, v20
	v_div_scale_f32 v22, vcc, 1.0, v6, 1.0
	v_lshl_add_u64 v[18:19], s[14:15], 0, v[10:11]
	v_fma_f32 v23, -v20, v21, 1.0
	v_fmac_f32_e32 v21, v23, v21
	v_mul_f32_e32 v23, v22, v21
	v_fma_f32 v26, -v20, v23, v22
	v_fmac_f32_e32 v23, v26, v21
	v_fma_f32 v20, -v20, v23, v22
	v_div_fmas_f32 v20, v20, v21, v23
	v_div_fixup_f32 v6, v20, v6, 1.0
	v_mul_f32_e32 v9, v6, v9
	global_store_dword v[18:19], v9, off
	v_lshl_add_u64 v[10:11], s[6:7], 0, v[10:11]
	s_waitcnt vmcnt(2)
	v_mul_f32_e32 v9, v6, v5
	s_waitcnt vmcnt(1)
	v_mul_f32_e32 v12, v6, v12
	global_store_dword v[14:15], v9, off
	global_store_dword v[16:17], v12, off
	;; [unrolled: 1-line block ×3, first 2 shown]
	s_and_saveexec_b64 s[4:5], s[0:1]
	s_cbranch_execz .LBB30_3
; %bb.21:                               ;   in Loop: Header=BB30_5 Depth=1
	v_add_u32_e32 v10, v13, v4
	v_ashrrev_i32_e32 v11, 31, v10
	v_lshl_add_u64 v[10:11], v[10:11], 2, s[10:11]
	global_load_dword v9, v[10:11], off
	v_mul_f32_e32 v7, v7, v6
	s_waitcnt vmcnt(0)
	v_fma_f32 v5, -v7, v5, v9
	global_store_dword v[10:11], v5, off
	s_branch .LBB30_3
.LBB30_22:
	s_or_b64 exec, exec, s[20:21]
.LBB30_23:
	v_subrev_u32_e32 v1, s26, v4
	v_add_u32_e32 v4, v1, v0
	v_ashrrev_i32_e32 v5, 31, v4
	s_waitcnt lgkmcnt(0)
	v_lshl_add_u64 v[4:5], v[4:5], 2, s[6:7]
	buffer_wbl2 sc1
	s_waitcnt vmcnt(0)
	buffer_inv sc1
	global_load_dword v4, v[4:5], off
	s_waitcnt vmcnt(0)
	v_mul_lo_u32 v4, v4, s26
	v_sub_u32_e32 v4, v1, v4
	v_cmp_lt_i32_e32 vcc, -1, v4
	s_and_b64 exec, exec, vcc
	s_cbranch_execz .LBB30_30
; %bb.24:
	v_subrev_u32_e32 v1, s26, v0
	s_lshl_b32 s4, s26, 1
	s_mov_b64 s[0:1], 0
	s_branch .LBB30_26
.LBB30_25:                              ;   in Loop: Header=BB30_26 Depth=1
	s_or_b64 exec, exec, s[2:3]
	v_sub_u32_e32 v4, v4, v5
	v_cmp_gt_i32_e32 vcc, 0, v4
	s_or_b64 s[0:1], vcc, s[0:1]
	s_andn2_b64 exec, exec, s[0:1]
	s_cbranch_execz .LBB30_30
.LBB30_26:                              ; =>This Inner Loop Header: Depth=1
	v_add_u32_e32 v6, v4, v0
	v_ashrrev_i32_e32 v7, 31, v6
	s_waitcnt vmcnt(0)
	v_lshlrev_b64 v[8:9], 2, v[6:7]
	v_lshl_add_u64 v[10:11], s[6:7], 0, v[8:9]
	global_load_dword v5, v[10:11], off
	v_lshl_add_u64 v[8:9], s[14:15], 0, v[8:9]
	global_load_dword v8, v[8:9], off
	s_waitcnt vmcnt(1)
	v_cmp_ne_u32_e32 vcc, 1, v5
	s_and_saveexec_b64 s[2:3], vcc
	s_xor_b64 s[2:3], exec, s[2:3]
	s_cbranch_execz .LBB30_28
; %bb.27:                               ;   in Loop: Header=BB30_26 Depth=1
	v_add_u32_e32 v10, v13, v4
	v_ashrrev_i32_e32 v11, 31, v10
	v_lshlrev_b64 v[10:11], 2, v[10:11]
	v_lshl_add_u64 v[14:15], s[10:11], 0, v[10:11]
	v_ashrrev_i32_e32 v5, 31, v4
	v_lshl_add_u64 v[16:17], v[4:5], 2, v[2:3]
	global_load_dword v5, v[14:15], off
	global_load_dword v9, v[16:17], off
	v_lshl_add_u64 v[10:11], s[12:13], 0, v[10:11]
	v_lshl_add_u64 v[6:7], v[6:7], 2, s[12:13]
	global_load_dword v12, v[10:11], off
	global_load_dword v24, v[6:7], off
	v_add_u32_e32 v18, v1, v4
	v_ashrrev_i32_e32 v19, 31, v18
	v_lshlrev_b64 v[18:19], 2, v[18:19]
	v_lshl_add_u64 v[20:21], s[14:15], 0, v[18:19]
	global_load_dword v20, v[20:21], off
	v_lshl_add_u64 v[22:23], s[10:11], 0, v[18:19]
	v_lshl_add_u64 v[18:19], s[12:13], 0, v[18:19]
	s_waitcnt vmcnt(3)
	v_fma_f32 v5, -v8, v5, v9
	s_waitcnt vmcnt(1)
	v_fma_f32 v8, -v8, v12, v24
	global_store_dword v[16:17], v5, off
	global_store_dword v[6:7], v8, off
	global_load_dword v5, v[14:15], off
	s_nop 0
	global_load_dword v6, v[22:23], off
	global_load_dword v7, v[10:11], off
	;; [unrolled: 1-line block ×3, first 2 shown]
	s_waitcnt vmcnt(2)
	v_fma_f32 v5, -v20, v5, v6
	s_waitcnt vmcnt(0)
	v_fma_f32 v6, -v20, v7, v8
	global_store_dword v[22:23], v5, off
	global_store_dword v[18:19], v6, off
                                        ; implicit-def: $vgpr8
                                        ; implicit-def: $vgpr6_vgpr7
.LBB30_28:                              ;   in Loop: Header=BB30_26 Depth=1
	s_or_saveexec_b64 s[2:3], s[2:3]
	v_mov_b32_e32 v5, s4
	s_xor_b64 exec, exec, s[2:3]
	s_cbranch_execz .LBB30_25
; %bb.29:                               ;   in Loop: Header=BB30_26 Depth=1
	v_add_u32_e32 v10, v13, v4
	v_ashrrev_i32_e32 v11, 31, v10
	v_lshlrev_b64 v[10:11], 2, v[10:11]
	v_lshl_add_u64 v[14:15], s[10:11], 0, v[10:11]
	v_ashrrev_i32_e32 v5, 31, v4
	v_lshl_add_u64 v[16:17], v[4:5], 2, v[2:3]
	global_load_dword v5, v[14:15], off
	global_load_dword v9, v[16:17], off
	v_lshl_add_u64 v[10:11], s[12:13], 0, v[10:11]
	v_lshl_add_u64 v[6:7], v[6:7], 2, s[12:13]
	global_load_dword v12, v[10:11], off
	global_load_dword v14, v[6:7], off
	s_waitcnt vmcnt(2)
	v_fma_f32 v5, -v8, v5, v9
	s_waitcnt vmcnt(0)
	v_fma_f32 v8, -v8, v12, v14
	global_store_dword v[16:17], v5, off
	global_store_dword v[6:7], v8, off
	v_mov_b32_e32 v5, s26
	s_branch .LBB30_25
.LBB30_30:
	s_endpgm
	.section	.rodata,"a",@progbits
	.p2align	6, 0x0
	.amdhsa_kernel _ZN9rocsparseL18gtsv_LBM_wv_kernelILj256ELj8EfEEviiiPKT1_S3_S3_PS1_S4_S4_Pi
		.amdhsa_group_segment_fixed_size 0
		.amdhsa_private_segment_fixed_size 0
		.amdhsa_kernarg_size 72
		.amdhsa_user_sgpr_count 2
		.amdhsa_user_sgpr_dispatch_ptr 0
		.amdhsa_user_sgpr_queue_ptr 0
		.amdhsa_user_sgpr_kernarg_segment_ptr 1
		.amdhsa_user_sgpr_dispatch_id 0
		.amdhsa_user_sgpr_kernarg_preload_length 0
		.amdhsa_user_sgpr_kernarg_preload_offset 0
		.amdhsa_user_sgpr_private_segment_size 0
		.amdhsa_uses_dynamic_stack 0
		.amdhsa_enable_private_segment 0
		.amdhsa_system_sgpr_workgroup_id_x 1
		.amdhsa_system_sgpr_workgroup_id_y 0
		.amdhsa_system_sgpr_workgroup_id_z 0
		.amdhsa_system_sgpr_workgroup_info 0
		.amdhsa_system_vgpr_workitem_id 0
		.amdhsa_next_free_vgpr 39
		.amdhsa_next_free_sgpr 31
		.amdhsa_accum_offset 40
		.amdhsa_reserve_vcc 1
		.amdhsa_float_round_mode_32 0
		.amdhsa_float_round_mode_16_64 0
		.amdhsa_float_denorm_mode_32 3
		.amdhsa_float_denorm_mode_16_64 3
		.amdhsa_dx10_clamp 1
		.amdhsa_ieee_mode 1
		.amdhsa_fp16_overflow 0
		.amdhsa_tg_split 0
		.amdhsa_exception_fp_ieee_invalid_op 0
		.amdhsa_exception_fp_denorm_src 0
		.amdhsa_exception_fp_ieee_div_zero 0
		.amdhsa_exception_fp_ieee_overflow 0
		.amdhsa_exception_fp_ieee_underflow 0
		.amdhsa_exception_fp_ieee_inexact 0
		.amdhsa_exception_int_div_zero 0
	.end_amdhsa_kernel
	.section	.text._ZN9rocsparseL18gtsv_LBM_wv_kernelILj256ELj8EfEEviiiPKT1_S3_S3_PS1_S4_S4_Pi,"axG",@progbits,_ZN9rocsparseL18gtsv_LBM_wv_kernelILj256ELj8EfEEviiiPKT1_S3_S3_PS1_S4_S4_Pi,comdat
.Lfunc_end30:
	.size	_ZN9rocsparseL18gtsv_LBM_wv_kernelILj256ELj8EfEEviiiPKT1_S3_S3_PS1_S4_S4_Pi, .Lfunc_end30-_ZN9rocsparseL18gtsv_LBM_wv_kernelILj256ELj8EfEEviiiPKT1_S3_S3_PS1_S4_S4_Pi
                                        ; -- End function
	.set _ZN9rocsparseL18gtsv_LBM_wv_kernelILj256ELj8EfEEviiiPKT1_S3_S3_PS1_S4_S4_Pi.num_vgpr, 39
	.set _ZN9rocsparseL18gtsv_LBM_wv_kernelILj256ELj8EfEEviiiPKT1_S3_S3_PS1_S4_S4_Pi.num_agpr, 0
	.set _ZN9rocsparseL18gtsv_LBM_wv_kernelILj256ELj8EfEEviiiPKT1_S3_S3_PS1_S4_S4_Pi.numbered_sgpr, 31
	.set _ZN9rocsparseL18gtsv_LBM_wv_kernelILj256ELj8EfEEviiiPKT1_S3_S3_PS1_S4_S4_Pi.num_named_barrier, 0
	.set _ZN9rocsparseL18gtsv_LBM_wv_kernelILj256ELj8EfEEviiiPKT1_S3_S3_PS1_S4_S4_Pi.private_seg_size, 0
	.set _ZN9rocsparseL18gtsv_LBM_wv_kernelILj256ELj8EfEEviiiPKT1_S3_S3_PS1_S4_S4_Pi.uses_vcc, 1
	.set _ZN9rocsparseL18gtsv_LBM_wv_kernelILj256ELj8EfEEviiiPKT1_S3_S3_PS1_S4_S4_Pi.uses_flat_scratch, 0
	.set _ZN9rocsparseL18gtsv_LBM_wv_kernelILj256ELj8EfEEviiiPKT1_S3_S3_PS1_S4_S4_Pi.has_dyn_sized_stack, 0
	.set _ZN9rocsparseL18gtsv_LBM_wv_kernelILj256ELj8EfEEviiiPKT1_S3_S3_PS1_S4_S4_Pi.has_recursion, 0
	.set _ZN9rocsparseL18gtsv_LBM_wv_kernelILj256ELj8EfEEviiiPKT1_S3_S3_PS1_S4_S4_Pi.has_indirect_call, 0
	.section	.AMDGPU.csdata,"",@progbits
; Kernel info:
; codeLenInByte = 2120
; TotalNumSgprs: 37
; NumVgprs: 39
; NumAgprs: 0
; TotalNumVgprs: 39
; ScratchSize: 0
; MemoryBound: 0
; FloatMode: 240
; IeeeMode: 1
; LDSByteSize: 0 bytes/workgroup (compile time only)
; SGPRBlocks: 4
; VGPRBlocks: 4
; NumSGPRsForWavesPerEU: 37
; NumVGPRsForWavesPerEU: 39
; AccumOffset: 40
; Occupancy: 8
; WaveLimiterHint : 0
; COMPUTE_PGM_RSRC2:SCRATCH_EN: 0
; COMPUTE_PGM_RSRC2:USER_SGPR: 2
; COMPUTE_PGM_RSRC2:TRAP_HANDLER: 0
; COMPUTE_PGM_RSRC2:TGID_X_EN: 1
; COMPUTE_PGM_RSRC2:TGID_Y_EN: 0
; COMPUTE_PGM_RSRC2:TGID_Z_EN: 0
; COMPUTE_PGM_RSRC2:TIDIG_COMP_CNT: 0
; COMPUTE_PGM_RSRC3_GFX90A:ACCUM_OFFSET: 9
; COMPUTE_PGM_RSRC3_GFX90A:TG_SPLIT: 0
	.section	.text._ZN9rocsparseL19gtsv_LBM_rhs_kernelILj256ELj8ELj8EfEEviiiPKT2_S3_S3_PS1_S3_PKi,"axG",@progbits,_ZN9rocsparseL19gtsv_LBM_rhs_kernelILj256ELj8ELj8EfEEviiiPKT2_S3_S3_PS1_S3_PKi,comdat
	.globl	_ZN9rocsparseL19gtsv_LBM_rhs_kernelILj256ELj8ELj8EfEEviiiPKT2_S3_S3_PS1_S3_PKi ; -- Begin function _ZN9rocsparseL19gtsv_LBM_rhs_kernelILj256ELj8ELj8EfEEviiiPKT2_S3_S3_PS1_S3_PKi
	.p2align	8
	.type	_ZN9rocsparseL19gtsv_LBM_rhs_kernelILj256ELj8ELj8EfEEviiiPKT2_S3_S3_PS1_S3_PKi,@function
_ZN9rocsparseL19gtsv_LBM_rhs_kernelILj256ELj8ELj8EfEEviiiPKT2_S3_S3_PS1_S3_PKi: ; @_ZN9rocsparseL19gtsv_LBM_rhs_kernelILj256ELj8ELj8EfEEviiiPKT2_S3_S3_PS1_S3_PKi
; %bb.0:
	s_load_dword s23, s[0:1], 0x0
	v_lshl_or_b32 v0, s2, 8, v0
	s_waitcnt lgkmcnt(0)
	s_lshr_b32 s22, s23, 3
	v_cmp_gt_i32_e32 vcc, s22, v0
	s_and_saveexec_b64 s[4:5], vcc
	s_cbranch_execz .LBB31_29
; %bb.1:
	s_load_dwordx4 s[8:11], s[0:1], 0x28
	s_load_dwordx2 s[6:7], s[0:1], 0x38
	s_cmp_lt_i32 s23, 1
	v_add_u32_e32 v20, s22, v0
	s_mul_i32 s24, s3, s23
	s_cbranch_scc1 .LBB31_21
; %bb.2:
	s_load_dwordx4 s[12:15], s[0:1], 0x10
	s_load_dwordx2 s[16:17], s[0:1], 0x20
	v_ashrrev_i32_e32 v1, 31, v0
	s_lshl_b32 s28, s24, 3
	s_add_i32 s29, s28, s23
	s_waitcnt lgkmcnt(0)
	v_lshl_add_u64 v[2:3], v[0:1], 2, s[14:15]
	global_load_dword v23, v[2:3], off
	s_add_i32 s30, s29, s23
	s_add_i32 s31, s30, s23
	;; [unrolled: 1-line block ×5, first 2 shown]
	s_mul_i32 s25, s22, 7
	s_mul_i32 s26, s22, 6
	s_lshl_b32 s27, s22, 1
	v_add_u32_e32 v1, s22, v20
	s_add_i32 s36, s35, s23
	v_mov_b32_e32 v3, 0
	s_mov_b64 s[18:19], 0
	v_mov_b32_e32 v21, 0
	s_branch .LBB31_5
.LBB31_3:                               ;   in Loop: Header=BB31_5 Depth=1
	s_or_b64 exec, exec, s[4:5]
	v_fma_f32 v23, -v23, v28, v24
	v_mov_b32_e32 v2, s22
.LBB31_4:                               ;   in Loop: Header=BB31_5 Depth=1
	s_or_b64 exec, exec, s[2:3]
	v_add_u32_e32 v21, v2, v21
	v_cmp_le_i32_e32 vcc, s23, v21
	s_or_b64 s[18:19], vcc, s[18:19]
	s_andn2_b64 exec, exec, s[18:19]
	s_cbranch_execz .LBB31_20
.LBB31_5:                               ; =>This Inner Loop Header: Depth=1
	v_add_u32_e32 v18, v21, v0
	v_ashrrev_i32_e32 v19, 31, v18
	v_lshl_add_u64 v[4:5], v[18:19], 2, s[16:17]
	global_load_dword v26, v[4:5], off
	v_cmp_gt_u32_e64 s[0:1], s25, v21
	v_mov_b32_e32 v22, 0
	s_and_saveexec_b64 s[2:3], s[0:1]
	s_cbranch_execz .LBB31_7
; %bb.6:                                ;   in Loop: Header=BB31_5 Depth=1
	v_add_u32_e32 v4, v20, v21
	v_ashrrev_i32_e32 v5, 31, v4
	v_lshl_add_u64 v[4:5], v[4:5], 2, s[12:13]
	global_load_dword v22, v[4:5], off
.LBB31_7:                               ;   in Loop: Header=BB31_5 Depth=1
	s_or_b64 exec, exec, s[2:3]
	v_mov_b32_e32 v25, 0
	v_mov_b32_e32 v24, 0
	s_and_saveexec_b64 s[2:3], s[0:1]
	s_cbranch_execz .LBB31_9
; %bb.8:                                ;   in Loop: Header=BB31_5 Depth=1
	v_add_u32_e32 v4, v20, v21
	v_ashrrev_i32_e32 v5, 31, v4
	v_lshl_add_u64 v[4:5], v[4:5], 2, s[14:15]
	global_load_dword v24, v[4:5], off
.LBB31_9:                               ;   in Loop: Header=BB31_5 Depth=1
	s_or_b64 exec, exec, s[2:3]
	s_and_saveexec_b64 s[2:3], s[0:1]
	s_cbranch_execz .LBB31_11
; %bb.10:                               ;   in Loop: Header=BB31_5 Depth=1
	v_add_u32_e32 v4, v20, v21
	v_ashrrev_i32_e32 v5, 31, v4
	v_lshl_add_u64 v[4:5], v[4:5], 2, s[16:17]
	global_load_dword v25, v[4:5], off
.LBB31_11:                              ;   in Loop: Header=BB31_5 Depth=1
	s_or_b64 exec, exec, s[2:3]
	v_cmp_gt_u32_e64 s[2:3], s26, v21
	v_mov_b32_e32 v27, 0
	s_and_saveexec_b64 s[4:5], s[2:3]
	s_cbranch_execz .LBB31_13
; %bb.12:                               ;   in Loop: Header=BB31_5 Depth=1
	v_add_u32_e32 v4, v1, v21
	v_ashrrev_i32_e32 v5, 31, v4
	v_lshl_add_u64 v[4:5], v[4:5], 2, s[12:13]
	global_load_dword v27, v[4:5], off
.LBB31_13:                              ;   in Loop: Header=BB31_5 Depth=1
	s_or_b64 exec, exec, s[4:5]
	v_add_u32_e32 v2, s28, v18
	v_lshl_add_u64 v[16:17], v[2:3], 2, s[8:9]
	v_add_u32_e32 v2, s29, v18
	v_lshl_add_u64 v[4:5], v[18:19], 2, s[6:7]
	v_lshl_add_u64 v[12:13], v[2:3], 2, s[8:9]
	v_add_u32_e32 v2, s30, v18
	global_load_dword v28, v[4:5], off
	v_lshl_add_u64 v[4:5], v[2:3], 2, s[8:9]
	v_add_u32_e32 v2, s31, v18
	v_lshl_add_u64 v[6:7], v[2:3], 2, s[8:9]
	v_add_u32_e32 v2, s33, v18
	;; [unrolled: 2-line block ×5, first 2 shown]
	v_lshl_add_u64 v[18:19], v[2:3], 2, s[8:9]
	global_load_dword v29, v[16:17], off
	global_load_dword v30, v[12:13], off
	;; [unrolled: 1-line block ×8, first 2 shown]
	v_cmp_ne_u32_e64 s[4:5], s25, v21
	s_waitcnt vmcnt(8)
	v_cmp_ne_u32_e32 vcc, 1, v28
	s_and_b64 s[4:5], s[4:5], vcc
	v_mul_f32_e32 v28, v26, v22
	s_and_saveexec_b64 s[20:21], s[4:5]
	s_xor_b64 s[4:5], exec, s[20:21]
	s_cbranch_execz .LBB31_17
; %bb.14:                               ;   in Loop: Header=BB31_5 Depth=1
	v_fma_f32 v28, v23, v24, -v28
	v_div_scale_f32 v37, s[20:21], v28, v28, 1.0
	v_rcp_f32_e32 v38, v37
	v_add_u32_e32 v39, v20, v21
	v_add_u32_e32 v2, s28, v39
	v_lshl_add_u64 v[40:41], v[2:3], 2, s[8:9]
	global_load_dword v56, v[40:41], off
	v_fma_f32 v2, -v37, v38, 1.0
	v_fmac_f32_e32 v38, v2, v38
	v_add_u32_e32 v2, s29, v39
	v_lshl_add_u64 v[42:43], v[2:3], 2, s[8:9]
	v_add_u32_e32 v2, s30, v39
	global_load_dword v57, v[42:43], off
	v_lshl_add_u64 v[44:45], v[2:3], 2, s[8:9]
	v_add_u32_e32 v2, s31, v39
	v_div_scale_f32 v54, vcc, 1.0, v28, 1.0
	v_lshl_add_u64 v[46:47], v[2:3], 2, s[8:9]
	v_add_u32_e32 v2, s33, v39
	global_load_dword v58, v[44:45], off
	global_load_dword v59, v[46:47], off
	v_lshl_add_u64 v[48:49], v[2:3], 2, s[8:9]
	v_mul_f32_e32 v61, v54, v38
	v_add_u32_e32 v2, s34, v39
	v_lshl_add_u64 v[50:51], v[2:3], 2, s[8:9]
	v_fma_f32 v2, -v37, v61, v54
	global_load_dword v60, v[48:49], off
	global_load_dword v62, v[50:51], off
	v_fmac_f32_e32 v61, v2, v38
	v_add_u32_e32 v2, s35, v39
	v_lshl_add_u64 v[52:53], v[2:3], 2, s[8:9]
	v_add_u32_e32 v2, s36, v39
	global_load_dword v63, v[52:53], off
	v_fma_f32 v37, -v37, v61, v54
	v_lshl_add_u64 v[54:55], v[2:3], 2, s[8:9]
	global_load_dword v2, v[54:55], off
	v_div_fmas_f32 v37, v37, v38, v61
	v_div_fixup_f32 v28, v37, v28, 1.0
	s_waitcnt vmcnt(14)
	v_mul_f32_e32 v37, v28, v30
	s_waitcnt vmcnt(9)
	v_mul_f32_e32 v30, v28, v35
	v_mul_f32_e32 v39, v28, v29
	v_mul_f32_e32 v38, v28, v31
	v_mul_f32_e32 v31, v28, v34
	v_mul_f32_e32 v34, v22, v39
	v_mul_f32_e32 v32, v28, v32
	v_mul_f32_e32 v33, v28, v33
	s_waitcnt vmcnt(8)
	v_mul_f32_e32 v29, v28, v36
	v_mul_f32_e32 v36, v22, v37
	s_waitcnt vmcnt(7)
	v_mul_f32_e32 v35, v28, v56
	v_mul_f32_e32 v56, v26, v35
	v_fma_f32 v56, v24, v39, -v56
	global_store_dword v[16:17], v56, off
	v_fma_f32 v61, v23, v35, -v34
	v_mul_f32_e32 v16, v22, v38
	s_waitcnt vmcnt(7)
	v_mul_f32_e32 v17, v28, v57
	v_mul_f32_e32 v57, v26, v17
	v_fma_f32 v57, v24, v37, -v57
	global_store_dword v[12:13], v57, off
	v_mul_f32_e32 v56, v22, v32
	v_mul_f32_e32 v57, v22, v33
	v_fma_f32 v36, v23, v17, -v36
	s_waitcnt vmcnt(7)
	v_mul_f32_e32 v34, v28, v58
	s_waitcnt vmcnt(6)
	v_mul_f32_e32 v13, v28, v59
	v_mul_f32_e32 v12, v26, v34
	v_fma_f32 v58, v23, v34, -v16
	v_fma_f32 v59, v24, v38, -v12
	global_store_dword v[4:5], v59, off
	v_fma_f32 v56, v23, v13, -v56
	s_waitcnt vmcnt(6)
	v_mul_f32_e32 v16, v28, v60
	v_mul_f32_e32 v60, v26, v13
	s_waitcnt vmcnt(5)
	v_mul_f32_e32 v12, v28, v62
	v_fma_f32 v4, v24, v32, -v60
	v_mul_f32_e32 v59, v26, v16
	global_store_dword v[6:7], v4, off
	s_waitcnt vmcnt(5)
	v_mul_f32_e32 v5, v28, v63
	v_fma_f32 v6, v24, v33, -v59
	v_mul_f32_e32 v7, v26, v12
	s_waitcnt vmcnt(4)
	v_mul_f32_e32 v4, v28, v2
	global_store_dword v[8:9], v6, off
	v_fma_f32 v2, v24, v31, -v7
	v_mul_f32_e32 v6, v26, v5
	global_store_dword v[10:11], v2, off
	v_fma_f32 v2, v24, v30, -v6
	;; [unrolled: 3-line block ×3, first 2 shown]
	v_fma_f32 v57, v23, v16, -v57
	global_store_dword v[18:19], v2, off
	global_store_dword v[40:41], v61, off
	global_store_dword v[42:43], v36, off
	global_store_dword v[44:45], v58, off
	global_store_dword v[46:47], v56, off
	global_store_dword v[48:49], v57, off
	v_mul_f32_e32 v2, v22, v31
	v_fma_f32 v2, v23, v12, -v2
	global_store_dword v[50:51], v2, off
	v_mul_f32_e32 v2, v22, v30
	v_fma_f32 v2, v23, v5, -v2
	global_store_dword v[52:53], v2, off
	;; [unrolled: 3-line block ×3, first 2 shown]
	v_mov_b32_e32 v2, 0
	s_and_saveexec_b64 s[20:21], s[2:3]
	s_cbranch_execz .LBB31_16
; %bb.15:                               ;   in Loop: Header=BB31_5 Depth=1
	v_add_u32_e32 v6, v1, v21
	v_add_u32_e32 v2, s28, v6
	v_lshl_add_u64 v[8:9], v[2:3], 2, s[8:9]
	global_load_dword v7, v[8:9], off
	v_mul_f32_e32 v23, v23, v27
	v_mul_f32_e32 v22, v22, v27
	;; [unrolled: 1-line block ×3, first 2 shown]
	v_fma_f32 v18, v22, v39, -v2
	v_add_u32_e32 v2, s29, v6
	v_lshl_add_u64 v[10:11], v[2:3], 2, s[8:9]
	v_add_u32_e32 v2, s30, v6
	global_load_dword v24, v[10:11], off
	v_lshl_add_u64 v[14:15], v[2:3], 2, s[8:9]
	v_mul_f32_e32 v4, v23, v4
	v_fma_f32 v4, v22, v29, -v4
	s_waitcnt vmcnt(1)
	v_add_f32_e32 v2, v18, v7
	global_store_dword v[8:9], v2, off
	global_load_dword v7, v[14:15], off
	v_mul_f32_e32 v2, v23, v17
	v_mul_f32_e32 v8, v23, v34
	v_fma_f32 v17, v22, v37, -v2
	v_add_u32_e32 v2, s31, v6
	v_fma_f32 v26, v22, v38, -v8
	v_lshl_add_u64 v[8:9], v[2:3], 2, s[8:9]
	v_add_u32_e32 v2, s33, v6
	v_lshl_add_u64 v[18:19], v[2:3], 2, s[8:9]
	s_waitcnt vmcnt(2)
	v_add_f32_e32 v2, v17, v24
	global_store_dword v[10:11], v2, off
	global_load_dword v17, v[8:9], off
	v_mul_f32_e32 v10, v23, v16
	s_waitcnt vmcnt(2)
	v_add_f32_e32 v2, v26, v7
	global_store_dword v[14:15], v2, off
	global_load_dword v7, v[18:19], off
	v_mul_f32_e32 v2, v23, v13
	v_fma_f32 v13, v22, v32, -v2
	v_add_u32_e32 v2, s34, v6
	v_fma_f32 v14, v22, v33, -v10
	v_lshl_add_u64 v[10:11], v[2:3], 2, s[8:9]
	s_waitcnt vmcnt(2)
	v_add_f32_e32 v2, v13, v17
	global_store_dword v[8:9], v2, off
	s_waitcnt vmcnt(1)
	v_add_f32_e32 v2, v14, v7
	global_store_dword v[18:19], v2, off
	global_load_dword v7, v[10:11], off
	v_mul_f32_e32 v2, v23, v12
	v_fma_f32 v12, v22, v31, -v2
	v_add_u32_e32 v2, s35, v6
	v_lshl_add_u64 v[8:9], v[2:3], 2, s[8:9]
	s_waitcnt vmcnt(0)
	v_add_f32_e32 v2, v12, v7
	global_store_dword v[10:11], v2, off
	global_load_dword v12, v[8:9], off
	v_mul_f32_e32 v2, v23, v5
	v_fma_f32 v5, v22, v30, -v2
	v_add_u32_e32 v2, s36, v6
	v_lshl_add_u64 v[10:11], v[2:3], 2, s[8:9]
	v_ashrrev_i32_e32 v7, 31, v6
	v_lshl_add_u64 v[6:7], v[6:7], 2, s[14:15]
	s_waitcnt vmcnt(0)
	v_add_f32_e32 v2, v5, v12
	global_store_dword v[8:9], v2, off
	global_load_dword v2, v[10:11], off
	s_waitcnt vmcnt(0)
	v_add_f32_e32 v2, v4, v2
	global_load_dword v5, v[6:7], off
	v_mul_f32_e32 v6, v25, v23
	global_store_dword v[10:11], v2, off
	s_waitcnt vmcnt(1)
	v_fma_f32 v2, -v28, v6, v5
.LBB31_16:                              ;   in Loop: Header=BB31_5 Depth=1
	s_or_b64 exec, exec, s[20:21]
	v_mov_b32_e32 v23, v2
                                        ; implicit-def: $vgpr22
                                        ; implicit-def: $vgpr24
                                        ; implicit-def: $vgpr28
                                        ; implicit-def: $vgpr16_vgpr17
                                        ; implicit-def: $vgpr29
                                        ; implicit-def: $vgpr12_vgpr13
                                        ; implicit-def: $vgpr30
                                        ; implicit-def: $vgpr4_vgpr5
                                        ; implicit-def: $vgpr31
                                        ; implicit-def: $vgpr6_vgpr7
                                        ; implicit-def: $vgpr32
                                        ; implicit-def: $vgpr8_vgpr9
                                        ; implicit-def: $vgpr33
                                        ; implicit-def: $vgpr10_vgpr11
                                        ; implicit-def: $vgpr34
                                        ; implicit-def: $vgpr14_vgpr15
                                        ; implicit-def: $vgpr35
                                        ; implicit-def: $vgpr18_vgpr19
                                        ; implicit-def: $vgpr36
.LBB31_17:                              ;   in Loop: Header=BB31_5 Depth=1
	s_or_saveexec_b64 s[2:3], s[4:5]
	v_mov_b32_e32 v2, s27
	s_xor_b64 exec, exec, s[2:3]
	s_cbranch_execz .LBB31_4
; %bb.18:                               ;   in Loop: Header=BB31_5 Depth=1
	v_div_scale_f32 v2, s[4:5], v23, v23, 1.0
	v_rcp_f32_e32 v25, v2
	v_div_scale_f32 v26, vcc, 1.0, v23, 1.0
	v_fma_f32 v27, -v2, v25, 1.0
	v_fmac_f32_e32 v25, v27, v25
	v_mul_f32_e32 v27, v26, v25
	v_fma_f32 v37, -v2, v27, v26
	v_fmac_f32_e32 v27, v37, v25
	v_fma_f32 v2, -v2, v27, v26
	v_div_fmas_f32 v2, v2, v25, v27
	v_div_fixup_f32 v23, v2, v23, 1.0
	s_waitcnt vmcnt(7)
	v_mul_f32_e32 v38, v23, v29
	s_waitcnt vmcnt(6)
	v_mul_f32_e32 v37, v23, v30
	;; [unrolled: 2-line block ×8, first 2 shown]
	global_store_dword v[16:17], v38, off
	global_store_dword v[12:13], v37, off
	;; [unrolled: 1-line block ×8, first 2 shown]
	s_and_saveexec_b64 s[4:5], s[0:1]
	s_cbranch_execz .LBB31_3
; %bb.19:                               ;   in Loop: Header=BB31_5 Depth=1
	v_add_u32_e32 v12, v20, v21
	v_add_u32_e32 v2, s28, v12
	v_lshl_add_u64 v[4:5], v[2:3], 2, s[8:9]
	global_load_dword v10, v[4:5], off
	v_add_u32_e32 v2, s29, v12
	v_lshl_add_u64 v[6:7], v[2:3], 2, s[8:9]
	v_add_u32_e32 v2, s30, v12
	global_load_dword v13, v[6:7], off
	v_lshl_add_u64 v[8:9], v[2:3], 2, s[8:9]
	s_waitcnt vmcnt(1)
	v_fma_f32 v2, -v22, v38, v10
	global_store_dword v[4:5], v2, off
	global_load_dword v14, v[8:9], off
	v_add_u32_e32 v2, s31, v12
	v_lshl_add_u64 v[4:5], v[2:3], 2, s[8:9]
	v_add_u32_e32 v2, s33, v12
	v_lshl_add_u64 v[10:11], v[2:3], 2, s[8:9]
	s_waitcnt vmcnt(2)
	v_fma_f32 v2, -v22, v37, v13
	global_store_dword v[6:7], v2, off
	global_load_dword v13, v[4:5], off
	s_waitcnt vmcnt(2)
	v_fma_f32 v2, -v22, v31, v14
	global_store_dword v[8:9], v2, off
	global_load_dword v8, v[10:11], off
	v_add_u32_e32 v2, s34, v12
	v_lshl_add_u64 v[6:7], v[2:3], 2, s[8:9]
	s_waitcnt vmcnt(2)
	v_fma_f32 v2, -v22, v30, v13
	global_store_dword v[4:5], v2, off
	s_waitcnt vmcnt(1)
	v_fma_f32 v2, -v22, v29, v8
	global_store_dword v[10:11], v2, off
	global_load_dword v8, v[6:7], off
	v_add_u32_e32 v2, s35, v12
	v_lshl_add_u64 v[4:5], v[2:3], 2, s[8:9]
	s_waitcnt vmcnt(0)
	v_fma_f32 v2, -v22, v27, v8
	global_store_dword v[6:7], v2, off
	global_load_dword v6, v[4:5], off
	v_add_u32_e32 v2, s36, v12
	s_waitcnt vmcnt(0)
	v_fma_f32 v6, -v22, v26, v6
	global_store_dword v[4:5], v6, off
	v_lshl_add_u64 v[4:5], v[2:3], 2, s[8:9]
	global_load_dword v2, v[4:5], off
	s_waitcnt vmcnt(0)
	v_fma_f32 v2, -v22, v25, v2
	global_store_dword v[4:5], v2, off
	s_branch .LBB31_3
.LBB31_20:
	s_or_b64 exec, exec, s[18:19]
	s_branch .LBB31_22
.LBB31_21:
	v_mov_b32_e32 v21, 0
.LBB31_22:
	v_subrev_u32_e32 v1, s22, v21
	v_add_u32_e32 v2, v1, v0
	v_ashrrev_i32_e32 v3, 31, v2
	s_waitcnt lgkmcnt(0)
	v_lshl_add_u64 v[2:3], v[2:3], 2, s[6:7]
	buffer_wbl2 sc1
	s_waitcnt vmcnt(0)
	buffer_inv sc1
	global_load_dword v2, v[2:3], off
	s_waitcnt vmcnt(0)
	v_mul_lo_u32 v2, v2, s22
	v_sub_u32_e32 v1, v1, v2
	v_cmp_lt_i32_e32 vcc, -1, v1
	s_and_b64 exec, exec, vcc
	s_cbranch_execz .LBB31_29
; %bb.23:
	s_lshl_b32 s4, s24, 3
	s_add_i32 s5, s4, s23
	s_add_i32 s12, s5, s23
	;; [unrolled: 1-line block ×7, first 2 shown]
	s_lshl_b32 s18, s22, 1
	s_mov_b64 s[0:1], 0
	v_mov_b32_e32 v3, 0
	s_branch .LBB31_25
.LBB31_24:                              ;   in Loop: Header=BB31_25 Depth=1
	s_or_b64 exec, exec, s[2:3]
	v_sub_u32_e32 v1, v1, v2
	v_cmp_gt_i32_e32 vcc, 0, v1
	s_or_b64 s[0:1], vcc, s[0:1]
	s_andn2_b64 exec, exec, s[0:1]
	s_cbranch_execz .LBB31_29
.LBB31_25:                              ; =>This Inner Loop Header: Depth=1
	v_add_u32_e32 v4, v1, v0
	s_waitcnt vmcnt(0)
	v_ashrrev_i32_e32 v5, 31, v4
	v_lshlrev_b64 v[6:7], 2, v[4:5]
	v_lshl_add_u64 v[8:9], s[6:7], 0, v[6:7]
	global_load_dword v2, v[8:9], off
	v_lshl_add_u64 v[6:7], s[10:11], 0, v[6:7]
	global_load_dword v5, v[6:7], off
	s_waitcnt vmcnt(1)
	v_cmp_ne_u32_e32 vcc, 1, v2
	s_and_saveexec_b64 s[2:3], vcc
	s_xor_b64 s[2:3], exec, s[2:3]
	s_cbranch_execz .LBB31_27
; %bb.26:                               ;   in Loop: Header=BB31_25 Depth=1
	v_add_u32_e32 v21, v20, v1
	v_add_u32_e32 v2, s4, v21
	v_lshl_add_u64 v[6:7], v[2:3], 2, s[8:9]
	v_add_u32_e32 v2, s5, v21
	v_lshl_add_u64 v[8:9], v[2:3], 2, s[8:9]
	;; [unrolled: 2-line block ×9, first 2 shown]
	global_load_dword v21, v[24:25], off
	global_load_dword v26, v[6:7], off
	;; [unrolled: 1-line block ×9, first 2 shown]
	v_add_u32_e32 v2, s5, v4
	v_lshl_add_u64 v[6:7], v[2:3], 2, s[8:9]
	s_waitcnt vmcnt(7)
	v_fma_f32 v2, -v5, v26, v21
	global_store_dword v[24:25], v2, off
	global_load_dword v10, v[6:7], off
	v_add_u32_e32 v2, s12, v4
	v_lshl_add_u64 v[8:9], v[2:3], 2, s[8:9]
	s_waitcnt vmcnt(0)
	v_fma_f32 v2, -v5, v27, v10
	global_store_dword v[6:7], v2, off
	global_load_dword v10, v[8:9], off
	;; [unrolled: 6-line block ×7, first 2 shown]
	v_subrev_u32_e32 v2, s22, v1
	v_add_u32_e32 v8, v2, v0
	v_ashrrev_i32_e32 v9, 31, v8
	v_lshl_add_u64 v[10:11], v[8:9], 2, s[10:11]
	v_add_u32_e32 v2, s4, v8
	global_load_dword v9, v[10:11], off
	v_lshl_add_u64 v[10:11], v[2:3], 2, s[8:9]
	s_waitcnt vmcnt(1)
	v_fma_f32 v2, -v5, v33, v4
	global_store_dword v[6:7], v2, off
	global_load_dword v6, v[10:11], off
	v_add_u32_e32 v2, s5, v8
	v_lshl_add_u64 v[4:5], v[2:3], 2, s[8:9]
	s_waitcnt vmcnt(0)
	v_fma_f32 v2, -v9, v26, v6
	global_store_dword v[10:11], v2, off
	global_load_dword v10, v[4:5], off
	v_add_u32_e32 v2, s12, v8
	;; [unrolled: 6-line block ×7, first 2 shown]
	s_waitcnt vmcnt(0)
	v_fma_f32 v4, -v9, v32, v4
	global_store_dword v[6:7], v4, off
	v_lshl_add_u64 v[4:5], v[2:3], 2, s[8:9]
	global_load_dword v2, v[4:5], off
	s_waitcnt vmcnt(0)
	v_fma_f32 v2, -v9, v33, v2
	global_store_dword v[4:5], v2, off
                                        ; implicit-def: $vgpr4
                                        ; implicit-def: $vgpr5
.LBB31_27:                              ;   in Loop: Header=BB31_25 Depth=1
	s_or_saveexec_b64 s[2:3], s[2:3]
	v_mov_b32_e32 v2, s18
	s_xor_b64 exec, exec, s[2:3]
	s_cbranch_execz .LBB31_24
; %bb.28:                               ;   in Loop: Header=BB31_25 Depth=1
	v_add_u32_e32 v12, v20, v1
	v_add_u32_e32 v2, s4, v12
	v_lshl_add_u64 v[6:7], v[2:3], 2, s[8:9]
	v_add_u32_e32 v2, s4, v4
	v_lshl_add_u64 v[8:9], v[2:3], 2, s[8:9]
	global_load_dword v13, v[6:7], off
	global_load_dword v14, v[8:9], off
	v_add_u32_e32 v2, s5, v12
	v_lshl_add_u64 v[6:7], v[2:3], 2, s[8:9]
	v_add_u32_e32 v2, s5, v4
	v_lshl_add_u64 v[10:11], v[2:3], 2, s[8:9]
	s_waitcnt vmcnt(0)
	v_fma_f32 v2, -v5, v13, v14
	global_store_dword v[8:9], v2, off
	global_load_dword v13, v[6:7], off
	global_load_dword v14, v[10:11], off
	v_add_u32_e32 v2, s12, v12
	v_lshl_add_u64 v[6:7], v[2:3], 2, s[8:9]
	v_add_u32_e32 v2, s12, v4
	v_lshl_add_u64 v[8:9], v[2:3], 2, s[8:9]
	s_waitcnt vmcnt(0)
	v_fma_f32 v2, -v5, v13, v14
	global_store_dword v[10:11], v2, off
	;; [unrolled: 9-line block ×7, first 2 shown]
	global_load_dword v2, v[6:7], off
	s_nop 0
	global_load_dword v4, v[10:11], off
	s_waitcnt vmcnt(0)
	v_fma_f32 v2, -v5, v2, v4
	global_store_dword v[10:11], v2, off
	v_mov_b32_e32 v2, s22
	s_branch .LBB31_24
.LBB31_29:
	s_endpgm
	.section	.rodata,"a",@progbits
	.p2align	6, 0x0
	.amdhsa_kernel _ZN9rocsparseL19gtsv_LBM_rhs_kernelILj256ELj8ELj8EfEEviiiPKT2_S3_S3_PS1_S3_PKi
		.amdhsa_group_segment_fixed_size 0
		.amdhsa_private_segment_fixed_size 0
		.amdhsa_kernarg_size 64
		.amdhsa_user_sgpr_count 2
		.amdhsa_user_sgpr_dispatch_ptr 0
		.amdhsa_user_sgpr_queue_ptr 0
		.amdhsa_user_sgpr_kernarg_segment_ptr 1
		.amdhsa_user_sgpr_dispatch_id 0
		.amdhsa_user_sgpr_kernarg_preload_length 0
		.amdhsa_user_sgpr_kernarg_preload_offset 0
		.amdhsa_user_sgpr_private_segment_size 0
		.amdhsa_uses_dynamic_stack 0
		.amdhsa_enable_private_segment 0
		.amdhsa_system_sgpr_workgroup_id_x 1
		.amdhsa_system_sgpr_workgroup_id_y 1
		.amdhsa_system_sgpr_workgroup_id_z 0
		.amdhsa_system_sgpr_workgroup_info 0
		.amdhsa_system_vgpr_workitem_id 0
		.amdhsa_next_free_vgpr 64
		.amdhsa_next_free_sgpr 37
		.amdhsa_accum_offset 64
		.amdhsa_reserve_vcc 1
		.amdhsa_float_round_mode_32 0
		.amdhsa_float_round_mode_16_64 0
		.amdhsa_float_denorm_mode_32 3
		.amdhsa_float_denorm_mode_16_64 3
		.amdhsa_dx10_clamp 1
		.amdhsa_ieee_mode 1
		.amdhsa_fp16_overflow 0
		.amdhsa_tg_split 0
		.amdhsa_exception_fp_ieee_invalid_op 0
		.amdhsa_exception_fp_denorm_src 0
		.amdhsa_exception_fp_ieee_div_zero 0
		.amdhsa_exception_fp_ieee_overflow 0
		.amdhsa_exception_fp_ieee_underflow 0
		.amdhsa_exception_fp_ieee_inexact 0
		.amdhsa_exception_int_div_zero 0
	.end_amdhsa_kernel
	.section	.text._ZN9rocsparseL19gtsv_LBM_rhs_kernelILj256ELj8ELj8EfEEviiiPKT2_S3_S3_PS1_S3_PKi,"axG",@progbits,_ZN9rocsparseL19gtsv_LBM_rhs_kernelILj256ELj8ELj8EfEEviiiPKT2_S3_S3_PS1_S3_PKi,comdat
.Lfunc_end31:
	.size	_ZN9rocsparseL19gtsv_LBM_rhs_kernelILj256ELj8ELj8EfEEviiiPKT2_S3_S3_PS1_S3_PKi, .Lfunc_end31-_ZN9rocsparseL19gtsv_LBM_rhs_kernelILj256ELj8ELj8EfEEviiiPKT2_S3_S3_PS1_S3_PKi
                                        ; -- End function
	.set _ZN9rocsparseL19gtsv_LBM_rhs_kernelILj256ELj8ELj8EfEEviiiPKT2_S3_S3_PS1_S3_PKi.num_vgpr, 64
	.set _ZN9rocsparseL19gtsv_LBM_rhs_kernelILj256ELj8ELj8EfEEviiiPKT2_S3_S3_PS1_S3_PKi.num_agpr, 0
	.set _ZN9rocsparseL19gtsv_LBM_rhs_kernelILj256ELj8ELj8EfEEviiiPKT2_S3_S3_PS1_S3_PKi.numbered_sgpr, 37
	.set _ZN9rocsparseL19gtsv_LBM_rhs_kernelILj256ELj8ELj8EfEEviiiPKT2_S3_S3_PS1_S3_PKi.num_named_barrier, 0
	.set _ZN9rocsparseL19gtsv_LBM_rhs_kernelILj256ELj8ELj8EfEEviiiPKT2_S3_S3_PS1_S3_PKi.private_seg_size, 0
	.set _ZN9rocsparseL19gtsv_LBM_rhs_kernelILj256ELj8ELj8EfEEviiiPKT2_S3_S3_PS1_S3_PKi.uses_vcc, 1
	.set _ZN9rocsparseL19gtsv_LBM_rhs_kernelILj256ELj8ELj8EfEEviiiPKT2_S3_S3_PS1_S3_PKi.uses_flat_scratch, 0
	.set _ZN9rocsparseL19gtsv_LBM_rhs_kernelILj256ELj8ELj8EfEEviiiPKT2_S3_S3_PS1_S3_PKi.has_dyn_sized_stack, 0
	.set _ZN9rocsparseL19gtsv_LBM_rhs_kernelILj256ELj8ELj8EfEEviiiPKT2_S3_S3_PS1_S3_PKi.has_recursion, 0
	.set _ZN9rocsparseL19gtsv_LBM_rhs_kernelILj256ELj8ELj8EfEEviiiPKT2_S3_S3_PS1_S3_PKi.has_indirect_call, 0
	.section	.AMDGPU.csdata,"",@progbits
; Kernel info:
; codeLenInByte = 3884
; TotalNumSgprs: 43
; NumVgprs: 64
; NumAgprs: 0
; TotalNumVgprs: 64
; ScratchSize: 0
; MemoryBound: 0
; FloatMode: 240
; IeeeMode: 1
; LDSByteSize: 0 bytes/workgroup (compile time only)
; SGPRBlocks: 5
; VGPRBlocks: 7
; NumSGPRsForWavesPerEU: 43
; NumVGPRsForWavesPerEU: 64
; AccumOffset: 64
; Occupancy: 8
; WaveLimiterHint : 0
; COMPUTE_PGM_RSRC2:SCRATCH_EN: 0
; COMPUTE_PGM_RSRC2:USER_SGPR: 2
; COMPUTE_PGM_RSRC2:TRAP_HANDLER: 0
; COMPUTE_PGM_RSRC2:TGID_X_EN: 1
; COMPUTE_PGM_RSRC2:TGID_Y_EN: 1
; COMPUTE_PGM_RSRC2:TGID_Z_EN: 0
; COMPUTE_PGM_RSRC2:TIDIG_COMP_CNT: 0
; COMPUTE_PGM_RSRC3_GFX90A:ACCUM_OFFSET: 15
; COMPUTE_PGM_RSRC3_GFX90A:TG_SPLIT: 0
	.section	.text._ZN9rocsparseL19gtsv_LBM_rhs_kernelILj256ELj8ELj4EfEEviiiPKT2_S3_S3_PS1_S3_PKi,"axG",@progbits,_ZN9rocsparseL19gtsv_LBM_rhs_kernelILj256ELj8ELj4EfEEviiiPKT2_S3_S3_PS1_S3_PKi,comdat
	.globl	_ZN9rocsparseL19gtsv_LBM_rhs_kernelILj256ELj8ELj4EfEEviiiPKT2_S3_S3_PS1_S3_PKi ; -- Begin function _ZN9rocsparseL19gtsv_LBM_rhs_kernelILj256ELj8ELj4EfEEviiiPKT2_S3_S3_PS1_S3_PKi
	.p2align	8
	.type	_ZN9rocsparseL19gtsv_LBM_rhs_kernelILj256ELj8ELj4EfEEviiiPKT2_S3_S3_PS1_S3_PKi,@function
_ZN9rocsparseL19gtsv_LBM_rhs_kernelILj256ELj8ELj4EfEEviiiPKT2_S3_S3_PS1_S3_PKi: ; @_ZN9rocsparseL19gtsv_LBM_rhs_kernelILj256ELj8ELj4EfEEviiiPKT2_S3_S3_PS1_S3_PKi
; %bb.0:
	s_load_dword s23, s[0:1], 0x0
	v_lshl_or_b32 v0, s2, 8, v0
	s_waitcnt lgkmcnt(0)
	s_lshr_b32 s22, s23, 3
	v_cmp_gt_i32_e32 vcc, s22, v0
	s_and_saveexec_b64 s[4:5], vcc
	s_cbranch_execz .LBB32_29
; %bb.1:
	s_load_dwordx4 s[8:11], s[0:1], 0x28
	s_load_dwordx2 s[6:7], s[0:1], 0x38
	s_cmp_lt_i32 s23, 1
	v_add_u32_e32 v12, s22, v0
	s_mul_i32 s24, s3, s23
	s_cbranch_scc1 .LBB32_21
; %bb.2:
	s_load_dwordx4 s[12:15], s[0:1], 0x10
	s_load_dwordx2 s[16:17], s[0:1], 0x20
	v_ashrrev_i32_e32 v1, 31, v0
	s_lshl_b32 s28, s24, 2
	s_add_i32 s29, s28, s23
	s_waitcnt lgkmcnt(0)
	v_lshl_add_u64 v[2:3], v[0:1], 2, s[14:15]
	global_load_dword v14, v[2:3], off
	s_add_i32 s30, s29, s23
	s_mul_i32 s25, s22, 7
	s_mul_i32 s26, s22, 6
	s_lshl_b32 s27, s22, 1
	v_add_u32_e32 v13, s22, v12
	s_add_i32 s31, s30, s23
	v_mov_b32_e32 v3, 0
	s_mov_b64 s[18:19], 0
	v_mov_b32_e32 v1, 0
	s_branch .LBB32_5
.LBB32_3:                               ;   in Loop: Header=BB32_5 Depth=1
	s_or_b64 exec, exec, s[4:5]
	v_fma_f32 v14, -v14, v20, v16
	v_mov_b32_e32 v2, s22
.LBB32_4:                               ;   in Loop: Header=BB32_5 Depth=1
	s_or_b64 exec, exec, s[2:3]
	v_add_u32_e32 v1, v2, v1
	v_cmp_le_i32_e32 vcc, s23, v1
	s_or_b64 s[18:19], vcc, s[18:19]
	s_andn2_b64 exec, exec, s[18:19]
	s_cbranch_execz .LBB32_20
.LBB32_5:                               ; =>This Inner Loop Header: Depth=1
	v_add_u32_e32 v10, v1, v0
	v_ashrrev_i32_e32 v11, 31, v10
	v_lshl_add_u64 v[4:5], v[10:11], 2, s[16:17]
	global_load_dword v18, v[4:5], off
	v_cmp_gt_u32_e64 s[0:1], s25, v1
	v_mov_b32_e32 v15, 0
	s_and_saveexec_b64 s[2:3], s[0:1]
	s_cbranch_execz .LBB32_7
; %bb.6:                                ;   in Loop: Header=BB32_5 Depth=1
	v_add_u32_e32 v4, v12, v1
	v_ashrrev_i32_e32 v5, 31, v4
	v_lshl_add_u64 v[4:5], v[4:5], 2, s[12:13]
	global_load_dword v15, v[4:5], off
.LBB32_7:                               ;   in Loop: Header=BB32_5 Depth=1
	s_or_b64 exec, exec, s[2:3]
	v_mov_b32_e32 v17, 0
	v_mov_b32_e32 v16, 0
	s_and_saveexec_b64 s[2:3], s[0:1]
	s_cbranch_execz .LBB32_9
; %bb.8:                                ;   in Loop: Header=BB32_5 Depth=1
	v_add_u32_e32 v4, v12, v1
	v_ashrrev_i32_e32 v5, 31, v4
	v_lshl_add_u64 v[4:5], v[4:5], 2, s[14:15]
	global_load_dword v16, v[4:5], off
.LBB32_9:                               ;   in Loop: Header=BB32_5 Depth=1
	s_or_b64 exec, exec, s[2:3]
	s_and_saveexec_b64 s[2:3], s[0:1]
	s_cbranch_execz .LBB32_11
; %bb.10:                               ;   in Loop: Header=BB32_5 Depth=1
	v_add_u32_e32 v4, v12, v1
	v_ashrrev_i32_e32 v5, 31, v4
	v_lshl_add_u64 v[4:5], v[4:5], 2, s[16:17]
	global_load_dword v17, v[4:5], off
.LBB32_11:                              ;   in Loop: Header=BB32_5 Depth=1
	s_or_b64 exec, exec, s[2:3]
	v_cmp_gt_u32_e64 s[2:3], s26, v1
	v_mov_b32_e32 v19, 0
	s_and_saveexec_b64 s[4:5], s[2:3]
	s_cbranch_execz .LBB32_13
; %bb.12:                               ;   in Loop: Header=BB32_5 Depth=1
	v_add_u32_e32 v4, v13, v1
	v_ashrrev_i32_e32 v5, 31, v4
	v_lshl_add_u64 v[4:5], v[4:5], 2, s[12:13]
	global_load_dword v19, v[4:5], off
.LBB32_13:                              ;   in Loop: Header=BB32_5 Depth=1
	s_or_b64 exec, exec, s[4:5]
	v_lshl_add_u64 v[4:5], v[10:11], 2, s[6:7]
	v_add_u32_e32 v2, s28, v10
	global_load_dword v20, v[4:5], off
	v_lshl_add_u64 v[4:5], v[2:3], 2, s[8:9]
	v_add_u32_e32 v2, s29, v10
	v_lshl_add_u64 v[6:7], v[2:3], 2, s[8:9]
	v_add_u32_e32 v2, s30, v10
	;; [unrolled: 2-line block ×3, first 2 shown]
	v_lshl_add_u64 v[10:11], v[2:3], 2, s[8:9]
	global_load_dword v21, v[4:5], off
	global_load_dword v22, v[6:7], off
	;; [unrolled: 1-line block ×4, first 2 shown]
	v_cmp_ne_u32_e64 s[4:5], s25, v1
	s_waitcnt vmcnt(4)
	v_cmp_ne_u32_e32 vcc, 1, v20
	s_and_b64 s[4:5], s[4:5], vcc
	v_mul_f32_e32 v20, v18, v15
	s_and_saveexec_b64 s[20:21], s[4:5]
	s_xor_b64 s[4:5], exec, s[20:21]
	s_cbranch_execz .LBB32_17
; %bb.14:                               ;   in Loop: Header=BB32_5 Depth=1
	v_add_u32_e32 v25, v12, v1
	v_add_u32_e32 v2, s28, v25
	v_lshl_add_u64 v[30:31], v[2:3], 2, s[8:9]
	v_add_u32_e32 v2, s29, v25
	v_lshl_add_u64 v[32:33], v[2:3], 2, s[8:9]
	v_add_u32_e32 v2, s30, v25
	global_load_dword v27, v[30:31], off
	global_load_dword v28, v[32:33], off
	v_lshl_add_u64 v[34:35], v[2:3], 2, s[8:9]
	v_add_u32_e32 v2, s31, v25
	global_load_dword v29, v[34:35], off
	v_lshl_add_u64 v[36:37], v[2:3], 2, s[8:9]
	global_load_dword v2, v[36:37], off
	v_fma_f32 v20, v14, v16, -v20
	v_div_scale_f32 v25, s[20:21], v20, v20, 1.0
	v_rcp_f32_e32 v26, v25
	v_div_scale_f32 v38, vcc, 1.0, v20, 1.0
	v_fma_f32 v39, -v25, v26, 1.0
	v_fmac_f32_e32 v26, v39, v26
	v_mul_f32_e32 v39, v38, v26
	v_fma_f32 v40, -v25, v39, v38
	v_fmac_f32_e32 v39, v40, v26
	v_fma_f32 v25, -v25, v39, v38
	v_div_fmas_f32 v25, v25, v26, v39
	v_div_fixup_f32 v20, v25, v20, 1.0
	s_waitcnt vmcnt(7)
	v_mul_f32_e32 v25, v20, v21
	s_waitcnt vmcnt(6)
	v_mul_f32_e32 v26, v20, v22
	;; [unrolled: 2-line block ×3, first 2 shown]
	v_mul_f32_e32 v23, v15, v25
	s_waitcnt vmcnt(4)
	v_mul_f32_e32 v22, v20, v24
	v_mul_f32_e32 v24, v15, v26
	;; [unrolled: 1-line block ×4, first 2 shown]
	s_waitcnt vmcnt(3)
	v_mul_f32_e32 v27, v20, v27
	s_waitcnt vmcnt(2)
	v_mul_f32_e32 v28, v20, v28
	v_mul_f32_e32 v40, v18, v27
	v_fma_f32 v41, v14, v27, -v23
	s_waitcnt vmcnt(1)
	v_mul_f32_e32 v23, v20, v29
	v_fma_f32 v29, v16, v25, -v40
	v_mul_f32_e32 v40, v18, v28
	v_fma_f32 v42, v14, v28, -v24
	s_waitcnt vmcnt(0)
	v_mul_f32_e32 v24, v20, v2
	global_store_dword v[4:5], v29, off
	v_fma_f32 v2, v16, v26, -v40
	v_mul_f32_e32 v4, v18, v23
	global_store_dword v[6:7], v2, off
	v_fma_f32 v2, v16, v21, -v4
	;; [unrolled: 3-line block ×3, first 2 shown]
	v_fma_f32 v5, v14, v23, -v38
	v_fma_f32 v6, v14, v24, -v39
	global_store_dword v[10:11], v2, off
	global_store_dword v[30:31], v41, off
	;; [unrolled: 1-line block ×5, first 2 shown]
	v_mov_b32_e32 v2, 0
	s_and_saveexec_b64 s[20:21], s[2:3]
	s_cbranch_execz .LBB32_16
; %bb.15:                               ;   in Loop: Header=BB32_5 Depth=1
	v_add_u32_e32 v4, v13, v1
	v_add_u32_e32 v2, s28, v4
	v_lshl_add_u64 v[6:7], v[2:3], 2, s[8:9]
	v_add_u32_e32 v2, s29, v4
	global_load_dword v16, v[6:7], off
	v_lshl_add_u64 v[8:9], v[2:3], 2, s[8:9]
	global_load_dword v18, v[8:9], off
	v_mul_f32_e32 v29, v15, v19
	v_mul_f32_e32 v19, v14, v19
	;; [unrolled: 1-line block ×4, first 2 shown]
	v_fma_f32 v25, v29, v25, -v2
	v_add_u32_e32 v2, s30, v4
	v_fma_f32 v26, v29, v26, -v10
	v_lshl_add_u64 v[10:11], v[2:3], 2, s[8:9]
	v_add_u32_e32 v2, s31, v4
	v_lshl_add_u64 v[14:15], v[2:3], 2, s[8:9]
	v_ashrrev_i32_e32 v5, 31, v4
	v_lshl_add_u64 v[4:5], v[4:5], 2, s[14:15]
	global_load_dword v4, v[4:5], off
	v_mul_f32_e32 v5, v19, v23
	v_fma_f32 v5, v29, v21, -v5
	s_waitcnt vmcnt(2)
	v_add_f32_e32 v2, v25, v16
	global_store_dword v[6:7], v2, off
	s_waitcnt vmcnt(2)
	v_add_f32_e32 v2, v26, v18
	global_store_dword v[8:9], v2, off
	global_load_dword v6, v[10:11], off
	v_mul_f32_e32 v7, v19, v24
	global_load_dword v2, v[14:15], off
	v_fma_f32 v7, v29, v22, -v7
	v_mul_f32_e32 v8, v17, v19
	s_waitcnt vmcnt(1)
	v_add_f32_e32 v5, v5, v6
	global_store_dword v[10:11], v5, off
	s_waitcnt vmcnt(1)
	v_add_f32_e32 v2, v7, v2
	global_store_dword v[14:15], v2, off
	v_fma_f32 v2, -v20, v8, v4
.LBB32_16:                              ;   in Loop: Header=BB32_5 Depth=1
	s_or_b64 exec, exec, s[20:21]
	v_mov_b32_e32 v14, v2
                                        ; implicit-def: $vgpr15
                                        ; implicit-def: $vgpr16
                                        ; implicit-def: $vgpr20
                                        ; implicit-def: $vgpr4_vgpr5
                                        ; implicit-def: $vgpr21
                                        ; implicit-def: $vgpr6_vgpr7
                                        ; implicit-def: $vgpr22
                                        ; implicit-def: $vgpr8_vgpr9
                                        ; implicit-def: $vgpr23
                                        ; implicit-def: $vgpr10_vgpr11
                                        ; implicit-def: $vgpr24
.LBB32_17:                              ;   in Loop: Header=BB32_5 Depth=1
	s_or_saveexec_b64 s[2:3], s[4:5]
	v_mov_b32_e32 v2, s27
	s_xor_b64 exec, exec, s[2:3]
	s_cbranch_execz .LBB32_4
; %bb.18:                               ;   in Loop: Header=BB32_5 Depth=1
	v_div_scale_f32 v2, s[4:5], v14, v14, 1.0
	v_rcp_f32_e32 v17, v2
	v_div_scale_f32 v18, vcc, 1.0, v14, 1.0
	v_fma_f32 v19, -v2, v17, 1.0
	v_fmac_f32_e32 v17, v19, v17
	v_mul_f32_e32 v19, v18, v17
	v_fma_f32 v25, -v2, v19, v18
	v_fmac_f32_e32 v19, v25, v17
	v_fma_f32 v2, -v2, v19, v18
	v_div_fmas_f32 v2, v2, v17, v19
	v_div_fixup_f32 v14, v2, v14, 1.0
	s_waitcnt vmcnt(3)
	v_mul_f32_e32 v21, v14, v21
	s_waitcnt vmcnt(2)
	v_mul_f32_e32 v19, v14, v22
	;; [unrolled: 2-line block ×4, first 2 shown]
	global_store_dword v[4:5], v21, off
	global_store_dword v[6:7], v19, off
	;; [unrolled: 1-line block ×4, first 2 shown]
	s_and_saveexec_b64 s[4:5], s[0:1]
	s_cbranch_execz .LBB32_3
; %bb.19:                               ;   in Loop: Header=BB32_5 Depth=1
	v_add_u32_e32 v10, v12, v1
	v_add_u32_e32 v2, s28, v10
	v_lshl_add_u64 v[4:5], v[2:3], 2, s[8:9]
	v_add_u32_e32 v2, s29, v10
	global_load_dword v22, v[4:5], off
	v_lshl_add_u64 v[6:7], v[2:3], 2, s[8:9]
	global_load_dword v23, v[6:7], off
	v_add_u32_e32 v2, s30, v10
	v_lshl_add_u64 v[8:9], v[2:3], 2, s[8:9]
	v_add_u32_e32 v2, s31, v10
	v_lshl_add_u64 v[10:11], v[2:3], 2, s[8:9]
	s_waitcnt vmcnt(1)
	v_fma_f32 v2, -v15, v21, v22
	global_store_dword v[4:5], v2, off
	s_waitcnt vmcnt(1)
	v_fma_f32 v2, -v15, v19, v23
	global_store_dword v[6:7], v2, off
	global_load_dword v4, v[8:9], off
	s_nop 0
	global_load_dword v2, v[10:11], off
	s_waitcnt vmcnt(1)
	v_fma_f32 v4, -v15, v18, v4
	global_store_dword v[8:9], v4, off
	s_waitcnt vmcnt(1)
	v_fma_f32 v2, -v15, v17, v2
	global_store_dword v[10:11], v2, off
	s_branch .LBB32_3
.LBB32_20:
	s_or_b64 exec, exec, s[18:19]
	s_branch .LBB32_22
.LBB32_21:
	v_mov_b32_e32 v1, 0
.LBB32_22:
	v_subrev_u32_e32 v1, s22, v1
	v_add_u32_e32 v2, v1, v0
	v_ashrrev_i32_e32 v3, 31, v2
	s_waitcnt lgkmcnt(0)
	v_lshl_add_u64 v[2:3], v[2:3], 2, s[6:7]
	buffer_wbl2 sc1
	s_waitcnt vmcnt(0)
	buffer_inv sc1
	global_load_dword v2, v[2:3], off
	s_waitcnt vmcnt(0)
	v_mul_lo_u32 v2, v2, s22
	v_sub_u32_e32 v1, v1, v2
	v_cmp_lt_i32_e32 vcc, -1, v1
	s_and_b64 exec, exec, vcc
	s_cbranch_execz .LBB32_29
; %bb.23:
	s_lshl_b32 s4, s24, 2
	s_add_i32 s5, s4, s23
	s_add_i32 s12, s5, s23
	s_add_i32 s13, s12, s23
	s_lshl_b32 s14, s22, 1
	s_mov_b64 s[0:1], 0
	v_mov_b32_e32 v3, 0
	s_branch .LBB32_25
.LBB32_24:                              ;   in Loop: Header=BB32_25 Depth=1
	s_or_b64 exec, exec, s[2:3]
	v_sub_u32_e32 v1, v1, v2
	v_cmp_gt_i32_e32 vcc, 0, v1
	s_or_b64 s[0:1], vcc, s[0:1]
	s_andn2_b64 exec, exec, s[0:1]
	s_cbranch_execz .LBB32_29
.LBB32_25:                              ; =>This Inner Loop Header: Depth=1
	v_add_u32_e32 v4, v1, v0
	s_waitcnt vmcnt(0)
	v_ashrrev_i32_e32 v5, 31, v4
	v_lshlrev_b64 v[6:7], 2, v[4:5]
	v_lshl_add_u64 v[8:9], s[6:7], 0, v[6:7]
	global_load_dword v2, v[8:9], off
	v_lshl_add_u64 v[6:7], s[10:11], 0, v[6:7]
	global_load_dword v5, v[6:7], off
	s_waitcnt vmcnt(1)
	v_cmp_ne_u32_e32 vcc, 1, v2
	s_and_saveexec_b64 s[2:3], vcc
	s_xor_b64 s[2:3], exec, s[2:3]
	s_cbranch_execz .LBB32_27
; %bb.26:                               ;   in Loop: Header=BB32_25 Depth=1
	v_add_u32_e32 v13, v12, v1
	v_add_u32_e32 v2, s4, v13
	v_lshl_add_u64 v[6:7], v[2:3], 2, s[8:9]
	v_add_u32_e32 v2, s5, v13
	v_lshl_add_u64 v[8:9], v[2:3], 2, s[8:9]
	;; [unrolled: 2-line block ×5, first 2 shown]
	global_load_dword v13, v[6:7], off
	global_load_dword v18, v[16:17], off
	;; [unrolled: 1-line block ×5, first 2 shown]
	v_add_u32_e32 v2, s5, v4
	v_lshl_add_u64 v[6:7], v[2:3], 2, s[8:9]
	s_waitcnt vmcnt(3)
	v_fma_f32 v2, -v5, v13, v18
	global_store_dword v[16:17], v2, off
	global_load_dword v10, v[6:7], off
	v_add_u32_e32 v2, s12, v4
	v_lshl_add_u64 v[8:9], v[2:3], 2, s[8:9]
	s_waitcnt vmcnt(0)
	v_fma_f32 v2, -v5, v19, v10
	global_store_dword v[6:7], v2, off
	global_load_dword v10, v[8:9], off
	;; [unrolled: 6-line block ×3, first 2 shown]
	v_subrev_u32_e32 v2, s22, v1
	v_add_u32_e32 v8, v2, v0
	v_ashrrev_i32_e32 v9, 31, v8
	v_lshl_add_u64 v[10:11], v[8:9], 2, s[10:11]
	v_add_u32_e32 v2, s4, v8
	global_load_dword v9, v[10:11], off
	v_lshl_add_u64 v[10:11], v[2:3], 2, s[8:9]
	s_waitcnt vmcnt(1)
	v_fma_f32 v2, -v5, v21, v4
	global_store_dword v[6:7], v2, off
	global_load_dword v6, v[10:11], off
	v_add_u32_e32 v2, s5, v8
	v_lshl_add_u64 v[4:5], v[2:3], 2, s[8:9]
	s_waitcnt vmcnt(0)
	v_fma_f32 v2, -v9, v13, v6
	global_store_dword v[10:11], v2, off
	global_load_dword v10, v[4:5], off
	v_add_u32_e32 v2, s12, v8
	;; [unrolled: 6-line block ×3, first 2 shown]
	s_waitcnt vmcnt(0)
	v_fma_f32 v4, -v9, v20, v4
	global_store_dword v[6:7], v4, off
	v_lshl_add_u64 v[4:5], v[2:3], 2, s[8:9]
	global_load_dword v2, v[4:5], off
	s_waitcnt vmcnt(0)
	v_fma_f32 v2, -v9, v21, v2
	global_store_dword v[4:5], v2, off
                                        ; implicit-def: $vgpr4
                                        ; implicit-def: $vgpr5
.LBB32_27:                              ;   in Loop: Header=BB32_25 Depth=1
	s_or_saveexec_b64 s[2:3], s[2:3]
	v_mov_b32_e32 v2, s14
	s_xor_b64 exec, exec, s[2:3]
	s_cbranch_execz .LBB32_24
; %bb.28:                               ;   in Loop: Header=BB32_25 Depth=1
	v_add_u32_e32 v13, v12, v1
	v_add_u32_e32 v2, s4, v13
	v_lshl_add_u64 v[6:7], v[2:3], 2, s[8:9]
	v_add_u32_e32 v2, s4, v4
	v_lshl_add_u64 v[8:9], v[2:3], 2, s[8:9]
	global_load_dword v14, v[6:7], off
	global_load_dword v15, v[8:9], off
	v_add_u32_e32 v2, s5, v13
	v_lshl_add_u64 v[6:7], v[2:3], 2, s[8:9]
	v_add_u32_e32 v2, s5, v4
	v_lshl_add_u64 v[10:11], v[2:3], 2, s[8:9]
	s_waitcnt vmcnt(0)
	v_fma_f32 v2, -v5, v14, v15
	global_store_dword v[8:9], v2, off
	global_load_dword v14, v[6:7], off
	global_load_dword v15, v[10:11], off
	v_add_u32_e32 v2, s12, v13
	v_lshl_add_u64 v[6:7], v[2:3], 2, s[8:9]
	v_add_u32_e32 v2, s12, v4
	v_lshl_add_u64 v[8:9], v[2:3], 2, s[8:9]
	s_waitcnt vmcnt(0)
	v_fma_f32 v2, -v5, v14, v15
	global_store_dword v[10:11], v2, off
	;; [unrolled: 9-line block ×3, first 2 shown]
	global_load_dword v2, v[6:7], off
	s_nop 0
	global_load_dword v4, v[10:11], off
	s_waitcnt vmcnt(0)
	v_fma_f32 v2, -v5, v2, v4
	global_store_dword v[10:11], v2, off
	v_mov_b32_e32 v2, s22
	s_branch .LBB32_24
.LBB32_29:
	s_endpgm
	.section	.rodata,"a",@progbits
	.p2align	6, 0x0
	.amdhsa_kernel _ZN9rocsparseL19gtsv_LBM_rhs_kernelILj256ELj8ELj4EfEEviiiPKT2_S3_S3_PS1_S3_PKi
		.amdhsa_group_segment_fixed_size 0
		.amdhsa_private_segment_fixed_size 0
		.amdhsa_kernarg_size 64
		.amdhsa_user_sgpr_count 2
		.amdhsa_user_sgpr_dispatch_ptr 0
		.amdhsa_user_sgpr_queue_ptr 0
		.amdhsa_user_sgpr_kernarg_segment_ptr 1
		.amdhsa_user_sgpr_dispatch_id 0
		.amdhsa_user_sgpr_kernarg_preload_length 0
		.amdhsa_user_sgpr_kernarg_preload_offset 0
		.amdhsa_user_sgpr_private_segment_size 0
		.amdhsa_uses_dynamic_stack 0
		.amdhsa_enable_private_segment 0
		.amdhsa_system_sgpr_workgroup_id_x 1
		.amdhsa_system_sgpr_workgroup_id_y 1
		.amdhsa_system_sgpr_workgroup_id_z 0
		.amdhsa_system_sgpr_workgroup_info 0
		.amdhsa_system_vgpr_workitem_id 0
		.amdhsa_next_free_vgpr 43
		.amdhsa_next_free_sgpr 32
		.amdhsa_accum_offset 44
		.amdhsa_reserve_vcc 1
		.amdhsa_float_round_mode_32 0
		.amdhsa_float_round_mode_16_64 0
		.amdhsa_float_denorm_mode_32 3
		.amdhsa_float_denorm_mode_16_64 3
		.amdhsa_dx10_clamp 1
		.amdhsa_ieee_mode 1
		.amdhsa_fp16_overflow 0
		.amdhsa_tg_split 0
		.amdhsa_exception_fp_ieee_invalid_op 0
		.amdhsa_exception_fp_denorm_src 0
		.amdhsa_exception_fp_ieee_div_zero 0
		.amdhsa_exception_fp_ieee_overflow 0
		.amdhsa_exception_fp_ieee_underflow 0
		.amdhsa_exception_fp_ieee_inexact 0
		.amdhsa_exception_int_div_zero 0
	.end_amdhsa_kernel
	.section	.text._ZN9rocsparseL19gtsv_LBM_rhs_kernelILj256ELj8ELj4EfEEviiiPKT2_S3_S3_PS1_S3_PKi,"axG",@progbits,_ZN9rocsparseL19gtsv_LBM_rhs_kernelILj256ELj8ELj4EfEEviiiPKT2_S3_S3_PS1_S3_PKi,comdat
.Lfunc_end32:
	.size	_ZN9rocsparseL19gtsv_LBM_rhs_kernelILj256ELj8ELj4EfEEviiiPKT2_S3_S3_PS1_S3_PKi, .Lfunc_end32-_ZN9rocsparseL19gtsv_LBM_rhs_kernelILj256ELj8ELj4EfEEviiiPKT2_S3_S3_PS1_S3_PKi
                                        ; -- End function
	.set _ZN9rocsparseL19gtsv_LBM_rhs_kernelILj256ELj8ELj4EfEEviiiPKT2_S3_S3_PS1_S3_PKi.num_vgpr, 43
	.set _ZN9rocsparseL19gtsv_LBM_rhs_kernelILj256ELj8ELj4EfEEviiiPKT2_S3_S3_PS1_S3_PKi.num_agpr, 0
	.set _ZN9rocsparseL19gtsv_LBM_rhs_kernelILj256ELj8ELj4EfEEviiiPKT2_S3_S3_PS1_S3_PKi.numbered_sgpr, 32
	.set _ZN9rocsparseL19gtsv_LBM_rhs_kernelILj256ELj8ELj4EfEEviiiPKT2_S3_S3_PS1_S3_PKi.num_named_barrier, 0
	.set _ZN9rocsparseL19gtsv_LBM_rhs_kernelILj256ELj8ELj4EfEEviiiPKT2_S3_S3_PS1_S3_PKi.private_seg_size, 0
	.set _ZN9rocsparseL19gtsv_LBM_rhs_kernelILj256ELj8ELj4EfEEviiiPKT2_S3_S3_PS1_S3_PKi.uses_vcc, 1
	.set _ZN9rocsparseL19gtsv_LBM_rhs_kernelILj256ELj8ELj4EfEEviiiPKT2_S3_S3_PS1_S3_PKi.uses_flat_scratch, 0
	.set _ZN9rocsparseL19gtsv_LBM_rhs_kernelILj256ELj8ELj4EfEEviiiPKT2_S3_S3_PS1_S3_PKi.has_dyn_sized_stack, 0
	.set _ZN9rocsparseL19gtsv_LBM_rhs_kernelILj256ELj8ELj4EfEEviiiPKT2_S3_S3_PS1_S3_PKi.has_recursion, 0
	.set _ZN9rocsparseL19gtsv_LBM_rhs_kernelILj256ELj8ELj4EfEEviiiPKT2_S3_S3_PS1_S3_PKi.has_indirect_call, 0
	.section	.AMDGPU.csdata,"",@progbits
; Kernel info:
; codeLenInByte = 2432
; TotalNumSgprs: 38
; NumVgprs: 43
; NumAgprs: 0
; TotalNumVgprs: 43
; ScratchSize: 0
; MemoryBound: 0
; FloatMode: 240
; IeeeMode: 1
; LDSByteSize: 0 bytes/workgroup (compile time only)
; SGPRBlocks: 4
; VGPRBlocks: 5
; NumSGPRsForWavesPerEU: 38
; NumVGPRsForWavesPerEU: 43
; AccumOffset: 44
; Occupancy: 8
; WaveLimiterHint : 0
; COMPUTE_PGM_RSRC2:SCRATCH_EN: 0
; COMPUTE_PGM_RSRC2:USER_SGPR: 2
; COMPUTE_PGM_RSRC2:TRAP_HANDLER: 0
; COMPUTE_PGM_RSRC2:TGID_X_EN: 1
; COMPUTE_PGM_RSRC2:TGID_Y_EN: 1
; COMPUTE_PGM_RSRC2:TGID_Z_EN: 0
; COMPUTE_PGM_RSRC2:TIDIG_COMP_CNT: 0
; COMPUTE_PGM_RSRC3_GFX90A:ACCUM_OFFSET: 10
; COMPUTE_PGM_RSRC3_GFX90A:TG_SPLIT: 0
	.section	.text._ZN9rocsparseL19gtsv_LBM_rhs_kernelILj256ELj8ELj2EfEEviiiPKT2_S3_S3_PS1_S3_PKi,"axG",@progbits,_ZN9rocsparseL19gtsv_LBM_rhs_kernelILj256ELj8ELj2EfEEviiiPKT2_S3_S3_PS1_S3_PKi,comdat
	.globl	_ZN9rocsparseL19gtsv_LBM_rhs_kernelILj256ELj8ELj2EfEEviiiPKT2_S3_S3_PS1_S3_PKi ; -- Begin function _ZN9rocsparseL19gtsv_LBM_rhs_kernelILj256ELj8ELj2EfEEviiiPKT2_S3_S3_PS1_S3_PKi
	.p2align	8
	.type	_ZN9rocsparseL19gtsv_LBM_rhs_kernelILj256ELj8ELj2EfEEviiiPKT2_S3_S3_PS1_S3_PKi,@function
_ZN9rocsparseL19gtsv_LBM_rhs_kernelILj256ELj8ELj2EfEEviiiPKT2_S3_S3_PS1_S3_PKi: ; @_ZN9rocsparseL19gtsv_LBM_rhs_kernelILj256ELj8ELj2EfEEviiiPKT2_S3_S3_PS1_S3_PKi
; %bb.0:
	s_load_dword s23, s[0:1], 0x0
	v_lshl_or_b32 v0, s2, 8, v0
	s_waitcnt lgkmcnt(0)
	s_lshr_b32 s22, s23, 3
	v_cmp_gt_i32_e32 vcc, s22, v0
	s_and_saveexec_b64 s[4:5], vcc
	s_cbranch_execz .LBB33_29
; %bb.1:
	s_load_dwordx4 s[8:11], s[0:1], 0x28
	s_load_dwordx2 s[6:7], s[0:1], 0x38
	s_cmp_lt_i32 s23, 1
	v_add_u32_e32 v8, s22, v0
	s_mul_i32 s24, s3, s23
	s_cbranch_scc1 .LBB33_21
; %bb.2:
	s_load_dwordx4 s[12:15], s[0:1], 0x10
	s_load_dwordx2 s[16:17], s[0:1], 0x20
	v_ashrrev_i32_e32 v1, 31, v0
	s_lshl_b32 s28, s24, 1
	s_mul_i32 s25, s22, 7
	s_waitcnt lgkmcnt(0)
	v_lshl_add_u64 v[2:3], v[0:1], 2, s[14:15]
	global_load_dword v10, v[2:3], off
	s_mul_i32 s26, s22, 6
	s_lshl_b32 s27, s22, 1
	v_add_u32_e32 v9, s22, v8
	s_add_i32 s29, s28, s23
	v_mov_b32_e32 v3, 0
	s_mov_b64 s[18:19], 0
	v_mov_b32_e32 v1, 0
	s_branch .LBB33_5
.LBB33_3:                               ;   in Loop: Header=BB33_5 Depth=1
	s_or_b64 exec, exec, s[4:5]
	v_fma_f32 v10, -v10, v16, v12
	v_mov_b32_e32 v2, s22
.LBB33_4:                               ;   in Loop: Header=BB33_5 Depth=1
	s_or_b64 exec, exec, s[2:3]
	v_add_u32_e32 v1, v2, v1
	v_cmp_le_i32_e32 vcc, s23, v1
	s_or_b64 s[18:19], vcc, s[18:19]
	s_andn2_b64 exec, exec, s[18:19]
	s_cbranch_execz .LBB33_20
.LBB33_5:                               ; =>This Inner Loop Header: Depth=1
	v_add_u32_e32 v6, v1, v0
	v_ashrrev_i32_e32 v7, 31, v6
	v_lshl_add_u64 v[4:5], v[6:7], 2, s[16:17]
	global_load_dword v14, v[4:5], off
	v_cmp_gt_u32_e64 s[0:1], s25, v1
	v_mov_b32_e32 v11, 0
	s_and_saveexec_b64 s[2:3], s[0:1]
	s_cbranch_execz .LBB33_7
; %bb.6:                                ;   in Loop: Header=BB33_5 Depth=1
	v_add_u32_e32 v4, v8, v1
	v_ashrrev_i32_e32 v5, 31, v4
	v_lshl_add_u64 v[4:5], v[4:5], 2, s[12:13]
	global_load_dword v11, v[4:5], off
.LBB33_7:                               ;   in Loop: Header=BB33_5 Depth=1
	s_or_b64 exec, exec, s[2:3]
	v_mov_b32_e32 v13, 0
	v_mov_b32_e32 v12, 0
	s_and_saveexec_b64 s[2:3], s[0:1]
	s_cbranch_execz .LBB33_9
; %bb.8:                                ;   in Loop: Header=BB33_5 Depth=1
	v_add_u32_e32 v4, v8, v1
	v_ashrrev_i32_e32 v5, 31, v4
	v_lshl_add_u64 v[4:5], v[4:5], 2, s[14:15]
	global_load_dword v12, v[4:5], off
.LBB33_9:                               ;   in Loop: Header=BB33_5 Depth=1
	s_or_b64 exec, exec, s[2:3]
	s_and_saveexec_b64 s[2:3], s[0:1]
	s_cbranch_execz .LBB33_11
; %bb.10:                               ;   in Loop: Header=BB33_5 Depth=1
	v_add_u32_e32 v4, v8, v1
	v_ashrrev_i32_e32 v5, 31, v4
	v_lshl_add_u64 v[4:5], v[4:5], 2, s[16:17]
	global_load_dword v13, v[4:5], off
.LBB33_11:                              ;   in Loop: Header=BB33_5 Depth=1
	s_or_b64 exec, exec, s[2:3]
	v_cmp_gt_u32_e64 s[2:3], s26, v1
	v_mov_b32_e32 v15, 0
	s_and_saveexec_b64 s[4:5], s[2:3]
	s_cbranch_execz .LBB33_13
; %bb.12:                               ;   in Loop: Header=BB33_5 Depth=1
	v_add_u32_e32 v4, v9, v1
	v_ashrrev_i32_e32 v5, 31, v4
	v_lshl_add_u64 v[4:5], v[4:5], 2, s[12:13]
	global_load_dword v15, v[4:5], off
.LBB33_13:                              ;   in Loop: Header=BB33_5 Depth=1
	s_or_b64 exec, exec, s[4:5]
	v_lshl_add_u64 v[4:5], v[6:7], 2, s[6:7]
	global_load_dword v16, v[4:5], off
	v_add_u32_e32 v2, s28, v6
	v_lshl_add_u64 v[4:5], v[2:3], 2, s[8:9]
	v_add_u32_e32 v2, s29, v6
	v_lshl_add_u64 v[6:7], v[2:3], 2, s[8:9]
	global_load_dword v17, v[4:5], off
	global_load_dword v18, v[6:7], off
	v_cmp_ne_u32_e32 vcc, s25, v1
	s_waitcnt vmcnt(2)
	v_cmp_ne_u32_e64 s[4:5], 1, v16
	s_and_b64 s[4:5], vcc, s[4:5]
	v_mul_f32_e32 v16, v14, v11
	s_and_saveexec_b64 s[20:21], s[4:5]
	s_xor_b64 s[4:5], exec, s[20:21]
	s_cbranch_execz .LBB33_17
; %bb.14:                               ;   in Loop: Header=BB33_5 Depth=1
	v_add_u32_e32 v19, v8, v1
	v_add_u32_e32 v2, s28, v19
	v_lshl_add_u64 v[22:23], v[2:3], 2, s[8:9]
	v_add_u32_e32 v2, s29, v19
	v_lshl_add_u64 v[24:25], v[2:3], 2, s[8:9]
	global_load_dword v2, v[22:23], off
	global_load_dword v20, v[24:25], off
	v_fma_f32 v16, v10, v12, -v16
	v_div_scale_f32 v19, s[20:21], v16, v16, 1.0
	v_rcp_f32_e32 v21, v19
	v_div_scale_f32 v26, vcc, 1.0, v16, 1.0
	v_fma_f32 v27, -v19, v21, 1.0
	v_fmac_f32_e32 v21, v27, v21
	v_mul_f32_e32 v27, v26, v21
	v_fma_f32 v28, -v19, v27, v26
	v_fmac_f32_e32 v27, v28, v21
	v_fma_f32 v19, -v19, v27, v26
	v_div_fmas_f32 v19, v19, v21, v27
	v_div_fixup_f32 v16, v19, v16, 1.0
	s_waitcnt vmcnt(3)
	v_mul_f32_e32 v17, v16, v17
	s_waitcnt vmcnt(2)
	v_mul_f32_e32 v18, v16, v18
	v_mul_f32_e32 v21, v11, v17
	;; [unrolled: 1-line block ×3, first 2 shown]
	s_waitcnt vmcnt(1)
	v_mul_f32_e32 v19, v16, v2
	s_waitcnt vmcnt(0)
	v_mul_f32_e32 v20, v16, v20
	v_mul_f32_e32 v2, v14, v19
	v_fma_f32 v2, v12, v17, -v2
	v_mul_f32_e32 v14, v14, v20
	global_store_dword v[4:5], v2, off
	v_fma_f32 v2, v12, v18, -v14
	v_fma_f32 v21, v10, v19, -v21
	;; [unrolled: 1-line block ×3, first 2 shown]
	global_store_dword v[6:7], v2, off
	global_store_dword v[22:23], v21, off
	;; [unrolled: 1-line block ×3, first 2 shown]
	v_mov_b32_e32 v2, 0
	s_and_saveexec_b64 s[20:21], s[2:3]
	s_cbranch_execz .LBB33_16
; %bb.15:                               ;   in Loop: Header=BB33_5 Depth=1
	v_add_u32_e32 v4, v9, v1
	v_add_u32_e32 v2, s28, v4
	v_lshl_add_u64 v[6:7], v[2:3], 2, s[8:9]
	v_add_u32_e32 v2, s29, v4
	v_ashrrev_i32_e32 v5, 31, v4
	v_lshl_add_u64 v[22:23], v[2:3], 2, s[8:9]
	global_load_dword v2, v[6:7], off
	global_load_dword v12, v[22:23], off
	v_lshl_add_u64 v[4:5], v[4:5], 2, s[14:15]
	global_load_dword v4, v[4:5], off
	v_mul_f32_e32 v10, v10, v15
	v_mul_f32_e32 v5, v11, v15
	;; [unrolled: 1-line block ×4, first 2 shown]
	v_fma_f32 v11, v5, v17, -v11
	v_fma_f32 v5, v5, v18, -v14
	v_mul_f32_e32 v10, v13, v10
	s_waitcnt vmcnt(2)
	v_add_f32_e32 v2, v11, v2
	global_store_dword v[6:7], v2, off
	s_waitcnt vmcnt(2)
	v_add_f32_e32 v2, v5, v12
	global_store_dword v[22:23], v2, off
	s_waitcnt vmcnt(2)
	v_fma_f32 v2, -v16, v10, v4
.LBB33_16:                              ;   in Loop: Header=BB33_5 Depth=1
	s_or_b64 exec, exec, s[20:21]
	v_mov_b32_e32 v10, v2
                                        ; implicit-def: $vgpr16
                                        ; implicit-def: $vgpr12
                                        ; implicit-def: $vgpr17
                                        ; implicit-def: $vgpr18
                                        ; implicit-def: $vgpr4_vgpr5
                                        ; implicit-def: $vgpr6_vgpr7
                                        ; implicit-def: $vgpr11
.LBB33_17:                              ;   in Loop: Header=BB33_5 Depth=1
	s_or_saveexec_b64 s[2:3], s[4:5]
	v_mov_b32_e32 v2, s27
	s_xor_b64 exec, exec, s[2:3]
	s_cbranch_execz .LBB33_4
; %bb.18:                               ;   in Loop: Header=BB33_5 Depth=1
	v_div_scale_f32 v2, s[4:5], v10, v10, 1.0
	v_rcp_f32_e32 v13, v2
	v_div_scale_f32 v14, vcc, 1.0, v10, 1.0
	v_fma_f32 v15, -v2, v13, 1.0
	v_fmac_f32_e32 v13, v15, v13
	v_mul_f32_e32 v15, v14, v13
	v_fma_f32 v19, -v2, v15, v14
	v_fmac_f32_e32 v15, v19, v13
	v_fma_f32 v2, -v2, v15, v14
	v_div_fmas_f32 v2, v2, v13, v15
	v_div_fixup_f32 v10, v2, v10, 1.0
	s_waitcnt vmcnt(1)
	v_mul_f32_e32 v14, v10, v17
	s_waitcnt vmcnt(0)
	v_mul_f32_e32 v13, v10, v18
	global_store_dword v[4:5], v14, off
	global_store_dword v[6:7], v13, off
	s_and_saveexec_b64 s[4:5], s[0:1]
	s_cbranch_execz .LBB33_3
; %bb.19:                               ;   in Loop: Header=BB33_5 Depth=1
	v_add_u32_e32 v6, v8, v1
	v_add_u32_e32 v2, s28, v6
	v_lshl_add_u64 v[4:5], v[2:3], 2, s[8:9]
	v_add_u32_e32 v2, s29, v6
	v_lshl_add_u64 v[6:7], v[2:3], 2, s[8:9]
	global_load_dword v15, v[4:5], off
	global_load_dword v2, v[6:7], off
	s_waitcnt vmcnt(1)
	v_fma_f32 v14, -v11, v14, v15
	s_waitcnt vmcnt(0)
	v_fma_f32 v2, -v11, v13, v2
	global_store_dword v[4:5], v14, off
	global_store_dword v[6:7], v2, off
	s_branch .LBB33_3
.LBB33_20:
	s_or_b64 exec, exec, s[18:19]
	s_branch .LBB33_22
.LBB33_21:
	v_mov_b32_e32 v1, 0
.LBB33_22:
	v_subrev_u32_e32 v1, s22, v1
	v_add_u32_e32 v2, v1, v0
	v_ashrrev_i32_e32 v3, 31, v2
	s_waitcnt lgkmcnt(0)
	v_lshl_add_u64 v[2:3], v[2:3], 2, s[6:7]
	buffer_wbl2 sc1
	s_waitcnt vmcnt(0)
	buffer_inv sc1
	global_load_dword v2, v[2:3], off
	s_waitcnt vmcnt(0)
	v_mul_lo_u32 v2, v2, s22
	v_sub_u32_e32 v1, v1, v2
	v_cmp_lt_i32_e32 vcc, -1, v1
	s_and_b64 exec, exec, vcc
	s_cbranch_execz .LBB33_29
; %bb.23:
	s_lshl_b32 s4, s24, 1
	s_add_i32 s5, s4, s23
	s_lshl_b32 s12, s22, 1
	s_mov_b64 s[0:1], 0
	v_mov_b32_e32 v3, 0
	s_branch .LBB33_25
.LBB33_24:                              ;   in Loop: Header=BB33_25 Depth=1
	s_or_b64 exec, exec, s[2:3]
	v_sub_u32_e32 v1, v1, v2
	v_cmp_gt_i32_e32 vcc, 0, v1
	s_or_b64 s[0:1], vcc, s[0:1]
	s_andn2_b64 exec, exec, s[0:1]
	s_cbranch_execz .LBB33_29
.LBB33_25:                              ; =>This Inner Loop Header: Depth=1
	v_add_u32_e32 v4, v1, v0
	s_waitcnt vmcnt(0)
	v_ashrrev_i32_e32 v5, 31, v4
	v_lshlrev_b64 v[6:7], 2, v[4:5]
	v_lshl_add_u64 v[10:11], s[6:7], 0, v[6:7]
	global_load_dword v2, v[10:11], off
	v_lshl_add_u64 v[6:7], s[10:11], 0, v[6:7]
	global_load_dword v5, v[6:7], off
	s_waitcnt vmcnt(1)
	v_cmp_ne_u32_e32 vcc, 1, v2
	s_and_saveexec_b64 s[2:3], vcc
	s_xor_b64 s[2:3], exec, s[2:3]
	s_cbranch_execz .LBB33_27
; %bb.26:                               ;   in Loop: Header=BB33_25 Depth=1
	v_add_u32_e32 v9, v8, v1
	v_add_u32_e32 v2, s4, v9
	v_lshl_add_u64 v[6:7], v[2:3], 2, s[8:9]
	v_add_u32_e32 v2, s5, v9
	v_lshl_add_u64 v[10:11], v[2:3], 2, s[8:9]
	;; [unrolled: 2-line block ×3, first 2 shown]
	global_load_dword v9, v[6:7], off
	global_load_dword v14, v[12:13], off
	;; [unrolled: 1-line block ×3, first 2 shown]
	v_add_u32_e32 v2, s5, v4
	v_lshl_add_u64 v[6:7], v[2:3], 2, s[8:9]
	s_waitcnt vmcnt(1)
	v_fma_f32 v2, -v5, v9, v14
	global_store_dword v[12:13], v2, off
	global_load_dword v4, v[6:7], off
	v_subrev_u32_e32 v2, s22, v1
	v_add_u32_e32 v10, v2, v0
	v_ashrrev_i32_e32 v11, 31, v10
	v_lshl_add_u64 v[12:13], v[10:11], 2, s[10:11]
	v_add_u32_e32 v2, s4, v10
	global_load_dword v11, v[12:13], off
	v_lshl_add_u64 v[12:13], v[2:3], 2, s[8:9]
	s_waitcnt vmcnt(1)
	v_fma_f32 v2, -v5, v15, v4
	global_store_dword v[6:7], v2, off
	global_load_dword v4, v[12:13], off
	v_add_u32_e32 v2, s5, v10
	s_waitcnt vmcnt(0)
	v_fma_f32 v4, -v11, v9, v4
	global_store_dword v[12:13], v4, off
	v_lshl_add_u64 v[4:5], v[2:3], 2, s[8:9]
	global_load_dword v2, v[4:5], off
	s_waitcnt vmcnt(0)
	v_fma_f32 v2, -v11, v15, v2
	global_store_dword v[4:5], v2, off
                                        ; implicit-def: $vgpr4
                                        ; implicit-def: $vgpr5
.LBB33_27:                              ;   in Loop: Header=BB33_25 Depth=1
	s_or_saveexec_b64 s[2:3], s[2:3]
	v_mov_b32_e32 v2, s12
	s_xor_b64 exec, exec, s[2:3]
	s_cbranch_execz .LBB33_24
; %bb.28:                               ;   in Loop: Header=BB33_25 Depth=1
	v_add_u32_e32 v9, v8, v1
	v_add_u32_e32 v2, s4, v9
	v_lshl_add_u64 v[6:7], v[2:3], 2, s[8:9]
	v_add_u32_e32 v2, s4, v4
	v_lshl_add_u64 v[10:11], v[2:3], 2, s[8:9]
	global_load_dword v14, v[6:7], off
	global_load_dword v15, v[10:11], off
	v_add_u32_e32 v2, s5, v9
	v_lshl_add_u64 v[6:7], v[2:3], 2, s[8:9]
	v_add_u32_e32 v2, s5, v4
	v_lshl_add_u64 v[12:13], v[2:3], 2, s[8:9]
	s_waitcnt vmcnt(0)
	v_fma_f32 v2, -v5, v14, v15
	global_store_dword v[10:11], v2, off
	global_load_dword v2, v[6:7], off
	s_nop 0
	global_load_dword v4, v[12:13], off
	s_waitcnt vmcnt(0)
	v_fma_f32 v2, -v5, v2, v4
	global_store_dword v[12:13], v2, off
	v_mov_b32_e32 v2, s22
	s_branch .LBB33_24
.LBB33_29:
	s_endpgm
	.section	.rodata,"a",@progbits
	.p2align	6, 0x0
	.amdhsa_kernel _ZN9rocsparseL19gtsv_LBM_rhs_kernelILj256ELj8ELj2EfEEviiiPKT2_S3_S3_PS1_S3_PKi
		.amdhsa_group_segment_fixed_size 0
		.amdhsa_private_segment_fixed_size 0
		.amdhsa_kernarg_size 64
		.amdhsa_user_sgpr_count 2
		.amdhsa_user_sgpr_dispatch_ptr 0
		.amdhsa_user_sgpr_queue_ptr 0
		.amdhsa_user_sgpr_kernarg_segment_ptr 1
		.amdhsa_user_sgpr_dispatch_id 0
		.amdhsa_user_sgpr_kernarg_preload_length 0
		.amdhsa_user_sgpr_kernarg_preload_offset 0
		.amdhsa_user_sgpr_private_segment_size 0
		.amdhsa_uses_dynamic_stack 0
		.amdhsa_enable_private_segment 0
		.amdhsa_system_sgpr_workgroup_id_x 1
		.amdhsa_system_sgpr_workgroup_id_y 1
		.amdhsa_system_sgpr_workgroup_id_z 0
		.amdhsa_system_sgpr_workgroup_info 0
		.amdhsa_system_vgpr_workitem_id 0
		.amdhsa_next_free_vgpr 29
		.amdhsa_next_free_sgpr 30
		.amdhsa_accum_offset 32
		.amdhsa_reserve_vcc 1
		.amdhsa_float_round_mode_32 0
		.amdhsa_float_round_mode_16_64 0
		.amdhsa_float_denorm_mode_32 3
		.amdhsa_float_denorm_mode_16_64 3
		.amdhsa_dx10_clamp 1
		.amdhsa_ieee_mode 1
		.amdhsa_fp16_overflow 0
		.amdhsa_tg_split 0
		.amdhsa_exception_fp_ieee_invalid_op 0
		.amdhsa_exception_fp_denorm_src 0
		.amdhsa_exception_fp_ieee_div_zero 0
		.amdhsa_exception_fp_ieee_overflow 0
		.amdhsa_exception_fp_ieee_underflow 0
		.amdhsa_exception_fp_ieee_inexact 0
		.amdhsa_exception_int_div_zero 0
	.end_amdhsa_kernel
	.section	.text._ZN9rocsparseL19gtsv_LBM_rhs_kernelILj256ELj8ELj2EfEEviiiPKT2_S3_S3_PS1_S3_PKi,"axG",@progbits,_ZN9rocsparseL19gtsv_LBM_rhs_kernelILj256ELj8ELj2EfEEviiiPKT2_S3_S3_PS1_S3_PKi,comdat
.Lfunc_end33:
	.size	_ZN9rocsparseL19gtsv_LBM_rhs_kernelILj256ELj8ELj2EfEEviiiPKT2_S3_S3_PS1_S3_PKi, .Lfunc_end33-_ZN9rocsparseL19gtsv_LBM_rhs_kernelILj256ELj8ELj2EfEEviiiPKT2_S3_S3_PS1_S3_PKi
                                        ; -- End function
	.set _ZN9rocsparseL19gtsv_LBM_rhs_kernelILj256ELj8ELj2EfEEviiiPKT2_S3_S3_PS1_S3_PKi.num_vgpr, 29
	.set _ZN9rocsparseL19gtsv_LBM_rhs_kernelILj256ELj8ELj2EfEEviiiPKT2_S3_S3_PS1_S3_PKi.num_agpr, 0
	.set _ZN9rocsparseL19gtsv_LBM_rhs_kernelILj256ELj8ELj2EfEEviiiPKT2_S3_S3_PS1_S3_PKi.numbered_sgpr, 30
	.set _ZN9rocsparseL19gtsv_LBM_rhs_kernelILj256ELj8ELj2EfEEviiiPKT2_S3_S3_PS1_S3_PKi.num_named_barrier, 0
	.set _ZN9rocsparseL19gtsv_LBM_rhs_kernelILj256ELj8ELj2EfEEviiiPKT2_S3_S3_PS1_S3_PKi.private_seg_size, 0
	.set _ZN9rocsparseL19gtsv_LBM_rhs_kernelILj256ELj8ELj2EfEEviiiPKT2_S3_S3_PS1_S3_PKi.uses_vcc, 1
	.set _ZN9rocsparseL19gtsv_LBM_rhs_kernelILj256ELj8ELj2EfEEviiiPKT2_S3_S3_PS1_S3_PKi.uses_flat_scratch, 0
	.set _ZN9rocsparseL19gtsv_LBM_rhs_kernelILj256ELj8ELj2EfEEviiiPKT2_S3_S3_PS1_S3_PKi.has_dyn_sized_stack, 0
	.set _ZN9rocsparseL19gtsv_LBM_rhs_kernelILj256ELj8ELj2EfEEviiiPKT2_S3_S3_PS1_S3_PKi.has_recursion, 0
	.set _ZN9rocsparseL19gtsv_LBM_rhs_kernelILj256ELj8ELj2EfEEviiiPKT2_S3_S3_PS1_S3_PKi.has_indirect_call, 0
	.section	.AMDGPU.csdata,"",@progbits
; Kernel info:
; codeLenInByte = 1696
; TotalNumSgprs: 36
; NumVgprs: 29
; NumAgprs: 0
; TotalNumVgprs: 29
; ScratchSize: 0
; MemoryBound: 0
; FloatMode: 240
; IeeeMode: 1
; LDSByteSize: 0 bytes/workgroup (compile time only)
; SGPRBlocks: 4
; VGPRBlocks: 3
; NumSGPRsForWavesPerEU: 36
; NumVGPRsForWavesPerEU: 29
; AccumOffset: 32
; Occupancy: 8
; WaveLimiterHint : 0
; COMPUTE_PGM_RSRC2:SCRATCH_EN: 0
; COMPUTE_PGM_RSRC2:USER_SGPR: 2
; COMPUTE_PGM_RSRC2:TRAP_HANDLER: 0
; COMPUTE_PGM_RSRC2:TGID_X_EN: 1
; COMPUTE_PGM_RSRC2:TGID_Y_EN: 1
; COMPUTE_PGM_RSRC2:TGID_Z_EN: 0
; COMPUTE_PGM_RSRC2:TIDIG_COMP_CNT: 0
; COMPUTE_PGM_RSRC3_GFX90A:ACCUM_OFFSET: 7
; COMPUTE_PGM_RSRC3_GFX90A:TG_SPLIT: 0
	.section	.text._ZN9rocsparseL19gtsv_LBM_rhs_kernelILj256ELj8ELj1EfEEviiiPKT2_S3_S3_PS1_S3_PKi,"axG",@progbits,_ZN9rocsparseL19gtsv_LBM_rhs_kernelILj256ELj8ELj1EfEEviiiPKT2_S3_S3_PS1_S3_PKi,comdat
	.globl	_ZN9rocsparseL19gtsv_LBM_rhs_kernelILj256ELj8ELj1EfEEviiiPKT2_S3_S3_PS1_S3_PKi ; -- Begin function _ZN9rocsparseL19gtsv_LBM_rhs_kernelILj256ELj8ELj1EfEEviiiPKT2_S3_S3_PS1_S3_PKi
	.p2align	8
	.type	_ZN9rocsparseL19gtsv_LBM_rhs_kernelILj256ELj8ELj1EfEEviiiPKT2_S3_S3_PS1_S3_PKi,@function
_ZN9rocsparseL19gtsv_LBM_rhs_kernelILj256ELj8ELj1EfEEviiiPKT2_S3_S3_PS1_S3_PKi: ; @_ZN9rocsparseL19gtsv_LBM_rhs_kernelILj256ELj8ELj1EfEEviiiPKT2_S3_S3_PS1_S3_PKi
; %bb.0:
	s_load_dword s24, s[0:1], 0x0
	v_lshl_or_b32 v0, s2, 8, v0
	s_waitcnt lgkmcnt(0)
	s_lshr_b32 s22, s24, 3
	v_cmp_gt_i32_e32 vcc, s22, v0
	s_and_saveexec_b64 s[4:5], vcc
	s_cbranch_execz .LBB34_29
; %bb.1:
	s_load_dwordx4 s[8:11], s[0:1], 0x28
	s_load_dwordx2 s[6:7], s[0:1], 0x38
	s_cmp_lt_i32 s24, 1
	s_mul_i32 s23, s24, s3
	s_cbranch_scc1 .LBB34_21
; %bb.2:
	s_load_dwordx4 s[12:15], s[0:1], 0x10
	s_load_dwordx2 s[16:17], s[0:1], 0x20
	v_ashrrev_i32_e32 v1, 31, v0
	v_add_u32_e32 v13, s22, v0
	s_mul_i32 s25, s22, 7
	s_waitcnt lgkmcnt(0)
	v_lshl_add_u64 v[2:3], v[0:1], 2, s[14:15]
	global_load_dword v5, v[2:3], off
	s_mul_i32 s26, s22, 6
	s_lshl_b32 s27, s22, 1
	v_add_u32_e32 v14, s22, v13
	v_add_u32_e32 v15, s23, v13
	v_mov_b32_e32 v3, 0
	s_mov_b64 s[18:19], 0
	v_mov_b32_e32 v1, 0
	s_branch .LBB34_5
.LBB34_3:                               ;   in Loop: Header=BB34_5 Depth=1
	s_or_b64 exec, exec, s[4:5]
	v_fma_f32 v5, -v5, v7, v16
	v_mov_b32_e32 v2, s22
.LBB34_4:                               ;   in Loop: Header=BB34_5 Depth=1
	s_or_b64 exec, exec, s[2:3]
	v_add_u32_e32 v1, v2, v1
	v_cmp_le_i32_e32 vcc, s24, v1
	s_or_b64 s[18:19], vcc, s[18:19]
	s_andn2_b64 exec, exec, s[18:19]
	s_cbranch_execz .LBB34_20
.LBB34_5:                               ; =>This Inner Loop Header: Depth=1
	v_add_u32_e32 v8, v1, v0
	v_ashrrev_i32_e32 v9, 31, v8
	v_lshl_add_u64 v[6:7], v[8:9], 2, s[16:17]
	global_load_dword v18, v[6:7], off
	v_cmp_gt_u32_e64 s[0:1], s25, v1
	v_add_u32_e32 v6, v13, v1
	v_mov_b32_e32 v4, 0
	s_and_saveexec_b64 s[2:3], s[0:1]
	s_cbranch_execz .LBB34_7
; %bb.6:                                ;   in Loop: Header=BB34_5 Depth=1
	v_ashrrev_i32_e32 v7, 31, v6
	s_waitcnt vmcnt(1)
	v_lshl_add_u64 v[10:11], v[6:7], 2, s[12:13]
	global_load_dword v4, v[10:11], off
.LBB34_7:                               ;   in Loop: Header=BB34_5 Depth=1
	s_or_b64 exec, exec, s[2:3]
	v_mov_b32_e32 v17, 0
	v_mov_b32_e32 v16, 0
	s_and_saveexec_b64 s[2:3], s[0:1]
	s_cbranch_execz .LBB34_9
; %bb.8:                                ;   in Loop: Header=BB34_5 Depth=1
	v_ashrrev_i32_e32 v7, 31, v6
	s_waitcnt vmcnt(1)
	v_lshl_add_u64 v[10:11], v[6:7], 2, s[14:15]
	global_load_dword v16, v[10:11], off
.LBB34_9:                               ;   in Loop: Header=BB34_5 Depth=1
	s_or_b64 exec, exec, s[2:3]
	s_and_saveexec_b64 s[2:3], s[0:1]
	s_cbranch_execz .LBB34_11
; %bb.10:                               ;   in Loop: Header=BB34_5 Depth=1
	v_ashrrev_i32_e32 v7, 31, v6
	v_lshl_add_u64 v[6:7], v[6:7], 2, s[16:17]
	global_load_dword v17, v[6:7], off
.LBB34_11:                              ;   in Loop: Header=BB34_5 Depth=1
	s_or_b64 exec, exec, s[2:3]
	v_cmp_gt_u32_e64 s[2:3], s26, v1
	v_mov_b32_e32 v6, 0
	s_and_saveexec_b64 s[4:5], s[2:3]
	s_cbranch_execz .LBB34_13
; %bb.12:                               ;   in Loop: Header=BB34_5 Depth=1
	v_add_u32_e32 v6, v14, v1
	v_ashrrev_i32_e32 v7, 31, v6
	v_lshl_add_u64 v[6:7], v[6:7], 2, s[12:13]
	global_load_dword v6, v[6:7], off
.LBB34_13:                              ;   in Loop: Header=BB34_5 Depth=1
	s_or_b64 exec, exec, s[4:5]
	s_waitcnt vmcnt(1)
	v_lshl_add_u64 v[10:11], v[8:9], 2, s[6:7]
	global_load_dword v7, v[10:11], off
	v_add_u32_e32 v2, s23, v8
	v_lshl_add_u64 v[8:9], v[2:3], 2, s[8:9]
	global_load_dword v10, v[8:9], off
	v_cmp_ne_u32_e32 vcc, s25, v1
	s_waitcnt vmcnt(1)
	v_cmp_ne_u32_e64 s[4:5], 1, v7
	s_and_b64 s[4:5], vcc, s[4:5]
	v_mul_f32_e32 v7, v18, v4
	s_and_saveexec_b64 s[20:21], s[4:5]
	s_xor_b64 s[4:5], exec, s[20:21]
	s_cbranch_execz .LBB34_17
; %bb.14:                               ;   in Loop: Header=BB34_5 Depth=1
	v_add_u32_e32 v2, v15, v1
	v_lshl_add_u64 v[20:21], v[2:3], 2, s[8:9]
	global_load_dword v11, v[20:21], off
	v_fma_f32 v2, v5, v16, -v7
	v_div_scale_f32 v7, s[20:21], v2, v2, 1.0
	v_rcp_f32_e32 v12, v7
	v_div_scale_f32 v19, vcc, 1.0, v2, 1.0
	v_fma_f32 v22, -v7, v12, 1.0
	v_fmac_f32_e32 v12, v22, v12
	v_mul_f32_e32 v22, v19, v12
	v_fma_f32 v23, -v7, v22, v19
	v_fmac_f32_e32 v22, v23, v12
	v_fma_f32 v7, -v7, v22, v19
	v_div_fmas_f32 v7, v7, v12, v22
	v_div_fixup_f32 v12, v7, v2, 1.0
	s_waitcnt vmcnt(0)
	v_pk_mul_f32 v[10:11], v[12:13], v[10:11] op_sel_hi:[0,1]
	v_mul_f32_e32 v2, v18, v11
	v_mul_f32_e32 v7, v4, v10
	v_fma_f32 v2, v16, v10, -v2
	v_fma_f32 v7, v5, v11, -v7
	global_store_dword v[8:9], v2, off
	global_store_dword v[20:21], v7, off
	v_mov_b32_e32 v2, 0
	s_and_saveexec_b64 s[20:21], s[2:3]
	s_cbranch_execz .LBB34_16
; %bb.15:                               ;   in Loop: Header=BB34_5 Depth=1
	v_add_u32_e32 v8, v14, v1
	v_add_u32_e32 v2, s23, v8
	v_lshl_add_u64 v[18:19], v[2:3], 2, s[8:9]
	v_ashrrev_i32_e32 v9, 31, v8
	global_load_dword v2, v[18:19], off
	v_lshl_add_u64 v[8:9], v[8:9], 2, s[14:15]
	global_load_dword v8, v[8:9], off
	v_pk_mul_f32 v[4:5], v[4:5], v[6:7] op_sel_hi:[1,0]
	s_nop 0
	v_pk_mul_f32 v[6:7], v[4:5], v[10:11]
	v_mul_f32_e32 v4, v17, v5
	v_sub_f32_e32 v5, v6, v7
	s_waitcnt vmcnt(1)
	v_add_f32_e32 v2, v5, v2
	global_store_dword v[18:19], v2, off
	s_waitcnt vmcnt(1)
	v_fma_f32 v2, -v12, v4, v8
.LBB34_16:                              ;   in Loop: Header=BB34_5 Depth=1
	s_or_b64 exec, exec, s[20:21]
	v_mov_b32_e32 v5, v2
                                        ; implicit-def: $vgpr7
                                        ; implicit-def: $vgpr16
                                        ; implicit-def: $vgpr10
                                        ; implicit-def: $vgpr8_vgpr9
.LBB34_17:                              ;   in Loop: Header=BB34_5 Depth=1
	s_or_saveexec_b64 s[2:3], s[4:5]
	v_mov_b32_e32 v2, s27
	s_xor_b64 exec, exec, s[2:3]
	s_cbranch_execz .LBB34_4
; %bb.18:                               ;   in Loop: Header=BB34_5 Depth=1
	v_div_scale_f32 v2, s[4:5], v5, v5, 1.0
	v_rcp_f32_e32 v6, v2
	v_div_scale_f32 v11, vcc, 1.0, v5, 1.0
	v_fma_f32 v12, -v2, v6, 1.0
	v_fmac_f32_e32 v6, v12, v6
	v_mul_f32_e32 v12, v11, v6
	v_fma_f32 v17, -v2, v12, v11
	v_fmac_f32_e32 v12, v17, v6
	v_fma_f32 v2, -v2, v12, v11
	v_div_fmas_f32 v2, v2, v6, v12
	v_div_fixup_f32 v5, v2, v5, 1.0
	s_waitcnt vmcnt(0)
	v_mul_f32_e32 v6, v5, v10
	global_store_dword v[8:9], v6, off
	s_and_saveexec_b64 s[4:5], s[0:1]
	s_cbranch_execz .LBB34_3
; %bb.19:                               ;   in Loop: Header=BB34_5 Depth=1
	v_add_u32_e32 v2, v15, v1
	v_lshl_add_u64 v[8:9], v[2:3], 2, s[8:9]
	global_load_dword v2, v[8:9], off
	s_waitcnt vmcnt(0)
	v_fma_f32 v2, -v4, v6, v2
	global_store_dword v[8:9], v2, off
	s_branch .LBB34_3
.LBB34_20:
	s_or_b64 exec, exec, s[18:19]
	s_branch .LBB34_22
.LBB34_21:
	v_mov_b32_e32 v1, 0
.LBB34_22:
	v_subrev_u32_e32 v1, s22, v1
	v_add_u32_e32 v2, v1, v0
	v_ashrrev_i32_e32 v3, 31, v2
	s_waitcnt lgkmcnt(0)
	v_lshl_add_u64 v[2:3], v[2:3], 2, s[6:7]
	buffer_wbl2 sc1
	s_waitcnt vmcnt(0)
	buffer_inv sc1
	global_load_dword v2, v[2:3], off
	s_waitcnt vmcnt(0)
	v_mul_lo_u32 v2, v2, s22
	v_sub_u32_e32 v1, v1, v2
	v_cmp_lt_i32_e32 vcc, -1, v1
	s_and_b64 exec, exec, vcc
	s_cbranch_execz .LBB34_29
; %bb.23:
	s_add_i32 s0, s23, s22
	v_add_u32_e32 v6, s0, v0
	s_lshl_b32 s4, s22, 1
	s_mov_b64 s[0:1], 0
	v_mov_b32_e32 v3, 0
	s_branch .LBB34_25
.LBB34_24:                              ;   in Loop: Header=BB34_25 Depth=1
	s_or_b64 exec, exec, s[2:3]
	v_sub_u32_e32 v1, v1, v2
	v_cmp_gt_i32_e32 vcc, 0, v1
	s_or_b64 s[0:1], vcc, s[0:1]
	s_andn2_b64 exec, exec, s[0:1]
	s_cbranch_execz .LBB34_29
.LBB34_25:                              ; =>This Inner Loop Header: Depth=1
	v_add_u32_e32 v4, v1, v0
	s_waitcnt vmcnt(0)
	v_ashrrev_i32_e32 v5, 31, v4
	v_lshlrev_b64 v[8:9], 2, v[4:5]
	v_lshl_add_u64 v[10:11], s[6:7], 0, v[8:9]
	global_load_dword v2, v[10:11], off
	v_lshl_add_u64 v[8:9], s[10:11], 0, v[8:9]
	global_load_dword v5, v[8:9], off
	s_waitcnt vmcnt(1)
	v_cmp_ne_u32_e32 vcc, 1, v2
	s_and_saveexec_b64 s[2:3], vcc
	s_xor_b64 s[2:3], exec, s[2:3]
	s_cbranch_execz .LBB34_27
; %bb.26:                               ;   in Loop: Header=BB34_25 Depth=1
	v_add_u32_e32 v2, v6, v1
	v_lshl_add_u64 v[8:9], v[2:3], 2, s[8:9]
	v_add_u32_e32 v2, s23, v4
	v_lshl_add_u64 v[10:11], v[2:3], 2, s[8:9]
	global_load_dword v7, v[8:9], off
	global_load_dword v4, v[10:11], off
	v_subrev_u32_e32 v2, s22, v1
	v_add_u32_e32 v8, v2, v0
	v_ashrrev_i32_e32 v9, 31, v8
	v_add_u32_e32 v2, s23, v8
	v_lshl_add_u64 v[8:9], v[8:9], 2, s[10:11]
	global_load_dword v8, v[8:9], off
	s_waitcnt vmcnt(1)
	v_fma_f32 v4, -v5, v7, v4
	global_store_dword v[10:11], v4, off
	v_lshl_add_u64 v[4:5], v[2:3], 2, s[8:9]
	global_load_dword v2, v[4:5], off
	s_waitcnt vmcnt(0)
	v_fma_f32 v2, -v8, v7, v2
	global_store_dword v[4:5], v2, off
                                        ; implicit-def: $vgpr4
                                        ; implicit-def: $vgpr5
.LBB34_27:                              ;   in Loop: Header=BB34_25 Depth=1
	s_or_saveexec_b64 s[2:3], s[2:3]
	v_mov_b32_e32 v2, s4
	s_xor_b64 exec, exec, s[2:3]
	s_cbranch_execz .LBB34_24
; %bb.28:                               ;   in Loop: Header=BB34_25 Depth=1
	v_add_u32_e32 v2, v6, v1
	v_lshl_add_u64 v[8:9], v[2:3], 2, s[8:9]
	v_add_u32_e32 v2, s23, v4
	v_lshl_add_u64 v[10:11], v[2:3], 2, s[8:9]
	global_load_dword v2, v[8:9], off
	global_load_dword v4, v[10:11], off
	s_waitcnt vmcnt(0)
	v_fma_f32 v2, -v5, v2, v4
	global_store_dword v[10:11], v2, off
	v_mov_b32_e32 v2, s22
	s_branch .LBB34_24
.LBB34_29:
	s_endpgm
	.section	.rodata,"a",@progbits
	.p2align	6, 0x0
	.amdhsa_kernel _ZN9rocsparseL19gtsv_LBM_rhs_kernelILj256ELj8ELj1EfEEviiiPKT2_S3_S3_PS1_S3_PKi
		.amdhsa_group_segment_fixed_size 0
		.amdhsa_private_segment_fixed_size 0
		.amdhsa_kernarg_size 64
		.amdhsa_user_sgpr_count 2
		.amdhsa_user_sgpr_dispatch_ptr 0
		.amdhsa_user_sgpr_queue_ptr 0
		.amdhsa_user_sgpr_kernarg_segment_ptr 1
		.amdhsa_user_sgpr_dispatch_id 0
		.amdhsa_user_sgpr_kernarg_preload_length 0
		.amdhsa_user_sgpr_kernarg_preload_offset 0
		.amdhsa_user_sgpr_private_segment_size 0
		.amdhsa_uses_dynamic_stack 0
		.amdhsa_enable_private_segment 0
		.amdhsa_system_sgpr_workgroup_id_x 1
		.amdhsa_system_sgpr_workgroup_id_y 1
		.amdhsa_system_sgpr_workgroup_id_z 0
		.amdhsa_system_sgpr_workgroup_info 0
		.amdhsa_system_vgpr_workitem_id 0
		.amdhsa_next_free_vgpr 24
		.amdhsa_next_free_sgpr 28
		.amdhsa_accum_offset 24
		.amdhsa_reserve_vcc 1
		.amdhsa_float_round_mode_32 0
		.amdhsa_float_round_mode_16_64 0
		.amdhsa_float_denorm_mode_32 3
		.amdhsa_float_denorm_mode_16_64 3
		.amdhsa_dx10_clamp 1
		.amdhsa_ieee_mode 1
		.amdhsa_fp16_overflow 0
		.amdhsa_tg_split 0
		.amdhsa_exception_fp_ieee_invalid_op 0
		.amdhsa_exception_fp_denorm_src 0
		.amdhsa_exception_fp_ieee_div_zero 0
		.amdhsa_exception_fp_ieee_overflow 0
		.amdhsa_exception_fp_ieee_underflow 0
		.amdhsa_exception_fp_ieee_inexact 0
		.amdhsa_exception_int_div_zero 0
	.end_amdhsa_kernel
	.section	.text._ZN9rocsparseL19gtsv_LBM_rhs_kernelILj256ELj8ELj1EfEEviiiPKT2_S3_S3_PS1_S3_PKi,"axG",@progbits,_ZN9rocsparseL19gtsv_LBM_rhs_kernelILj256ELj8ELj1EfEEviiiPKT2_S3_S3_PS1_S3_PKi,comdat
.Lfunc_end34:
	.size	_ZN9rocsparseL19gtsv_LBM_rhs_kernelILj256ELj8ELj1EfEEviiiPKT2_S3_S3_PS1_S3_PKi, .Lfunc_end34-_ZN9rocsparseL19gtsv_LBM_rhs_kernelILj256ELj8ELj1EfEEviiiPKT2_S3_S3_PS1_S3_PKi
                                        ; -- End function
	.set _ZN9rocsparseL19gtsv_LBM_rhs_kernelILj256ELj8ELj1EfEEviiiPKT2_S3_S3_PS1_S3_PKi.num_vgpr, 24
	.set _ZN9rocsparseL19gtsv_LBM_rhs_kernelILj256ELj8ELj1EfEEviiiPKT2_S3_S3_PS1_S3_PKi.num_agpr, 0
	.set _ZN9rocsparseL19gtsv_LBM_rhs_kernelILj256ELj8ELj1EfEEviiiPKT2_S3_S3_PS1_S3_PKi.numbered_sgpr, 28
	.set _ZN9rocsparseL19gtsv_LBM_rhs_kernelILj256ELj8ELj1EfEEviiiPKT2_S3_S3_PS1_S3_PKi.num_named_barrier, 0
	.set _ZN9rocsparseL19gtsv_LBM_rhs_kernelILj256ELj8ELj1EfEEviiiPKT2_S3_S3_PS1_S3_PKi.private_seg_size, 0
	.set _ZN9rocsparseL19gtsv_LBM_rhs_kernelILj256ELj8ELj1EfEEviiiPKT2_S3_S3_PS1_S3_PKi.uses_vcc, 1
	.set _ZN9rocsparseL19gtsv_LBM_rhs_kernelILj256ELj8ELj1EfEEviiiPKT2_S3_S3_PS1_S3_PKi.uses_flat_scratch, 0
	.set _ZN9rocsparseL19gtsv_LBM_rhs_kernelILj256ELj8ELj1EfEEviiiPKT2_S3_S3_PS1_S3_PKi.has_dyn_sized_stack, 0
	.set _ZN9rocsparseL19gtsv_LBM_rhs_kernelILj256ELj8ELj1EfEEviiiPKT2_S3_S3_PS1_S3_PKi.has_recursion, 0
	.set _ZN9rocsparseL19gtsv_LBM_rhs_kernelILj256ELj8ELj1EfEEviiiPKT2_S3_S3_PS1_S3_PKi.has_indirect_call, 0
	.section	.AMDGPU.csdata,"",@progbits
; Kernel info:
; codeLenInByte = 1316
; TotalNumSgprs: 34
; NumVgprs: 24
; NumAgprs: 0
; TotalNumVgprs: 24
; ScratchSize: 0
; MemoryBound: 0
; FloatMode: 240
; IeeeMode: 1
; LDSByteSize: 0 bytes/workgroup (compile time only)
; SGPRBlocks: 4
; VGPRBlocks: 2
; NumSGPRsForWavesPerEU: 34
; NumVGPRsForWavesPerEU: 24
; AccumOffset: 24
; Occupancy: 8
; WaveLimiterHint : 0
; COMPUTE_PGM_RSRC2:SCRATCH_EN: 0
; COMPUTE_PGM_RSRC2:USER_SGPR: 2
; COMPUTE_PGM_RSRC2:TRAP_HANDLER: 0
; COMPUTE_PGM_RSRC2:TGID_X_EN: 1
; COMPUTE_PGM_RSRC2:TGID_Y_EN: 1
; COMPUTE_PGM_RSRC2:TGID_Z_EN: 0
; COMPUTE_PGM_RSRC2:TIDIG_COMP_CNT: 0
; COMPUTE_PGM_RSRC3_GFX90A:ACCUM_OFFSET: 5
; COMPUTE_PGM_RSRC3_GFX90A:TG_SPLIT: 0
	.section	.text._ZN9rocsparseL29gtsv_spike_block_level_kernelILj256ELj8EfEEviiiPT1_PKS1_S4_S2_S2_S2_S2_S2_,"axG",@progbits,_ZN9rocsparseL29gtsv_spike_block_level_kernelILj256ELj8EfEEviiiPT1_PKS1_S4_S2_S2_S2_S2_S2_,comdat
	.globl	_ZN9rocsparseL29gtsv_spike_block_level_kernelILj256ELj8EfEEviiiPT1_PKS1_S4_S2_S2_S2_S2_S2_ ; -- Begin function _ZN9rocsparseL29gtsv_spike_block_level_kernelILj256ELj8EfEEviiiPT1_PKS1_S4_S2_S2_S2_S2_S2_
	.p2align	8
	.type	_ZN9rocsparseL29gtsv_spike_block_level_kernelILj256ELj8EfEEviiiPT1_PKS1_S4_S2_S2_S2_S2_S2_,@function
_ZN9rocsparseL29gtsv_spike_block_level_kernelILj256ELj8EfEEviiiPT1_PKS1_S4_S2_S2_S2_S2_S2_: ; @_ZN9rocsparseL29gtsv_spike_block_level_kernelILj256ELj8EfEEviiiPT1_PKS1_S4_S2_S2_S2_S2_S2_
; %bb.0:
	s_load_dword s14, s[0:1], 0x0
	s_load_dwordx2 s[8:9], s[0:1], 0x18
	v_lshl_or_b32 v2, s2, 8, v0
	v_mov_b32_e32 v4, 0
	v_mov_b32_e32 v3, 0
	s_waitcnt lgkmcnt(0)
	s_lshr_b32 s18, s14, 3
	v_cmp_gt_i32_e64 s[4:5], s18, v2
	s_and_saveexec_b64 s[6:7], s[4:5]
	s_cbranch_execz .LBB35_2
; %bb.1:
	v_ashrrev_i32_e32 v3, 31, v2
	v_lshl_add_u64 v[6:7], v[2:3], 2, s[8:9]
	global_load_dword v3, v[6:7], off
.LBB35_2:
	s_or_b64 exec, exec, s[6:7]
	s_load_dwordx2 s[6:7], s[0:1], 0x20
	v_lshlrev_b32_e32 v1, 2, v0
	v_or_b32_e32 v6, 0x800, v1
	s_waitcnt vmcnt(0)
	ds_write_b32 v1, v3 offset:2048
	s_and_saveexec_b64 s[10:11], s[4:5]
	s_cbranch_execz .LBB35_4
; %bb.3:
	v_mad_u64_u32 v[4:5], s[12:13], s18, 7, v[2:3]
	v_mov_b32_e32 v5, 0
	v_lshl_add_u64 v[4:5], v[4:5], 2, s[8:9]
	global_load_dword v4, v[4:5], off
.LBB35_4:
	s_or_b64 exec, exec, s[10:11]
	s_waitcnt vmcnt(0)
	ds_write_b32 v6, v4 offset:1024
	v_mov_b32_e32 v4, 0
	v_mov_b32_e32 v3, 0
	s_and_saveexec_b64 s[8:9], s[4:5]
	s_cbranch_execz .LBB35_6
; %bb.5:
	v_ashrrev_i32_e32 v3, 31, v2
	s_waitcnt lgkmcnt(0)
	v_lshl_add_u64 v[8:9], v[2:3], 2, s[6:7]
	global_load_dword v3, v[8:9], off
.LBB35_6:
	s_or_b64 exec, exec, s[8:9]
	s_load_dwordx2 s[12:13], s[0:1], 0x10
	s_waitcnt vmcnt(0)
	ds_write_b32 v1, v3
	s_and_saveexec_b64 s[8:9], s[4:5]
	s_cbranch_execz .LBB35_8
; %bb.7:
	v_mad_u64_u32 v[4:5], s[10:11], s18, 7, v[2:3]
	v_mov_b32_e32 v5, 0
	s_waitcnt lgkmcnt(0)
	v_lshl_add_u64 v[4:5], v[4:5], 2, s[6:7]
	global_load_dword v4, v[4:5], off
.LBB35_8:
	s_or_b64 exec, exec, s[8:9]
	s_mul_i32 s14, s14, s3
	s_waitcnt vmcnt(0)
	ds_write_b32 v1, v4 offset:1024
	v_mov_b32_e32 v3, 0
	v_add_u32_e32 v4, s14, v2
	v_mov_b32_e32 v7, 0
	s_waitcnt lgkmcnt(0)
	s_and_saveexec_b64 s[6:7], s[4:5]
	s_cbranch_execz .LBB35_10
; %bb.9:
	v_ashrrev_i32_e32 v5, 31, v4
	v_lshl_add_u64 v[8:9], v[4:5], 2, s[12:13]
	global_load_dword v7, v[8:9], off
.LBB35_10:
	s_or_b64 exec, exec, s[6:7]
	v_or_b32_e32 v5, 0x1000, v1
	s_mul_i32 s19, s18, 7
	s_waitcnt vmcnt(0)
	ds_write_b32 v1, v7 offset:4096
	s_and_saveexec_b64 s[6:7], s[4:5]
	s_cbranch_execz .LBB35_12
; %bb.11:
	s_mul_i32 s8, s18, 7
	s_add_i32 s8, s8, s14
	v_add_u32_e32 v8, s8, v2
	v_mov_b32_e32 v9, 0
	v_lshl_add_u64 v[8:9], v[8:9], 2, s[12:13]
	global_load_dword v3, v[8:9], off
.LBB35_12:
	s_or_b64 exec, exec, s[6:7]
	s_movk_i32 s6, 0x80
	v_cmp_gt_u32_e32 vcc, s6, v0
	s_waitcnt vmcnt(0)
	ds_write_b32 v5, v3 offset:1024
	s_waitcnt lgkmcnt(0)
	s_barrier
	s_and_saveexec_b64 s[6:7], vcc
	s_cbranch_execz .LBB35_14
; %bb.13:
	v_add_u32_e32 v3, v6, v1
	v_add_u32_e32 v7, v1, v1
	ds_read2st64_b64 v[8:11], v3 offset1:2
	ds_read2st64_b64 v[12:15], v7 offset1:2
	v_add_u32_e32 v22, v5, v1
	ds_read2st64_b64 v[16:19], v22 offset1:2
	s_waitcnt lgkmcnt(1)
	v_fma_f32 v20, -v9, v14, 1.0
	v_div_scale_f32 v21, s[8:9], v20, v20, 1.0
	v_rcp_f32_e32 v23, v21
	v_div_scale_f32 v24, vcc, 1.0, v20, 1.0
	v_fma_f32 v25, -v21, v23, 1.0
	v_fmac_f32_e32 v23, v25, v23
	v_mul_f32_e32 v25, v24, v23
	v_fma_f32 v26, -v21, v25, v24
	v_fmac_f32_e32 v25, v26, v23
	v_fma_f32 v21, -v21, v25, v24
	v_div_fmas_f32 v21, v21, v23, v25
	v_div_fixup_f32 v23, v21, v20, 1.0
	s_waitcnt lgkmcnt(0)
	v_fma_f32 v20, -v14, v17, v18
	v_fma_f32 v17, -v9, v18, v17
	v_mul_f32_e32 v14, v14, v13
	v_mul_f32_e32 v9, v9, v10
	v_mul_f32_e32 v20, v23, v20
	v_mul_f32_e32 v17, v17, v23
	v_mul_f32_e64 v14, v14, -v23
	v_mul_f32_e32 v13, v23, v13
	v_mul_f32_e64 v9, v9, -v23
	v_mul_f32_e32 v10, v23, v10
	v_fma_f32 v16, -v17, v12, v16
	v_fma_f32 v21, -v11, v20, v19
	;; [unrolled: 1-line block ×3, first 2 shown]
	v_mul_f32_e64 v12, v13, -v12
	v_fma_f32 v15, -v14, v11, v15
	v_mul_f32_e64 v11, v10, -v11
	ds_write2st64_b64 v22, v[16:17], v[20:21] offset1:2
	ds_write2st64_b64 v7, v[12:13], v[14:15] offset1:2
	;; [unrolled: 1-line block ×3, first 2 shown]
.LBB35_14:
	s_or_b64 exec, exec, s[6:7]
	v_cmp_gt_u32_e32 vcc, 64, v0
	s_waitcnt lgkmcnt(0)
	s_barrier
	s_and_saveexec_b64 s[6:7], vcc
	s_cbranch_execz .LBB35_16
; %bb.15:
	v_lshlrev_b32_e32 v3, 4, v0
	v_add_u32_e32 v7, 0x800, v3
	v_add_u32_e32 v20, 0x400, v3
	ds_read2_b32 v[8:9], v7 offset1:2
	ds_read2_b32 v[10:11], v20 offset0:1 offset1:3
	v_mad_u32_u24 v21, v0, 12, v5
	v_add_u32_e32 v22, 0x400, v21
	v_add_u32_e32 v25, 0xc00, v3
	s_waitcnt lgkmcnt(0)
	v_fma_f32 v16, -v9, v10, 1.0
	v_div_scale_f32 v17, s[8:9], v16, v16, 1.0
	v_rcp_f32_e32 v18, v17
	v_div_scale_f32 v19, vcc, 1.0, v16, 1.0
	v_fma_f32 v12, -v17, v18, 1.0
	v_fmac_f32_e32 v18, v12, v18
	v_mul_f32_e32 v23, v19, v18
	v_fma_f32 v12, -v17, v23, v19
	v_fmac_f32_e32 v23, v12, v18
	ds_read2_b32 v[12:13], v22 offset0:1 offset1:3
	ds_read2_b32 v[14:15], v21 offset1:2
	v_fma_f32 v17, -v17, v23, v19
	v_div_fmas_f32 v17, v17, v18, v23
	v_div_fixup_f32 v23, v17, v16, 1.0
	ds_read2_b32 v[18:19], v25 offset0:1 offset1:3
	s_waitcnt lgkmcnt(1)
	v_fma_f32 v16, -v10, v15, v12
	v_mul_f32_e32 v24, v23, v16
	ds_read2_b32 v[16:17], v3 offset1:2
	v_fma_f32 v12, -v9, v12, v15
	v_mul_f32_e32 v12, v12, v23
	s_waitcnt lgkmcnt(1)
	v_mul_f32_e32 v9, v9, v18
	v_mul_f32_e64 v9, v9, -v23
	s_waitcnt lgkmcnt(0)
	v_fma_f32 v14, -v12, v16, v14
	ds_write2_b32 v21, v14, v12 offset1:2
	v_fma_f32 v12, -v19, v24, v13
	ds_write2_b32 v22, v24, v12 offset0:1 offset1:3
	v_mul_f32_e32 v10, v10, v17
	v_mul_f32_e32 v12, v23, v17
	v_fma_f32 v8, -v9, v16, v8
	v_mul_f32_e64 v10, v10, -v23
	ds_write2_b32 v7, v8, v9 offset1:2
	v_mul_f32_e64 v7, v12, -v16
	v_mul_f32_e32 v13, v23, v18
	ds_write2_b32 v3, v7, v12 offset1:2
	v_fma_f32 v3, -v10, v19, v11
	ds_write2_b32 v20, v10, v3 offset0:1 offset1:3
	v_mul_f32_e64 v3, v13, -v19
	ds_write2_b32 v25, v13, v3 offset0:1 offset1:3
.LBB35_16:
	s_or_b64 exec, exec, s[6:7]
	v_cmp_gt_u32_e32 vcc, 32, v0
	s_waitcnt lgkmcnt(0)
	s_barrier
	s_and_saveexec_b64 s[6:7], vcc
	s_cbranch_execz .LBB35_18
; %bb.17:
	v_lshlrev_b32_e32 v3, 5, v0
	v_add_u32_e32 v7, 0x800, v3
	v_add_u32_e32 v20, 0x400, v3
	ds_read2_b32 v[8:9], v7 offset1:4
	ds_read2_b32 v[10:11], v20 offset0:3 offset1:7
	v_add_u32_e32 v21, 0x1400, v3
	v_add_u32_e32 v23, 0x1000, v3
	ds_read2_b32 v[12:13], v21 offset0:3 offset1:7
	v_add_u32_e32 v25, 0xc00, v3
	s_waitcnt lgkmcnt(1)
	v_fma_f32 v16, -v9, v10, 1.0
	v_div_scale_f32 v17, s[8:9], v16, v16, 1.0
	v_rcp_f32_e32 v18, v17
	v_div_scale_f32 v19, vcc, 1.0, v16, 1.0
	v_fma_f32 v14, -v17, v18, 1.0
	v_fmac_f32_e32 v18, v14, v18
	v_mul_f32_e32 v22, v19, v18
	v_fma_f32 v14, -v17, v22, v19
	v_fmac_f32_e32 v22, v14, v18
	ds_read2_b32 v[14:15], v23 offset1:4
	v_fma_f32 v17, -v17, v22, v19
	v_div_fmas_f32 v17, v17, v18, v22
	v_div_fixup_f32 v22, v17, v16, 1.0
	ds_read2_b32 v[18:19], v25 offset0:3 offset1:7
	s_waitcnt lgkmcnt(1)
	v_fma_f32 v16, -v10, v15, v12
	v_mul_f32_e32 v24, v22, v16
	ds_read2_b32 v[16:17], v3 offset1:4
	v_fma_f32 v12, -v9, v12, v15
	v_mul_f32_e32 v12, v12, v22
	s_waitcnt lgkmcnt(1)
	v_mul_f32_e32 v9, v9, v18
	v_mul_f32_e64 v9, v9, -v22
	s_waitcnt lgkmcnt(0)
	v_fma_f32 v14, -v12, v16, v14
	ds_write2_b32 v23, v14, v12 offset1:4
	v_fma_f32 v12, -v19, v24, v13
	ds_write2_b32 v21, v24, v12 offset0:3 offset1:7
	v_mul_f32_e32 v10, v10, v17
	v_mul_f32_e32 v12, v22, v17
	v_fma_f32 v8, -v9, v16, v8
	v_mul_f32_e64 v10, v10, -v22
	ds_write2_b32 v7, v8, v9 offset1:4
	v_mul_f32_e64 v7, v12, -v16
	v_mul_f32_e32 v13, v22, v18
	ds_write2_b32 v3, v7, v12 offset1:4
	v_fma_f32 v3, -v10, v19, v11
	ds_write2_b32 v20, v10, v3 offset0:3 offset1:7
	v_mul_f32_e64 v3, v13, -v19
	ds_write2_b32 v25, v13, v3 offset0:3 offset1:7
.LBB35_18:
	s_or_b64 exec, exec, s[6:7]
	v_cmp_gt_u32_e32 vcc, 16, v0
	s_waitcnt lgkmcnt(0)
	s_barrier
	s_and_saveexec_b64 s[6:7], vcc
	s_cbranch_execz .LBB35_20
; %bb.19:
	v_lshlrev_b32_e32 v3, 6, v0
	v_add_u32_e32 v7, 0x800, v3
	v_add_u32_e32 v20, 0x400, v3
	ds_read2_b32 v[8:9], v7 offset1:8
	ds_read2_b32 v[10:11], v20 offset0:7 offset1:15
	v_add_u32_e32 v21, 0x1400, v3
	v_add_u32_e32 v23, 0x1000, v3
	ds_read2_b32 v[12:13], v21 offset0:7 offset1:15
	v_add_u32_e32 v25, 0xc00, v3
	s_waitcnt lgkmcnt(1)
	v_fma_f32 v16, -v9, v10, 1.0
	v_div_scale_f32 v17, s[8:9], v16, v16, 1.0
	v_rcp_f32_e32 v18, v17
	v_div_scale_f32 v19, vcc, 1.0, v16, 1.0
	v_fma_f32 v14, -v17, v18, 1.0
	v_fmac_f32_e32 v18, v14, v18
	v_mul_f32_e32 v22, v19, v18
	v_fma_f32 v14, -v17, v22, v19
	v_fmac_f32_e32 v22, v14, v18
	ds_read2_b32 v[14:15], v23 offset1:8
	v_fma_f32 v17, -v17, v22, v19
	v_div_fmas_f32 v17, v17, v18, v22
	v_div_fixup_f32 v22, v17, v16, 1.0
	ds_read2_b32 v[18:19], v25 offset0:7 offset1:15
	s_waitcnt lgkmcnt(1)
	v_fma_f32 v16, -v10, v15, v12
	v_mul_f32_e32 v24, v22, v16
	ds_read2_b32 v[16:17], v3 offset1:8
	v_fma_f32 v12, -v9, v12, v15
	v_mul_f32_e32 v12, v12, v22
	s_waitcnt lgkmcnt(1)
	v_mul_f32_e32 v9, v9, v18
	v_mul_f32_e64 v9, v9, -v22
	s_waitcnt lgkmcnt(0)
	v_fma_f32 v14, -v12, v16, v14
	ds_write2_b32 v23, v14, v12 offset1:8
	v_fma_f32 v12, -v19, v24, v13
	ds_write2_b32 v21, v24, v12 offset0:7 offset1:15
	v_mul_f32_e32 v10, v10, v17
	v_mul_f32_e32 v12, v22, v17
	v_fma_f32 v8, -v9, v16, v8
	v_mul_f32_e64 v10, v10, -v22
	ds_write2_b32 v7, v8, v9 offset1:8
	v_mul_f32_e64 v7, v12, -v16
	v_mul_f32_e32 v13, v22, v18
	ds_write2_b32 v3, v7, v12 offset1:8
	v_fma_f32 v3, -v10, v19, v11
	ds_write2_b32 v20, v10, v3 offset0:7 offset1:15
	v_mul_f32_e64 v3, v13, -v19
	ds_write2_b32 v25, v13, v3 offset0:7 offset1:15
.LBB35_20:
	;; [unrolled: 58-line block ×4, first 2 shown]
	s_or_b64 exec, exec, s[6:7]
	v_cmp_gt_u32_e32 vcc, 2, v0
	s_waitcnt lgkmcnt(0)
	s_barrier
	s_and_saveexec_b64 s[6:7], vcc
	s_cbranch_execz .LBB35_26
; %bb.25:
	v_lshlrev_b32_e32 v3, 9, v0
	v_add_u32_e32 v7, 0xfc, v3
	ds_read2st64_b32 v[8:9], v7 offset0:4 offset1:5
	ds_read2st64_b32 v[10:11], v3 offset0:8 offset1:9
	;; [unrolled: 1-line block ×3, first 2 shown]
	ds_read2st64_b32 v[14:15], v3 offset1:1
	ds_read2st64_b32 v[16:17], v7 offset0:12 offset1:13
	ds_read2st64_b32 v[18:19], v7 offset0:20 offset1:21
	s_waitcnt lgkmcnt(4)
	v_fma_f32 v20, -v11, v8, 1.0
	v_div_scale_f32 v21, s[8:9], v20, v20, 1.0
	v_rcp_f32_e32 v22, v21
	s_nop 0
	v_fma_f32 v23, -v21, v22, 1.0
	v_fmac_f32_e32 v22, v23, v22
	v_div_scale_f32 v23, vcc, 1.0, v20, 1.0
	v_mul_f32_e32 v24, v23, v22
	v_fma_f32 v25, -v21, v24, v23
	v_fmac_f32_e32 v24, v25, v22
	v_fma_f32 v21, -v21, v24, v23
	v_div_fmas_f32 v21, v21, v22, v24
	v_div_fixup_f32 v20, v21, v20, 1.0
	s_waitcnt lgkmcnt(0)
	v_fma_f32 v21, -v8, v13, v18
	v_fma_f32 v13, -v11, v18, v13
	v_mul_f32_e32 v13, v13, v20
	v_mul_f32_e32 v21, v20, v21
	v_fma_f32 v12, -v13, v14, v12
	v_mul_f32_e32 v11, v11, v16
	ds_write2st64_b32 v3, v12, v13 offset0:16 offset1:17
	v_fma_f32 v12, -v17, v21, v19
	v_mul_f32_e64 v11, v11, -v20
	ds_write2st64_b32 v7, v21, v12 offset0:20 offset1:21
	v_mul_f32_e32 v8, v8, v15
	v_mul_f32_e32 v12, v20, v15
	v_fma_f32 v10, -v11, v14, v10
	v_mul_f32_e64 v8, v8, -v20
	ds_write2st64_b32 v3, v10, v11 offset0:8 offset1:9
	v_mul_f32_e64 v10, v12, -v14
	v_mul_f32_e32 v13, v20, v16
	ds_write2st64_b32 v3, v10, v12 offset1:1
	v_fma_f32 v3, -v8, v17, v9
	ds_write2st64_b32 v7, v8, v3 offset0:4 offset1:5
	v_mul_f32_e64 v3, v13, -v17
	ds_write2st64_b32 v7, v13, v3 offset0:12 offset1:13
.LBB35_26:
	s_or_b64 exec, exec, s[6:7]
	v_cmp_eq_u32_e64 s[6:7], 0, v0
	s_waitcnt lgkmcnt(0)
	s_barrier
	s_and_saveexec_b64 s[8:9], s[6:7]
	s_cbranch_execz .LBB35_28
; %bb.27:
	s_movk_i32 s10, 0xa00
	v_add_u32_e64 v3, s10, 0
	v_mov_b32_e32 v0, 0
	ds_read2_b32 v[8:9], v3 offset1:255
	ds_read_b32 v7, v0 offset:1532
	v_mov_b32_e32 v18, 0x7fc
	ds_read2_b32 v[10:11], v18 offset1:1
	ds_read_b32 v19, v0 offset:6140
	v_mov_b32_e32 v21, 0xffc
	ds_read2_b32 v[12:13], v21 offset1:1
	s_waitcnt lgkmcnt(3)
	v_fma_f32 v16, -v8, v7, 1.0
	v_div_scale_f32 v17, s[10:11], v16, v16, 1.0
	v_rcp_f32_e32 v20, v17
	v_div_scale_f32 v22, vcc, 1.0, v16, 1.0
	s_movk_i32 s10, 0x1200
	v_fma_f32 v14, -v17, v20, 1.0
	v_fmac_f32_e32 v20, v14, v20
	v_mul_f32_e32 v23, v22, v20
	v_fma_f32 v14, -v17, v23, v22
	v_fmac_f32_e32 v23, v14, v20
	v_add_u32_e64 v24, s10, 0
	ds_read2_b32 v[14:15], v24 offset1:255
	v_fma_f32 v17, -v17, v23, v22
	v_div_fmas_f32 v17, v17, v20, v23
	v_div_fixup_f32 v20, v17, v16, 1.0
	ds_read2st64_b32 v[16:17], v0 offset1:2
	s_waitcnt lgkmcnt(1)
	v_fma_f32 v22, -v7, v14, v15
	v_fma_f32 v14, -v8, v15, v14
	v_mul_f32_e32 v22, v20, v22
	v_mul_f32_e32 v14, v14, v20
	ds_write2_b32 v24, v14, v22 offset1:255
	s_waitcnt lgkmcnt(1)
	v_fma_f32 v13, -v14, v16, v13
	v_fma_f32 v14, -v12, v22, v19
	v_mul_f32_e32 v8, v8, v9
	ds_write_b32 v0, v14 offset:6140
	v_mul_f32_e32 v7, v7, v17
	v_mul_f32_e32 v14, v20, v17
	v_mul_f32_e64 v8, v8, -v20
	v_mul_f32_e32 v9, v20, v9
	v_mul_f32_e64 v7, v7, -v20
	ds_write2_b32 v3, v8, v9 offset1:255
	v_fma_f32 v3, -v8, v16, v11
	v_mul_f32_e64 v8, v14, -v16
	ds_write_b32 v0, v7 offset:1532
	ds_write2st64_b32 v0, v8, v14 offset1:2
	v_fma_f32 v0, -v7, v12, v10
	ds_write2_b32 v18, v0, v3 offset1:1
	v_mul_f32_e64 v0, v9, -v12
	ds_write2_b32 v21, v0, v13 offset1:1
.LBB35_28:
	s_or_b64 exec, exec, s[8:9]
	s_load_dwordx2 s[14:15], s[0:1], 0x48
	s_load_dwordx4 s[8:11], s[0:1], 0x38
	s_waitcnt lgkmcnt(0)
	s_barrier
	s_and_saveexec_b64 s[16:17], s[4:5]
	s_cbranch_execnz .LBB35_31
; %bb.29:
	s_or_b64 exec, exec, s[16:17]
	s_and_saveexec_b64 s[4:5], s[6:7]
	s_cbranch_execnz .LBB35_35
.LBB35_30:
	s_endpgm
.LBB35_31:
	s_cmp_eq_u32 s3, 0
	s_cbranch_scc1 .LBB35_39
; %bb.32:
	s_mul_i32 s18, s18, 7
	s_cbranch_execnz .LBB35_34
.LBB35_33:
	s_load_dwordx4 s[20:23], s[0:1], 0x28
	ds_read2st64_b32 v[6:7], v6 offset1:4
	ds_read2st64_b32 v[0:1], v1 offset1:4
	v_ashrrev_i32_e32 v3, 31, v2
	v_add_u32_e32 v8, s19, v2
	v_lshlrev_b64 v[2:3], 2, v[2:3]
	v_mov_b32_e32 v9, 0
	s_waitcnt lgkmcnt(0)
	v_lshl_add_u64 v[10:11], s[20:21], 0, v[2:3]
	v_lshlrev_b64 v[8:9], 2, v[8:9]
	v_lshl_add_u64 v[2:3], s[22:23], 0, v[2:3]
	global_store_dword v[10:11], v6, off
	v_lshl_add_u64 v[10:11], s[20:21], 0, v[8:9]
	global_store_dword v[2:3], v0, off
	v_lshl_add_u64 v[2:3], s[22:23], 0, v[8:9]
	s_mov_b32 s18, s19
	global_store_dword v[10:11], v7, off
	global_store_dword v[2:3], v1, off
.LBB35_34:
	ds_read2st64_b32 v[0:1], v5 offset1:4
	v_ashrrev_i32_e32 v5, 31, v4
	v_add_u32_e32 v2, s18, v4
	v_mov_b32_e32 v3, 0
	v_lshl_add_u64 v[4:5], v[4:5], 2, s[12:13]
	v_lshl_add_u64 v[2:3], v[2:3], 2, s[12:13]
	s_waitcnt lgkmcnt(0)
	global_store_dword v[4:5], v0, off
	global_store_dword v[2:3], v1, off
	s_or_b64 exec, exec, s[16:17]
	s_and_saveexec_b64 s[4:5], s[6:7]
	s_cbranch_execz .LBB35_30
.LBB35_35:
	s_cmp_eq_u32 s3, 0
	s_cbranch_scc1 .LBB35_40
; %bb.36:
	s_load_dword s6, s[0:1], 0x50
	s_cbranch_execnz .LBB35_38
.LBB35_37:
	s_waitcnt lgkmcnt(0)
	s_load_dword s6, s[0:1], 0x50
	v_mov_b32_e32 v0, 0x7fc
	ds_read2_b32 v[0:1], v0 offset1:1
	s_mov_b32 s4, s3
	s_ashr_i32 s3, s2, 31
	s_lshl_b64 s[12:13], s[2:3], 2
	s_mov_b32 s3, s4
	s_add_u32 s4, s10, s12
	v_mov_b32_e32 v2, 0
	s_addc_u32 s5, s11, s13
	ds_read_b32 v3, v2 offset:4092
	ds_read_b32 v4, v2
	s_waitcnt lgkmcnt(0)
	s_add_i32 s0, s6, s2
	s_mov_b32 s1, 0
	s_lshl_b64 s[0:1], s[0:1], 2
	global_store_dword v2, v1, s[4:5]
	s_add_u32 s4, s10, s0
	s_addc_u32 s5, s11, s1
	global_store_dword v2, v3, s[4:5]
	s_add_u32 s4, s14, s12
	s_addc_u32 s5, s15, s13
	s_add_u32 s0, s14, s0
	s_addc_u32 s1, s15, s1
	global_store_dword v2, v4, s[4:5]
	global_store_dword v2, v0, s[0:1]
.LBB35_38:
	s_waitcnt lgkmcnt(0)
	s_mul_i32 s0, s6, s3
	s_lshl_b32 s0, s0, 1
	s_add_i32 s0, s0, s2
	s_mov_b32 s1, 0
	v_mov_b32_e32 v0, 0
	s_lshl_b64 s[2:3], s[0:1], 2
	ds_read_b32 v1, v0 offset:4096
	ds_read_b32 v2, v0 offset:6140
	s_add_u32 s2, s8, s2
	s_addc_u32 s3, s9, s3
	s_add_i32 s0, s0, s6
	s_lshl_b64 s[0:1], s[0:1], 2
	s_add_u32 s0, s8, s0
	s_addc_u32 s1, s9, s1
	s_waitcnt lgkmcnt(1)
	global_store_dword v0, v1, s[2:3]
	s_waitcnt lgkmcnt(0)
	global_store_dword v0, v2, s[0:1]
	s_endpgm
.LBB35_39:
                                        ; implicit-def: $sgpr18
	s_branch .LBB35_33
.LBB35_40:
                                        ; implicit-def: $sgpr6
	s_branch .LBB35_37
	.section	.rodata,"a",@progbits
	.p2align	6, 0x0
	.amdhsa_kernel _ZN9rocsparseL29gtsv_spike_block_level_kernelILj256ELj8EfEEviiiPT1_PKS1_S4_S2_S2_S2_S2_S2_
		.amdhsa_group_segment_fixed_size 6144
		.amdhsa_private_segment_fixed_size 0
		.amdhsa_kernarg_size 336
		.amdhsa_user_sgpr_count 2
		.amdhsa_user_sgpr_dispatch_ptr 0
		.amdhsa_user_sgpr_queue_ptr 0
		.amdhsa_user_sgpr_kernarg_segment_ptr 1
		.amdhsa_user_sgpr_dispatch_id 0
		.amdhsa_user_sgpr_kernarg_preload_length 0
		.amdhsa_user_sgpr_kernarg_preload_offset 0
		.amdhsa_user_sgpr_private_segment_size 0
		.amdhsa_uses_dynamic_stack 0
		.amdhsa_enable_private_segment 0
		.amdhsa_system_sgpr_workgroup_id_x 1
		.amdhsa_system_sgpr_workgroup_id_y 1
		.amdhsa_system_sgpr_workgroup_id_z 0
		.amdhsa_system_sgpr_workgroup_info 0
		.amdhsa_system_vgpr_workitem_id 0
		.amdhsa_next_free_vgpr 27
		.amdhsa_next_free_sgpr 24
		.amdhsa_accum_offset 28
		.amdhsa_reserve_vcc 1
		.amdhsa_float_round_mode_32 0
		.amdhsa_float_round_mode_16_64 0
		.amdhsa_float_denorm_mode_32 3
		.amdhsa_float_denorm_mode_16_64 3
		.amdhsa_dx10_clamp 1
		.amdhsa_ieee_mode 1
		.amdhsa_fp16_overflow 0
		.amdhsa_tg_split 0
		.amdhsa_exception_fp_ieee_invalid_op 0
		.amdhsa_exception_fp_denorm_src 0
		.amdhsa_exception_fp_ieee_div_zero 0
		.amdhsa_exception_fp_ieee_overflow 0
		.amdhsa_exception_fp_ieee_underflow 0
		.amdhsa_exception_fp_ieee_inexact 0
		.amdhsa_exception_int_div_zero 0
	.end_amdhsa_kernel
	.section	.text._ZN9rocsparseL29gtsv_spike_block_level_kernelILj256ELj8EfEEviiiPT1_PKS1_S4_S2_S2_S2_S2_S2_,"axG",@progbits,_ZN9rocsparseL29gtsv_spike_block_level_kernelILj256ELj8EfEEviiiPT1_PKS1_S4_S2_S2_S2_S2_S2_,comdat
.Lfunc_end35:
	.size	_ZN9rocsparseL29gtsv_spike_block_level_kernelILj256ELj8EfEEviiiPT1_PKS1_S4_S2_S2_S2_S2_S2_, .Lfunc_end35-_ZN9rocsparseL29gtsv_spike_block_level_kernelILj256ELj8EfEEviiiPT1_PKS1_S4_S2_S2_S2_S2_S2_
                                        ; -- End function
	.set _ZN9rocsparseL29gtsv_spike_block_level_kernelILj256ELj8EfEEviiiPT1_PKS1_S4_S2_S2_S2_S2_S2_.num_vgpr, 27
	.set _ZN9rocsparseL29gtsv_spike_block_level_kernelILj256ELj8EfEEviiiPT1_PKS1_S4_S2_S2_S2_S2_S2_.num_agpr, 0
	.set _ZN9rocsparseL29gtsv_spike_block_level_kernelILj256ELj8EfEEviiiPT1_PKS1_S4_S2_S2_S2_S2_S2_.numbered_sgpr, 24
	.set _ZN9rocsparseL29gtsv_spike_block_level_kernelILj256ELj8EfEEviiiPT1_PKS1_S4_S2_S2_S2_S2_S2_.num_named_barrier, 0
	.set _ZN9rocsparseL29gtsv_spike_block_level_kernelILj256ELj8EfEEviiiPT1_PKS1_S4_S2_S2_S2_S2_S2_.private_seg_size, 0
	.set _ZN9rocsparseL29gtsv_spike_block_level_kernelILj256ELj8EfEEviiiPT1_PKS1_S4_S2_S2_S2_S2_S2_.uses_vcc, 1
	.set _ZN9rocsparseL29gtsv_spike_block_level_kernelILj256ELj8EfEEviiiPT1_PKS1_S4_S2_S2_S2_S2_S2_.uses_flat_scratch, 0
	.set _ZN9rocsparseL29gtsv_spike_block_level_kernelILj256ELj8EfEEviiiPT1_PKS1_S4_S2_S2_S2_S2_S2_.has_dyn_sized_stack, 0
	.set _ZN9rocsparseL29gtsv_spike_block_level_kernelILj256ELj8EfEEviiiPT1_PKS1_S4_S2_S2_S2_S2_S2_.has_recursion, 0
	.set _ZN9rocsparseL29gtsv_spike_block_level_kernelILj256ELj8EfEEviiiPT1_PKS1_S4_S2_S2_S2_S2_S2_.has_indirect_call, 0
	.section	.AMDGPU.csdata,"",@progbits
; Kernel info:
; codeLenInByte = 3748
; TotalNumSgprs: 30
; NumVgprs: 27
; NumAgprs: 0
; TotalNumVgprs: 27
; ScratchSize: 0
; MemoryBound: 0
; FloatMode: 240
; IeeeMode: 1
; LDSByteSize: 6144 bytes/workgroup (compile time only)
; SGPRBlocks: 3
; VGPRBlocks: 3
; NumSGPRsForWavesPerEU: 30
; NumVGPRsForWavesPerEU: 27
; AccumOffset: 28
; Occupancy: 8
; WaveLimiterHint : 0
; COMPUTE_PGM_RSRC2:SCRATCH_EN: 0
; COMPUTE_PGM_RSRC2:USER_SGPR: 2
; COMPUTE_PGM_RSRC2:TRAP_HANDLER: 0
; COMPUTE_PGM_RSRC2:TGID_X_EN: 1
; COMPUTE_PGM_RSRC2:TGID_Y_EN: 1
; COMPUTE_PGM_RSRC2:TGID_Z_EN: 0
; COMPUTE_PGM_RSRC2:TIDIG_COMP_CNT: 0
; COMPUTE_PGM_RSRC3_GFX90A:ACCUM_OFFSET: 6
; COMPUTE_PGM_RSRC3_GFX90A:TG_SPLIT: 0
	.section	.text._ZN9rocsparseL33gtsv_solve_spike_propagate_kernelILj256ELj8EfEEviiiPT1_PKS1_S4_S4_,"axG",@progbits,_ZN9rocsparseL33gtsv_solve_spike_propagate_kernelILj256ELj8EfEEviiiPT1_PKS1_S4_S4_,comdat
	.globl	_ZN9rocsparseL33gtsv_solve_spike_propagate_kernelILj256ELj8EfEEviiiPT1_PKS1_S4_S4_ ; -- Begin function _ZN9rocsparseL33gtsv_solve_spike_propagate_kernelILj256ELj8EfEEviiiPT1_PKS1_S4_S4_
	.p2align	8
	.type	_ZN9rocsparseL33gtsv_solve_spike_propagate_kernelILj256ELj8EfEEviiiPT1_PKS1_S4_S4_,@function
_ZN9rocsparseL33gtsv_solve_spike_propagate_kernelILj256ELj8EfEEviiiPT1_PKS1_S4_S4_: ; @_ZN9rocsparseL33gtsv_solve_spike_propagate_kernelILj256ELj8EfEEviiiPT1_PKS1_S4_S4_
; %bb.0:
	s_load_dword s8, s[0:1], 0x0
	v_lshl_or_b32 v2, s2, 8, v0
	v_mov_b32_e32 v4, 0
	v_ashrrev_i32_e32 v3, 31, v2
	v_mov_b32_e32 v5, 0
	s_waitcnt lgkmcnt(0)
	s_lshr_b32 s12, s8, 3
	v_cmp_le_i32_e64 s[4:5], s12, v2
	v_cmp_gt_i32_e32 vcc, s12, v2
	s_and_saveexec_b64 s[6:7], vcc
	s_cbranch_execz .LBB36_2
; %bb.1:
	s_load_dwordx2 s[10:11], s[0:1], 0x18
	v_mad_u64_u32 v[4:5], s[14:15], s12, 7, v[2:3]
	v_mov_b32_e32 v5, 0
	s_waitcnt lgkmcnt(0)
	v_lshl_add_u64 v[6:7], v[2:3], 2, s[10:11]
	v_lshl_add_u64 v[8:9], v[4:5], 2, s[10:11]
	global_load_dword v4, v[6:7], off
	global_load_dword v5, v[8:9], off
.LBB36_2:
	s_or_b64 exec, exec, s[6:7]
	s_load_dwordx2 s[6:7], s[0:1], 0x10
	v_lshlrev_b32_e32 v1, 2, v0
	v_add_u32_e32 v6, 16, v1
	s_waitcnt vmcnt(0)
	ds_write2st64_b32 v6, v4, v5 offset0:16 offset1:20
	s_and_saveexec_b64 s[10:11], s[4:5]
	s_xor_b64 s[4:5], exec, s[10:11]
; %bb.3:
	v_mov_b32_e32 v3, 0
	ds_write2st64_b32 v6, v3, v3 offset0:8 offset1:12
; %bb.4:
	s_or_saveexec_b64 s[4:5], s[4:5]
	v_mov_b32_e32 v4, 0
	s_mul_i32 s8, s8, s3
	v_mov_b32_e32 v5, 0
	s_xor_b64 exec, exec, s[4:5]
	s_cbranch_execz .LBB36_6
; %bb.5:
	s_load_dwordx2 s[10:11], s[0:1], 0x20
	v_mad_u64_u32 v[6:7], s[14:15], s12, 7, v[2:3]
	v_mov_b32_e32 v7, 0
	s_waitcnt lgkmcnt(0)
	v_lshl_add_u64 v[10:11], v[6:7], 2, s[10:11]
	v_add_u32_e32 v6, s8, v6
	v_lshl_add_u64 v[8:9], v[2:3], 2, s[10:11]
	v_lshl_add_u64 v[6:7], v[6:7], 2, s[6:7]
	global_load_dword v3, v[8:9], off
	global_load_dword v12, v[10:11], off
	;; [unrolled: 1-line block ×3, first 2 shown]
	v_add_u32_e32 v6, 16, v1
	s_waitcnt vmcnt(1)
	ds_write2st64_b32 v6, v3, v12 offset0:8 offset1:12
.LBB36_6:
	s_or_b64 exec, exec, s[4:5]
	v_add_u32_e32 v2, s8, v2
	s_waitcnt vmcnt(0)
	ds_write_b32 v1, v5 offset:4
	s_and_saveexec_b64 s[4:5], vcc
	s_cbranch_execz .LBB36_8
; %bb.7:
	v_ashrrev_i32_e32 v3, 31, v2
	s_waitcnt lgkmcnt(0)
	v_lshl_add_u64 v[4:5], v[2:3], 2, s[6:7]
	global_load_dword v4, v[4:5], off
.LBB36_8:
	s_or_b64 exec, exec, s[4:5]
	s_mov_b32 s14, 0
	v_cmp_eq_u32_e64 s[4:5], 0, v0
	s_waitcnt vmcnt(0)
	ds_write_b32 v1, v4 offset:1028
	s_waitcnt lgkmcnt(0)
	s_barrier
	s_and_saveexec_b64 s[8:9], s[4:5]
	s_cbranch_execz .LBB36_14
; %bb.9:
	s_load_dword s13, s[0:1], 0x30
	s_load_dwordx2 s[10:11], s[0:1], 0x28
	s_cmp_lt_i32 s2, 1
	s_waitcnt lgkmcnt(0)
	s_mul_i32 s3, s3, s13
	s_cbranch_scc1 .LBB36_11
; %bb.10:
	s_lshl_b32 s0, s3, 1
	s_add_i32 s1, s2, s13
	s_add_i32 s0, s1, s0
	s_add_i32 s0, s0, -1
	s_mov_b32 s1, 0
	s_lshl_b64 s[0:1], s[0:1], 2
	s_add_u32 s0, s10, s0
	s_addc_u32 s1, s11, s1
	s_load_dword s14, s[0:1], 0x0
.LBB36_11:
	s_add_i32 s0, s13, -1
	v_mov_b32_e32 v3, 0
	s_waitcnt lgkmcnt(0)
	v_mov_b32_e32 v4, s14
	s_mov_b32 s1, 0
	s_cmp_ge_u32 s2, s0
	s_mov_b32 s14, 0
	ds_write_b32 v3, v4
	s_cbranch_scc1 .LBB36_13
; %bb.12:
	s_lshl_b32 s0, s3, 1
	s_add_i32 s0, s2, s0
	s_add_i32 s14, s0, 1
	s_mov_b32 s15, 0
	s_lshl_b64 s[14:15], s[14:15], 2
	s_add_u32 s14, s10, s14
	s_addc_u32 s15, s11, s15
	s_load_dword s14, s[14:15], 0x0
.LBB36_13:
	s_lshl_b32 s0, s3, 1
	s_add_i32 s0, s0, s2
	s_lshl_b64 s[2:3], s[0:1], 2
	s_add_u32 s2, s10, s2
	s_addc_u32 s3, s11, s3
	s_add_i32 s0, s0, s13
	s_lshl_b64 s[0:1], s[0:1], 2
	s_add_u32 s0, s10, s0
	s_addc_u32 s1, s11, s1
	s_load_dword s10, s[0:1], 0x0
	s_load_dword s11, s[2:3], 0x0
	s_waitcnt lgkmcnt(0)
	v_mov_b32_e32 v4, s14
	ds_write_b32 v3, v4 offset:2052
	v_mov_b32_e32 v4, s10
	v_mov_b32_e32 v5, s11
	ds_write_b64 v3, v[4:5] offset:1024
.LBB36_14:
	s_or_b64 exec, exec, s[8:9]
	s_waitcnt lgkmcnt(0)
	s_barrier
	s_and_saveexec_b64 s[0:1], s[4:5]
	s_cbranch_execz .LBB36_16
; %bb.15:
	s_movk_i32 s2, 0xa10
	v_mov_b32_e32 v3, 0
	v_add_u32_e64 v6, s2, 0
	v_add_u32_e64 v8, 4, 0
	s_movk_i32 s2, 0x1210
	ds_read2st64_b32 v[4:5], v3 offset1:2
	ds_read2_b32 v[6:7], v6 offset1:255
	ds_read2st64_b32 v[8:9], v8 offset0:6 offset1:8
	v_add_u32_e64 v10, s2, 0
	ds_read2_b32 v[10:11], v10 offset1:255
	s_waitcnt lgkmcnt(1)
	v_fma_f32 v5, -v7, v9, v5
	s_waitcnt lgkmcnt(0)
	v_fma_f32 v5, -v11, v4, v5
	ds_write_b32 v3, v5 offset:512
	v_fma_f32 v5, -v6, v9, v8
	v_fma_f32 v4, -v10, v4, v5
	ds_write_b32 v3, v4 offset:1540
.LBB36_16:
	s_or_b64 exec, exec, s[0:1]
	v_cmp_gt_u32_e64 s[0:1], 2, v0
	s_waitcnt lgkmcnt(0)
	s_barrier
	s_and_saveexec_b64 s[2:3], s[0:1]
	s_cbranch_execz .LBB36_18
; %bb.17:
	s_movk_i32 s0, 0x1fc
	v_mad_u32_u24 v3, v0, s0, v1
	v_lshlrev_b32_e32 v10, 9, v0
	v_add_u32_e32 v6, 0x910, v10
	v_add_u32_e32 v8, 4, v3
	ds_read2st64_b32 v[4:5], v3 offset1:1
	ds_read2_b32 v[6:7], v6 offset1:255
	ds_read2st64_b32 v[8:9], v8 offset0:5 offset1:6
	v_add_u32_e32 v10, 0x1110, v10
	ds_read2_b32 v[10:11], v10 offset1:255
	s_waitcnt lgkmcnt(1)
	v_fma_f32 v5, -v7, v9, v5
	s_waitcnt lgkmcnt(0)
	v_fma_f32 v5, -v11, v4, v5
	ds_write_b32 v3, v5 offset:256
	v_fma_f32 v5, -v6, v9, v8
	v_fma_f32 v4, -v10, v4, v5
	ds_write_b32 v3, v4 offset:1284
.LBB36_18:
	s_or_b64 exec, exec, s[2:3]
	v_cmp_gt_u32_e64 s[0:1], 4, v0
	s_waitcnt lgkmcnt(0)
	s_barrier
	s_and_saveexec_b64 s[2:3], s[0:1]
	s_cbranch_execz .LBB36_20
; %bb.19:
	v_lshlrev_b32_e32 v3, 8, v0
	v_add_u32_e32 v6, 0x890, v3
	v_add_u32_e32 v8, 0x400, v3
	ds_read2_b32 v[4:5], v3 offset1:32
	ds_read2_b32 v[6:7], v6 offset1:255
	ds_read2_b32 v[8:9], v8 offset0:33 offset1:65
	v_add_u32_e32 v10, 0x1090, v3
	ds_read2_b32 v[10:11], v10 offset1:255
	s_waitcnt lgkmcnt(1)
	v_fma_f32 v5, -v7, v9, v5
	s_waitcnt lgkmcnt(0)
	v_fma_f32 v5, -v11, v4, v5
	ds_write_b32 v3, v5 offset:128
	v_fma_f32 v5, -v6, v9, v8
	v_fma_f32 v4, -v10, v4, v5
	ds_write_b32 v3, v4 offset:1156
.LBB36_20:
	s_or_b64 exec, exec, s[2:3]
	v_cmp_gt_u32_e64 s[0:1], 8, v0
	s_waitcnt lgkmcnt(0)
	s_barrier
	s_and_saveexec_b64 s[2:3], s[0:1]
	s_cbranch_execz .LBB36_22
; %bb.21:
	v_lshlrev_b32_e32 v3, 7, v0
	v_add_u32_e32 v6, 0x850, v3
	v_add_u32_e32 v8, 0x400, v3
	ds_read2_b32 v[4:5], v3 offset1:16
	ds_read2_b32 v[6:7], v6 offset1:255
	ds_read2_b32 v[8:9], v8 offset0:17 offset1:33
	v_add_u32_e32 v10, 0x1050, v3
	ds_read2_b32 v[10:11], v10 offset1:255
	s_waitcnt lgkmcnt(1)
	v_fma_f32 v5, -v7, v9, v5
	s_waitcnt lgkmcnt(0)
	v_fma_f32 v5, -v11, v4, v5
	ds_write_b32 v3, v5 offset:64
	v_fma_f32 v5, -v6, v9, v8
	v_fma_f32 v4, -v10, v4, v5
	ds_write_b32 v3, v4 offset:1092
.LBB36_22:
	s_or_b64 exec, exec, s[2:3]
	v_cmp_gt_u32_e64 s[0:1], 16, v0
	s_waitcnt lgkmcnt(0)
	s_barrier
	s_and_saveexec_b64 s[2:3], s[0:1]
	s_cbranch_execz .LBB36_24
; %bb.23:
	v_lshlrev_b32_e32 v3, 6, v0
	v_add_u32_e32 v6, 0x830, v3
	v_add_u32_e32 v8, 0x400, v3
	ds_read2_b32 v[4:5], v3 offset1:8
	ds_read2_b32 v[6:7], v6 offset1:255
	ds_read2_b32 v[8:9], v8 offset0:9 offset1:17
	v_add_u32_e32 v10, 0x1030, v3
	ds_read2_b32 v[10:11], v10 offset1:255
	s_waitcnt lgkmcnt(1)
	v_fma_f32 v5, -v7, v9, v5
	s_waitcnt lgkmcnt(0)
	v_fma_f32 v5, -v11, v4, v5
	ds_write_b32 v3, v5 offset:32
	v_fma_f32 v5, -v6, v9, v8
	v_fma_f32 v4, -v10, v4, v5
	ds_write_b32 v3, v4 offset:1060
.LBB36_24:
	s_or_b64 exec, exec, s[2:3]
	v_cmp_gt_u32_e64 s[0:1], 32, v0
	s_waitcnt lgkmcnt(0)
	s_barrier
	s_and_saveexec_b64 s[2:3], s[0:1]
	s_cbranch_execz .LBB36_26
; %bb.25:
	v_lshlrev_b32_e32 v3, 5, v0
	v_add_u32_e32 v6, 0x820, v3
	v_add_u32_e32 v8, 0x400, v3
	ds_read2_b32 v[4:5], v3 offset1:4
	ds_read2_b32 v[6:7], v6 offset1:255
	ds_read2_b32 v[8:9], v8 offset0:5 offset1:9
	v_add_u32_e32 v10, 0x1020, v3
	ds_read2_b32 v[10:11], v10 offset1:255
	s_waitcnt lgkmcnt(1)
	v_fma_f32 v5, -v7, v9, v5
	s_waitcnt lgkmcnt(0)
	v_fma_f32 v5, -v11, v4, v5
	ds_write_b32 v3, v5 offset:16
	v_fma_f32 v5, -v6, v9, v8
	v_fma_f32 v4, -v10, v4, v5
	ds_write_b32 v3, v4 offset:1044
.LBB36_26:
	s_or_b64 exec, exec, s[2:3]
	v_cmp_gt_u32_e64 s[0:1], 64, v0
	s_waitcnt lgkmcnt(0)
	s_barrier
	s_and_saveexec_b64 s[2:3], s[0:1]
	s_cbranch_execz .LBB36_28
; %bb.27:
	v_lshlrev_b32_e32 v3, 4, v0
	v_add_u32_e32 v6, 0x818, v3
	v_add_u32_e32 v8, 0x400, v3
	ds_read2_b32 v[4:5], v3 offset1:2
	ds_read2_b32 v[6:7], v6 offset1:255
	ds_read2_b32 v[8:9], v8 offset0:3 offset1:5
	v_add_u32_e32 v10, 0x1018, v3
	ds_read2_b32 v[10:11], v10 offset1:255
	s_waitcnt lgkmcnt(1)
	v_fma_f32 v5, -v7, v9, v5
	s_waitcnt lgkmcnt(0)
	v_fma_f32 v5, -v11, v4, v5
	ds_write_b32 v3, v5 offset:8
	v_fma_f32 v5, -v6, v9, v8
	v_fma_f32 v4, -v10, v4, v5
	ds_write_b32 v3, v4 offset:1036
.LBB36_28:
	s_or_b64 exec, exec, s[2:3]
	s_movk_i32 s0, 0x80
	v_cmp_gt_u32_e64 s[0:1], s0, v0
	s_waitcnt lgkmcnt(0)
	s_barrier
	s_and_saveexec_b64 s[2:3], s[0:1]
	s_cbranch_execz .LBB36_30
; %bb.29:
	v_lshlrev_b32_e32 v0, 3, v0
	v_add_u32_e32 v3, 0x814, v0
	ds_read2_b64 v[4:7], v0 offset1:129
	ds_read2_b32 v[8:9], v3 offset1:255
	v_add_u32_e32 v3, 0x1014, v0
	ds_read2_b32 v[10:11], v3 offset1:255
	s_waitcnt lgkmcnt(1)
	v_fma_f32 v3, -v9, v7, v5
	v_fma_f32 v5, -v8, v7, v6
	s_waitcnt lgkmcnt(0)
	v_fma_f32 v3, -v11, v4, v3
	ds_write_b32 v0, v3 offset:4
	v_fma_f32 v3, -v10, v4, v5
	ds_write_b32 v0, v3 offset:1032
.LBB36_30:
	s_or_b64 exec, exec, s[2:3]
	s_waitcnt lgkmcnt(0)
	s_barrier
	s_and_saveexec_b64 s[0:1], vcc
	s_cbranch_execz .LBB36_32
; %bb.31:
	v_add_u32_e32 v0, 4, v1
	ds_read2st64_b32 v[0:1], v0 offset1:4
	v_ashrrev_i32_e32 v3, 31, v2
	v_lshl_add_u64 v[4:5], v[2:3], 2, s[6:7]
	v_mad_u64_u32 v[2:3], s[0:1], s12, 7, v[2:3]
	v_mov_b32_e32 v3, 0
	v_lshl_add_u64 v[2:3], v[2:3], 2, s[6:7]
	s_waitcnt lgkmcnt(0)
	global_store_dword v[4:5], v1, off
	global_store_dword v[2:3], v0, off
.LBB36_32:
	s_endpgm
	.section	.rodata,"a",@progbits
	.p2align	6, 0x0
	.amdhsa_kernel _ZN9rocsparseL33gtsv_solve_spike_propagate_kernelILj256ELj8EfEEviiiPT1_PKS1_S4_S4_
		.amdhsa_group_segment_fixed_size 6160
		.amdhsa_private_segment_fixed_size 0
		.amdhsa_kernarg_size 304
		.amdhsa_user_sgpr_count 2
		.amdhsa_user_sgpr_dispatch_ptr 0
		.amdhsa_user_sgpr_queue_ptr 0
		.amdhsa_user_sgpr_kernarg_segment_ptr 1
		.amdhsa_user_sgpr_dispatch_id 0
		.amdhsa_user_sgpr_kernarg_preload_length 0
		.amdhsa_user_sgpr_kernarg_preload_offset 0
		.amdhsa_user_sgpr_private_segment_size 0
		.amdhsa_uses_dynamic_stack 0
		.amdhsa_enable_private_segment 0
		.amdhsa_system_sgpr_workgroup_id_x 1
		.amdhsa_system_sgpr_workgroup_id_y 1
		.amdhsa_system_sgpr_workgroup_id_z 0
		.amdhsa_system_sgpr_workgroup_info 0
		.amdhsa_system_vgpr_workitem_id 0
		.amdhsa_next_free_vgpr 13
		.amdhsa_next_free_sgpr 16
		.amdhsa_accum_offset 16
		.amdhsa_reserve_vcc 1
		.amdhsa_float_round_mode_32 0
		.amdhsa_float_round_mode_16_64 0
		.amdhsa_float_denorm_mode_32 3
		.amdhsa_float_denorm_mode_16_64 3
		.amdhsa_dx10_clamp 1
		.amdhsa_ieee_mode 1
		.amdhsa_fp16_overflow 0
		.amdhsa_tg_split 0
		.amdhsa_exception_fp_ieee_invalid_op 0
		.amdhsa_exception_fp_denorm_src 0
		.amdhsa_exception_fp_ieee_div_zero 0
		.amdhsa_exception_fp_ieee_overflow 0
		.amdhsa_exception_fp_ieee_underflow 0
		.amdhsa_exception_fp_ieee_inexact 0
		.amdhsa_exception_int_div_zero 0
	.end_amdhsa_kernel
	.section	.text._ZN9rocsparseL33gtsv_solve_spike_propagate_kernelILj256ELj8EfEEviiiPT1_PKS1_S4_S4_,"axG",@progbits,_ZN9rocsparseL33gtsv_solve_spike_propagate_kernelILj256ELj8EfEEviiiPT1_PKS1_S4_S4_,comdat
.Lfunc_end36:
	.size	_ZN9rocsparseL33gtsv_solve_spike_propagate_kernelILj256ELj8EfEEviiiPT1_PKS1_S4_S4_, .Lfunc_end36-_ZN9rocsparseL33gtsv_solve_spike_propagate_kernelILj256ELj8EfEEviiiPT1_PKS1_S4_S4_
                                        ; -- End function
	.set _ZN9rocsparseL33gtsv_solve_spike_propagate_kernelILj256ELj8EfEEviiiPT1_PKS1_S4_S4_.num_vgpr, 13
	.set _ZN9rocsparseL33gtsv_solve_spike_propagate_kernelILj256ELj8EfEEviiiPT1_PKS1_S4_S4_.num_agpr, 0
	.set _ZN9rocsparseL33gtsv_solve_spike_propagate_kernelILj256ELj8EfEEviiiPT1_PKS1_S4_S4_.numbered_sgpr, 16
	.set _ZN9rocsparseL33gtsv_solve_spike_propagate_kernelILj256ELj8EfEEviiiPT1_PKS1_S4_S4_.num_named_barrier, 0
	.set _ZN9rocsparseL33gtsv_solve_spike_propagate_kernelILj256ELj8EfEEviiiPT1_PKS1_S4_S4_.private_seg_size, 0
	.set _ZN9rocsparseL33gtsv_solve_spike_propagate_kernelILj256ELj8EfEEviiiPT1_PKS1_S4_S4_.uses_vcc, 1
	.set _ZN9rocsparseL33gtsv_solve_spike_propagate_kernelILj256ELj8EfEEviiiPT1_PKS1_S4_S4_.uses_flat_scratch, 0
	.set _ZN9rocsparseL33gtsv_solve_spike_propagate_kernelILj256ELj8EfEEviiiPT1_PKS1_S4_S4_.has_dyn_sized_stack, 0
	.set _ZN9rocsparseL33gtsv_solve_spike_propagate_kernelILj256ELj8EfEEviiiPT1_PKS1_S4_S4_.has_recursion, 0
	.set _ZN9rocsparseL33gtsv_solve_spike_propagate_kernelILj256ELj8EfEEviiiPT1_PKS1_S4_S4_.has_indirect_call, 0
	.section	.AMDGPU.csdata,"",@progbits
; Kernel info:
; codeLenInByte = 1844
; TotalNumSgprs: 22
; NumVgprs: 13
; NumAgprs: 0
; TotalNumVgprs: 13
; ScratchSize: 0
; MemoryBound: 0
; FloatMode: 240
; IeeeMode: 1
; LDSByteSize: 6160 bytes/workgroup (compile time only)
; SGPRBlocks: 2
; VGPRBlocks: 1
; NumSGPRsForWavesPerEU: 22
; NumVGPRsForWavesPerEU: 13
; AccumOffset: 16
; Occupancy: 8
; WaveLimiterHint : 0
; COMPUTE_PGM_RSRC2:SCRATCH_EN: 0
; COMPUTE_PGM_RSRC2:USER_SGPR: 2
; COMPUTE_PGM_RSRC2:TRAP_HANDLER: 0
; COMPUTE_PGM_RSRC2:TGID_X_EN: 1
; COMPUTE_PGM_RSRC2:TGID_Y_EN: 1
; COMPUTE_PGM_RSRC2:TGID_Z_EN: 0
; COMPUTE_PGM_RSRC2:TIDIG_COMP_CNT: 0
; COMPUTE_PGM_RSRC3_GFX90A:ACCUM_OFFSET: 3
; COMPUTE_PGM_RSRC3_GFX90A:TG_SPLIT: 0
	.section	.text._ZN9rocsparseL39gtsv_spike_backward_substitution_kernelILj256ELj8EfEEviiiPT1_PKS1_S4_,"axG",@progbits,_ZN9rocsparseL39gtsv_spike_backward_substitution_kernelILj256ELj8EfEEviiiPT1_PKS1_S4_,comdat
	.globl	_ZN9rocsparseL39gtsv_spike_backward_substitution_kernelILj256ELj8EfEEviiiPT1_PKS1_S4_ ; -- Begin function _ZN9rocsparseL39gtsv_spike_backward_substitution_kernelILj256ELj8EfEEviiiPT1_PKS1_S4_
	.p2align	8
	.type	_ZN9rocsparseL39gtsv_spike_backward_substitution_kernelILj256ELj8EfEEviiiPT1_PKS1_S4_,@function
_ZN9rocsparseL39gtsv_spike_backward_substitution_kernelILj256ELj8EfEEviiiPT1_PKS1_S4_: ; @_ZN9rocsparseL39gtsv_spike_backward_substitution_kernelILj256ELj8EfEEviiiPT1_PKS1_S4_
; %bb.0:
	s_load_dword s6, s[0:1], 0x0
	v_lshl_or_b32 v0, s2, 8, v0
	s_waitcnt lgkmcnt(0)
	s_lshr_b32 s12, s6, 3
	v_cmp_gt_i32_e32 vcc, s12, v0
	s_and_saveexec_b64 s[4:5], vcc
	s_cbranch_execz .LBB37_6
; %bb.1:
	s_load_dwordx2 s[8:9], s[0:1], 0x10
	v_cmp_lt_i32_e32 vcc, 0, v0
	v_mov_b32_e32 v2, 0
	s_mul_i32 s2, s6, s3
	s_and_saveexec_b64 s[4:5], vcc
	s_cbranch_execz .LBB37_3
; %bb.2:
	s_mul_i32 s7, s12, 7
	s_mul_i32 s3, s6, s3
	s_add_i32 s7, s7, s3
	v_add3_u32 v2, v0, s7, -1
	v_mov_b32_e32 v3, 0
	s_waitcnt lgkmcnt(0)
	v_lshl_add_u64 v[2:3], v[2:3], 2, s[8:9]
	global_load_dword v2, v[2:3], off
.LBB37_3:
	s_or_b64 exec, exec, s[4:5]
	v_add_u32_e32 v1, 8, v0
	v_cmp_le_u32_e32 vcc, s6, v1
	s_and_saveexec_b64 s[4:5], vcc
	s_xor_b64 s[4:5], exec, s[4:5]
	s_or_saveexec_b64 s[10:11], s[4:5]
	s_load_dwordx4 s[4:7], s[0:1], 0x18
	v_mov_b32_e32 v1, 0
	v_mov_b32_e32 v3, s2
	s_xor_b64 exec, exec, s[10:11]
	s_cbranch_execz .LBB37_5
; %bb.4:
	s_ashr_i32 s3, s2, 31
	v_ashrrev_i32_e32 v1, 31, v0
	v_lshl_add_u64 v[4:5], v[0:1], 0, s[2:3]
	s_waitcnt lgkmcnt(0)
	v_lshl_add_u64 v[4:5], v[4:5], 2, s[8:9]
	global_load_dword v1, v[4:5], off offset:4
	v_mov_b32_e32 v3, s2
.LBB37_5:
	s_or_b64 exec, exec, s[10:11]
	v_add_u32_e32 v4, s12, v0
	v_add_u32_e32 v6, v4, v3
	v_ashrrev_i32_e32 v5, 31, v4
	v_ashrrev_i32_e32 v7, 31, v6
	v_lshlrev_b64 v[8:9], 2, v[4:5]
	s_waitcnt lgkmcnt(0)
	v_lshl_add_u64 v[6:7], v[6:7], 2, s[8:9]
	v_lshl_add_u64 v[10:11], s[4:5], 0, v[8:9]
	global_load_dword v0, v[6:7], off
	global_load_dword v14, v[10:11], off
	v_lshl_add_u64 v[8:9], s[6:7], 0, v[8:9]
	global_load_dword v15, v[8:9], off
	v_add_u32_e32 v4, s12, v4
	v_ashrrev_i32_e32 v5, 31, v4
	v_add_u32_e32 v8, v4, v3
	v_lshlrev_b64 v[10:11], 2, v[4:5]
	v_ashrrev_i32_e32 v9, 31, v8
	v_lshl_add_u64 v[12:13], s[4:5], 0, v[10:11]
	v_lshl_add_u64 v[8:9], v[8:9], 2, s[8:9]
	global_load_dword v16, v[12:13], off
	v_lshl_add_u64 v[10:11], s[6:7], 0, v[10:11]
	v_add_u32_e32 v4, s12, v4
	v_ashrrev_i32_e32 v5, 31, v4
	s_waitcnt vmcnt(2)
	v_fma_f32 v0, -v2, v14, v0
	s_waitcnt vmcnt(1)
	v_fma_f32 v0, -v1, v15, v0
	global_store_dword v[6:7], v0, off
	global_load_dword v0, v[8:9], off
	s_nop 0
	global_load_dword v14, v[10:11], off
	v_add_u32_e32 v6, v4, v3
	v_lshlrev_b64 v[10:11], 2, v[4:5]
	v_ashrrev_i32_e32 v7, 31, v6
	v_lshl_add_u64 v[12:13], s[4:5], 0, v[10:11]
	v_lshl_add_u64 v[6:7], v[6:7], 2, s[8:9]
	global_load_dword v15, v[12:13], off
	v_lshl_add_u64 v[10:11], s[6:7], 0, v[10:11]
	v_add_u32_e32 v4, s12, v4
	v_ashrrev_i32_e32 v5, 31, v4
	s_waitcnt vmcnt(2)
	v_fma_f32 v0, -v2, v16, v0
	s_waitcnt vmcnt(1)
	v_fma_f32 v0, -v1, v14, v0
	global_store_dword v[8:9], v0, off
	global_load_dword v0, v[6:7], off
	s_nop 0
	global_load_dword v14, v[10:11], off
	;; [unrolled: 17-line block ×4, first 2 shown]
	v_add_u32_e32 v8, v4, v3
	v_ashrrev_i32_e32 v9, 31, v8
	v_lshlrev_b64 v[4:5], 2, v[4:5]
	v_lshl_add_u64 v[8:9], v[8:9], 2, s[8:9]
	v_lshl_add_u64 v[10:11], s[4:5], 0, v[4:5]
	global_load_dword v3, v[10:11], off
	v_lshl_add_u64 v[4:5], s[6:7], 0, v[4:5]
	global_load_dword v4, v[4:5], off
	s_waitcnt vmcnt(3)
	v_fma_f32 v0, -v2, v12, v0
	s_waitcnt vmcnt(2)
	v_fma_f32 v0, -v1, v13, v0
	global_store_dword v[6:7], v0, off
	global_load_dword v0, v[8:9], off
	s_waitcnt vmcnt(0)
	v_fma_f32 v0, -v2, v3, v0
	v_fma_f32 v0, -v1, v4, v0
	global_store_dword v[8:9], v0, off
.LBB37_6:
	s_endpgm
	.section	.rodata,"a",@progbits
	.p2align	6, 0x0
	.amdhsa_kernel _ZN9rocsparseL39gtsv_spike_backward_substitution_kernelILj256ELj8EfEEviiiPT1_PKS1_S4_
		.amdhsa_group_segment_fixed_size 0
		.amdhsa_private_segment_fixed_size 0
		.amdhsa_kernarg_size 40
		.amdhsa_user_sgpr_count 2
		.amdhsa_user_sgpr_dispatch_ptr 0
		.amdhsa_user_sgpr_queue_ptr 0
		.amdhsa_user_sgpr_kernarg_segment_ptr 1
		.amdhsa_user_sgpr_dispatch_id 0
		.amdhsa_user_sgpr_kernarg_preload_length 0
		.amdhsa_user_sgpr_kernarg_preload_offset 0
		.amdhsa_user_sgpr_private_segment_size 0
		.amdhsa_uses_dynamic_stack 0
		.amdhsa_enable_private_segment 0
		.amdhsa_system_sgpr_workgroup_id_x 1
		.amdhsa_system_sgpr_workgroup_id_y 1
		.amdhsa_system_sgpr_workgroup_id_z 0
		.amdhsa_system_sgpr_workgroup_info 0
		.amdhsa_system_vgpr_workitem_id 0
		.amdhsa_next_free_vgpr 17
		.amdhsa_next_free_sgpr 13
		.amdhsa_accum_offset 20
		.amdhsa_reserve_vcc 1
		.amdhsa_float_round_mode_32 0
		.amdhsa_float_round_mode_16_64 0
		.amdhsa_float_denorm_mode_32 3
		.amdhsa_float_denorm_mode_16_64 3
		.amdhsa_dx10_clamp 1
		.amdhsa_ieee_mode 1
		.amdhsa_fp16_overflow 0
		.amdhsa_tg_split 0
		.amdhsa_exception_fp_ieee_invalid_op 0
		.amdhsa_exception_fp_denorm_src 0
		.amdhsa_exception_fp_ieee_div_zero 0
		.amdhsa_exception_fp_ieee_overflow 0
		.amdhsa_exception_fp_ieee_underflow 0
		.amdhsa_exception_fp_ieee_inexact 0
		.amdhsa_exception_int_div_zero 0
	.end_amdhsa_kernel
	.section	.text._ZN9rocsparseL39gtsv_spike_backward_substitution_kernelILj256ELj8EfEEviiiPT1_PKS1_S4_,"axG",@progbits,_ZN9rocsparseL39gtsv_spike_backward_substitution_kernelILj256ELj8EfEEviiiPT1_PKS1_S4_,comdat
.Lfunc_end37:
	.size	_ZN9rocsparseL39gtsv_spike_backward_substitution_kernelILj256ELj8EfEEviiiPT1_PKS1_S4_, .Lfunc_end37-_ZN9rocsparseL39gtsv_spike_backward_substitution_kernelILj256ELj8EfEEviiiPT1_PKS1_S4_
                                        ; -- End function
	.set _ZN9rocsparseL39gtsv_spike_backward_substitution_kernelILj256ELj8EfEEviiiPT1_PKS1_S4_.num_vgpr, 17
	.set _ZN9rocsparseL39gtsv_spike_backward_substitution_kernelILj256ELj8EfEEviiiPT1_PKS1_S4_.num_agpr, 0
	.set _ZN9rocsparseL39gtsv_spike_backward_substitution_kernelILj256ELj8EfEEviiiPT1_PKS1_S4_.numbered_sgpr, 13
	.set _ZN9rocsparseL39gtsv_spike_backward_substitution_kernelILj256ELj8EfEEviiiPT1_PKS1_S4_.num_named_barrier, 0
	.set _ZN9rocsparseL39gtsv_spike_backward_substitution_kernelILj256ELj8EfEEviiiPT1_PKS1_S4_.private_seg_size, 0
	.set _ZN9rocsparseL39gtsv_spike_backward_substitution_kernelILj256ELj8EfEEviiiPT1_PKS1_S4_.uses_vcc, 1
	.set _ZN9rocsparseL39gtsv_spike_backward_substitution_kernelILj256ELj8EfEEviiiPT1_PKS1_S4_.uses_flat_scratch, 0
	.set _ZN9rocsparseL39gtsv_spike_backward_substitution_kernelILj256ELj8EfEEviiiPT1_PKS1_S4_.has_dyn_sized_stack, 0
	.set _ZN9rocsparseL39gtsv_spike_backward_substitution_kernelILj256ELj8EfEEviiiPT1_PKS1_S4_.has_recursion, 0
	.set _ZN9rocsparseL39gtsv_spike_backward_substitution_kernelILj256ELj8EfEEviiiPT1_PKS1_S4_.has_indirect_call, 0
	.section	.AMDGPU.csdata,"",@progbits
; Kernel info:
; codeLenInByte = 844
; TotalNumSgprs: 19
; NumVgprs: 17
; NumAgprs: 0
; TotalNumVgprs: 17
; ScratchSize: 0
; MemoryBound: 0
; FloatMode: 240
; IeeeMode: 1
; LDSByteSize: 0 bytes/workgroup (compile time only)
; SGPRBlocks: 2
; VGPRBlocks: 2
; NumSGPRsForWavesPerEU: 19
; NumVGPRsForWavesPerEU: 17
; AccumOffset: 20
; Occupancy: 8
; WaveLimiterHint : 0
; COMPUTE_PGM_RSRC2:SCRATCH_EN: 0
; COMPUTE_PGM_RSRC2:USER_SGPR: 2
; COMPUTE_PGM_RSRC2:TRAP_HANDLER: 0
; COMPUTE_PGM_RSRC2:TGID_X_EN: 1
; COMPUTE_PGM_RSRC2:TGID_Y_EN: 1
; COMPUTE_PGM_RSRC2:TGID_Z_EN: 0
; COMPUTE_PGM_RSRC2:TIDIG_COMP_CNT: 0
; COMPUTE_PGM_RSRC3_GFX90A:ACCUM_OFFSET: 4
; COMPUTE_PGM_RSRC3_GFX90A:TG_SPLIT: 0
	.section	.text._ZN9rocsparseL32gtsv_transpose_back_array_kernelILj256ELj8EfEEviiiPKT1_PS1_,"axG",@progbits,_ZN9rocsparseL32gtsv_transpose_back_array_kernelILj256ELj8EfEEviiiPKT1_PS1_,comdat
	.globl	_ZN9rocsparseL32gtsv_transpose_back_array_kernelILj256ELj8EfEEviiiPKT1_PS1_ ; -- Begin function _ZN9rocsparseL32gtsv_transpose_back_array_kernelILj256ELj8EfEEviiiPKT1_PS1_
	.p2align	8
	.type	_ZN9rocsparseL32gtsv_transpose_back_array_kernelILj256ELj8EfEEviiiPKT1_PS1_,@function
_ZN9rocsparseL32gtsv_transpose_back_array_kernelILj256ELj8EfEEviiiPKT1_PS1_: ; @_ZN9rocsparseL32gtsv_transpose_back_array_kernelILj256ELj8EfEEviiiPKT1_PS1_
; %bb.0:
	s_load_dwordx4 s[4:7], s[0:1], 0x0
	v_lshl_or_b32 v0, s2, 8, v0
	v_lshlrev_b32_e32 v2, 3, v0
	s_waitcnt lgkmcnt(0)
	v_cvt_f32_u32_e32 v1, s5
	s_sub_i32 s2, 0, s5
	v_rcp_iflag_f32_e32 v1, v1
	s_nop 0
	v_mul_f32_e32 v1, 0x4f7ffffe, v1
	v_cvt_u32_f32_e32 v1, v1
	v_mul_lo_u32 v3, s2, v1
	v_mul_hi_u32 v3, v1, v3
	v_add_u32_e32 v1, v1, v3
	v_mul_hi_u32 v1, v2, v1
	v_mul_lo_u32 v3, v1, s5
	v_sub_u32_e32 v3, v2, v3
	v_add_u32_e32 v4, 1, v1
	v_cmp_le_u32_e32 vcc, s5, v3
	s_nop 1
	v_cndmask_b32_e32 v1, v1, v4, vcc
	v_subrev_u32_e32 v4, s5, v3
	v_cndmask_b32_e32 v3, v3, v4, vcc
	v_add_u32_e32 v4, 1, v1
	v_cmp_le_u32_e32 vcc, s5, v3
	s_nop 1
	v_cndmask_b32_e32 v1, v1, v4, vcc
	v_mul_lo_u32 v3, v1, s5
	v_sub_u32_e32 v2, v2, v3
	v_add_u32_e32 v1, v1, v2
	v_cmp_gt_i32_e32 vcc, s4, v1
	s_and_saveexec_b64 s[8:9], vcc
	s_cbranch_execz .LBB38_2
; %bb.1:
	s_load_dwordx4 s[8:11], s[0:1], 0x10
	s_mul_i32 s0, s5, s3
	v_add_u32_e32 v2, s0, v0
	v_ashrrev_i32_e32 v3, 31, v2
	s_mul_i32 s0, s6, s3
	s_waitcnt lgkmcnt(0)
	v_lshl_add_u64 v[2:3], v[2:3], 2, s[8:9]
	global_load_dword v2, v[2:3], off
	v_add_u32_e32 v0, s0, v1
	v_ashrrev_i32_e32 v1, 31, v0
	v_lshl_add_u64 v[0:1], v[0:1], 2, s[10:11]
	s_waitcnt vmcnt(0)
	global_store_dword v[0:1], v2, off
.LBB38_2:
	s_endpgm
	.section	.rodata,"a",@progbits
	.p2align	6, 0x0
	.amdhsa_kernel _ZN9rocsparseL32gtsv_transpose_back_array_kernelILj256ELj8EfEEviiiPKT1_PS1_
		.amdhsa_group_segment_fixed_size 0
		.amdhsa_private_segment_fixed_size 0
		.amdhsa_kernarg_size 32
		.amdhsa_user_sgpr_count 2
		.amdhsa_user_sgpr_dispatch_ptr 0
		.amdhsa_user_sgpr_queue_ptr 0
		.amdhsa_user_sgpr_kernarg_segment_ptr 1
		.amdhsa_user_sgpr_dispatch_id 0
		.amdhsa_user_sgpr_kernarg_preload_length 0
		.amdhsa_user_sgpr_kernarg_preload_offset 0
		.amdhsa_user_sgpr_private_segment_size 0
		.amdhsa_uses_dynamic_stack 0
		.amdhsa_enable_private_segment 0
		.amdhsa_system_sgpr_workgroup_id_x 1
		.amdhsa_system_sgpr_workgroup_id_y 1
		.amdhsa_system_sgpr_workgroup_id_z 0
		.amdhsa_system_sgpr_workgroup_info 0
		.amdhsa_system_vgpr_workitem_id 0
		.amdhsa_next_free_vgpr 5
		.amdhsa_next_free_sgpr 12
		.amdhsa_accum_offset 8
		.amdhsa_reserve_vcc 1
		.amdhsa_float_round_mode_32 0
		.amdhsa_float_round_mode_16_64 0
		.amdhsa_float_denorm_mode_32 3
		.amdhsa_float_denorm_mode_16_64 3
		.amdhsa_dx10_clamp 1
		.amdhsa_ieee_mode 1
		.amdhsa_fp16_overflow 0
		.amdhsa_tg_split 0
		.amdhsa_exception_fp_ieee_invalid_op 0
		.amdhsa_exception_fp_denorm_src 0
		.amdhsa_exception_fp_ieee_div_zero 0
		.amdhsa_exception_fp_ieee_overflow 0
		.amdhsa_exception_fp_ieee_underflow 0
		.amdhsa_exception_fp_ieee_inexact 0
		.amdhsa_exception_int_div_zero 0
	.end_amdhsa_kernel
	.section	.text._ZN9rocsparseL32gtsv_transpose_back_array_kernelILj256ELj8EfEEviiiPKT1_PS1_,"axG",@progbits,_ZN9rocsparseL32gtsv_transpose_back_array_kernelILj256ELj8EfEEviiiPKT1_PS1_,comdat
.Lfunc_end38:
	.size	_ZN9rocsparseL32gtsv_transpose_back_array_kernelILj256ELj8EfEEviiiPKT1_PS1_, .Lfunc_end38-_ZN9rocsparseL32gtsv_transpose_back_array_kernelILj256ELj8EfEEviiiPKT1_PS1_
                                        ; -- End function
	.set _ZN9rocsparseL32gtsv_transpose_back_array_kernelILj256ELj8EfEEviiiPKT1_PS1_.num_vgpr, 5
	.set _ZN9rocsparseL32gtsv_transpose_back_array_kernelILj256ELj8EfEEviiiPKT1_PS1_.num_agpr, 0
	.set _ZN9rocsparseL32gtsv_transpose_back_array_kernelILj256ELj8EfEEviiiPKT1_PS1_.numbered_sgpr, 12
	.set _ZN9rocsparseL32gtsv_transpose_back_array_kernelILj256ELj8EfEEviiiPKT1_PS1_.num_named_barrier, 0
	.set _ZN9rocsparseL32gtsv_transpose_back_array_kernelILj256ELj8EfEEviiiPKT1_PS1_.private_seg_size, 0
	.set _ZN9rocsparseL32gtsv_transpose_back_array_kernelILj256ELj8EfEEviiiPKT1_PS1_.uses_vcc, 1
	.set _ZN9rocsparseL32gtsv_transpose_back_array_kernelILj256ELj8EfEEviiiPKT1_PS1_.uses_flat_scratch, 0
	.set _ZN9rocsparseL32gtsv_transpose_back_array_kernelILj256ELj8EfEEviiiPKT1_PS1_.has_dyn_sized_stack, 0
	.set _ZN9rocsparseL32gtsv_transpose_back_array_kernelILj256ELj8EfEEviiiPKT1_PS1_.has_recursion, 0
	.set _ZN9rocsparseL32gtsv_transpose_back_array_kernelILj256ELj8EfEEviiiPKT1_PS1_.has_indirect_call, 0
	.section	.AMDGPU.csdata,"",@progbits
; Kernel info:
; codeLenInByte = 236
; TotalNumSgprs: 18
; NumVgprs: 5
; NumAgprs: 0
; TotalNumVgprs: 5
; ScratchSize: 0
; MemoryBound: 0
; FloatMode: 240
; IeeeMode: 1
; LDSByteSize: 0 bytes/workgroup (compile time only)
; SGPRBlocks: 2
; VGPRBlocks: 0
; NumSGPRsForWavesPerEU: 18
; NumVGPRsForWavesPerEU: 5
; AccumOffset: 8
; Occupancy: 8
; WaveLimiterHint : 0
; COMPUTE_PGM_RSRC2:SCRATCH_EN: 0
; COMPUTE_PGM_RSRC2:USER_SGPR: 2
; COMPUTE_PGM_RSRC2:TRAP_HANDLER: 0
; COMPUTE_PGM_RSRC2:TGID_X_EN: 1
; COMPUTE_PGM_RSRC2:TGID_Y_EN: 1
; COMPUTE_PGM_RSRC2:TGID_Z_EN: 0
; COMPUTE_PGM_RSRC2:TIDIG_COMP_CNT: 0
; COMPUTE_PGM_RSRC3_GFX90A:ACCUM_OFFSET: 1
; COMPUTE_PGM_RSRC3_GFX90A:TG_SPLIT: 0
	.section	.text._ZN9rocsparseL42gtsv_transpose_and_pad_array_shared_kernelILj256ELj16EfEEviiiPKT1_PS1_S1_,"axG",@progbits,_ZN9rocsparseL42gtsv_transpose_and_pad_array_shared_kernelILj256ELj16EfEEviiiPKT1_PS1_S1_,comdat
	.globl	_ZN9rocsparseL42gtsv_transpose_and_pad_array_shared_kernelILj256ELj16EfEEviiiPKT1_PS1_S1_ ; -- Begin function _ZN9rocsparseL42gtsv_transpose_and_pad_array_shared_kernelILj256ELj16EfEEviiiPKT1_PS1_S1_
	.p2align	8
	.type	_ZN9rocsparseL42gtsv_transpose_and_pad_array_shared_kernelILj256ELj16EfEEviiiPKT1_PS1_S1_,@function
_ZN9rocsparseL42gtsv_transpose_and_pad_array_shared_kernelILj256ELj16EfEEviiiPKT1_PS1_S1_: ; @_ZN9rocsparseL42gtsv_transpose_and_pad_array_shared_kernelILj256ELj16EfEEviiiPKT1_PS1_S1_
; %bb.0:
	s_load_dwordx4 s[4:7], s[0:1], 0x0
	s_waitcnt lgkmcnt(0)
	s_load_dword s7, s[0:1], 0x20
	v_lshl_or_b32 v1, s2, 8, v0
	v_cmp_gt_i32_e32 vcc, s4, v1
	s_waitcnt lgkmcnt(0)
	v_mov_b32_e32 v4, s7
	s_and_saveexec_b64 s[8:9], vcc
	s_cbranch_execz .LBB39_2
; %bb.1:
	s_load_dwordx2 s[10:11], s[0:1], 0x10
	s_mul_i32 s4, s6, s3
	v_add_u32_e32 v2, s4, v1
	v_ashrrev_i32_e32 v3, 31, v2
	s_waitcnt lgkmcnt(0)
	v_lshl_add_u64 v[2:3], v[2:3], 2, s[10:11]
	global_load_dword v4, v[2:3], off
.LBB39_2:
	s_or_b64 exec, exec, s[8:9]
	v_lshrrev_b32_e32 v2, 4, v0
	v_and_b32_e32 v3, 15, v0
	v_lshlrev_b32_e32 v0, 2, v0
	s_waitcnt vmcnt(0)
	ds_write_b32 v0, v4
	s_lshr_b32 s4, s5, 4
	v_lshl_or_b32 v0, s2, 4, v3
	v_mad_u64_u32 v[0:1], s[6:7], s4, v2, v[0:1]
	v_cmp_gt_i32_e32 vcc, s5, v0
	s_waitcnt lgkmcnt(0)
	s_barrier
	s_and_saveexec_b64 s[6:7], vcc
	s_cbranch_execz .LBB39_4
; %bb.3:
	v_lshlrev_b32_e32 v1, 2, v2
	s_load_dwordx2 s[0:1], s[0:1], 0x18
	v_lshl_or_b32 v1, v3, 6, v1
	ds_read_b32 v2, v1
	s_mul_i32 s2, s5, s3
	v_add_u32_e32 v0, s2, v0
	v_ashrrev_i32_e32 v1, 31, v0
	s_waitcnt lgkmcnt(0)
	v_lshl_add_u64 v[0:1], v[0:1], 2, s[0:1]
	global_store_dword v[0:1], v2, off
.LBB39_4:
	s_endpgm
	.section	.rodata,"a",@progbits
	.p2align	6, 0x0
	.amdhsa_kernel _ZN9rocsparseL42gtsv_transpose_and_pad_array_shared_kernelILj256ELj16EfEEviiiPKT1_PS1_S1_
		.amdhsa_group_segment_fixed_size 1024
		.amdhsa_private_segment_fixed_size 0
		.amdhsa_kernarg_size 36
		.amdhsa_user_sgpr_count 2
		.amdhsa_user_sgpr_dispatch_ptr 0
		.amdhsa_user_sgpr_queue_ptr 0
		.amdhsa_user_sgpr_kernarg_segment_ptr 1
		.amdhsa_user_sgpr_dispatch_id 0
		.amdhsa_user_sgpr_kernarg_preload_length 0
		.amdhsa_user_sgpr_kernarg_preload_offset 0
		.amdhsa_user_sgpr_private_segment_size 0
		.amdhsa_uses_dynamic_stack 0
		.amdhsa_enable_private_segment 0
		.amdhsa_system_sgpr_workgroup_id_x 1
		.amdhsa_system_sgpr_workgroup_id_y 1
		.amdhsa_system_sgpr_workgroup_id_z 0
		.amdhsa_system_sgpr_workgroup_info 0
		.amdhsa_system_vgpr_workitem_id 0
		.amdhsa_next_free_vgpr 5
		.amdhsa_next_free_sgpr 12
		.amdhsa_accum_offset 8
		.amdhsa_reserve_vcc 1
		.amdhsa_float_round_mode_32 0
		.amdhsa_float_round_mode_16_64 0
		.amdhsa_float_denorm_mode_32 3
		.amdhsa_float_denorm_mode_16_64 3
		.amdhsa_dx10_clamp 1
		.amdhsa_ieee_mode 1
		.amdhsa_fp16_overflow 0
		.amdhsa_tg_split 0
		.amdhsa_exception_fp_ieee_invalid_op 0
		.amdhsa_exception_fp_denorm_src 0
		.amdhsa_exception_fp_ieee_div_zero 0
		.amdhsa_exception_fp_ieee_overflow 0
		.amdhsa_exception_fp_ieee_underflow 0
		.amdhsa_exception_fp_ieee_inexact 0
		.amdhsa_exception_int_div_zero 0
	.end_amdhsa_kernel
	.section	.text._ZN9rocsparseL42gtsv_transpose_and_pad_array_shared_kernelILj256ELj16EfEEviiiPKT1_PS1_S1_,"axG",@progbits,_ZN9rocsparseL42gtsv_transpose_and_pad_array_shared_kernelILj256ELj16EfEEviiiPKT1_PS1_S1_,comdat
.Lfunc_end39:
	.size	_ZN9rocsparseL42gtsv_transpose_and_pad_array_shared_kernelILj256ELj16EfEEviiiPKT1_PS1_S1_, .Lfunc_end39-_ZN9rocsparseL42gtsv_transpose_and_pad_array_shared_kernelILj256ELj16EfEEviiiPKT1_PS1_S1_
                                        ; -- End function
	.set _ZN9rocsparseL42gtsv_transpose_and_pad_array_shared_kernelILj256ELj16EfEEviiiPKT1_PS1_S1_.num_vgpr, 5
	.set _ZN9rocsparseL42gtsv_transpose_and_pad_array_shared_kernelILj256ELj16EfEEviiiPKT1_PS1_S1_.num_agpr, 0
	.set _ZN9rocsparseL42gtsv_transpose_and_pad_array_shared_kernelILj256ELj16EfEEviiiPKT1_PS1_S1_.numbered_sgpr, 12
	.set _ZN9rocsparseL42gtsv_transpose_and_pad_array_shared_kernelILj256ELj16EfEEviiiPKT1_PS1_S1_.num_named_barrier, 0
	.set _ZN9rocsparseL42gtsv_transpose_and_pad_array_shared_kernelILj256ELj16EfEEviiiPKT1_PS1_S1_.private_seg_size, 0
	.set _ZN9rocsparseL42gtsv_transpose_and_pad_array_shared_kernelILj256ELj16EfEEviiiPKT1_PS1_S1_.uses_vcc, 1
	.set _ZN9rocsparseL42gtsv_transpose_and_pad_array_shared_kernelILj256ELj16EfEEviiiPKT1_PS1_S1_.uses_flat_scratch, 0
	.set _ZN9rocsparseL42gtsv_transpose_and_pad_array_shared_kernelILj256ELj16EfEEviiiPKT1_PS1_S1_.has_dyn_sized_stack, 0
	.set _ZN9rocsparseL42gtsv_transpose_and_pad_array_shared_kernelILj256ELj16EfEEviiiPKT1_PS1_S1_.has_recursion, 0
	.set _ZN9rocsparseL42gtsv_transpose_and_pad_array_shared_kernelILj256ELj16EfEEviiiPKT1_PS1_S1_.has_indirect_call, 0
	.section	.AMDGPU.csdata,"",@progbits
; Kernel info:
; codeLenInByte = 220
; TotalNumSgprs: 18
; NumVgprs: 5
; NumAgprs: 0
; TotalNumVgprs: 5
; ScratchSize: 0
; MemoryBound: 0
; FloatMode: 240
; IeeeMode: 1
; LDSByteSize: 1024 bytes/workgroup (compile time only)
; SGPRBlocks: 2
; VGPRBlocks: 0
; NumSGPRsForWavesPerEU: 18
; NumVGPRsForWavesPerEU: 5
; AccumOffset: 8
; Occupancy: 8
; WaveLimiterHint : 0
; COMPUTE_PGM_RSRC2:SCRATCH_EN: 0
; COMPUTE_PGM_RSRC2:USER_SGPR: 2
; COMPUTE_PGM_RSRC2:TRAP_HANDLER: 0
; COMPUTE_PGM_RSRC2:TGID_X_EN: 1
; COMPUTE_PGM_RSRC2:TGID_Y_EN: 1
; COMPUTE_PGM_RSRC2:TGID_Z_EN: 0
; COMPUTE_PGM_RSRC2:TIDIG_COMP_CNT: 0
; COMPUTE_PGM_RSRC3_GFX90A:ACCUM_OFFSET: 1
; COMPUTE_PGM_RSRC3_GFX90A:TG_SPLIT: 0
	.section	.text._ZN9rocsparseL18gtsv_LBM_wv_kernelILj256ELj16EfEEviiiPKT1_S3_S3_PS1_S4_S4_Pi,"axG",@progbits,_ZN9rocsparseL18gtsv_LBM_wv_kernelILj256ELj16EfEEviiiPKT1_S3_S3_PS1_S4_S4_Pi,comdat
	.globl	_ZN9rocsparseL18gtsv_LBM_wv_kernelILj256ELj16EfEEviiiPKT1_S3_S3_PS1_S4_S4_Pi ; -- Begin function _ZN9rocsparseL18gtsv_LBM_wv_kernelILj256ELj16EfEEviiiPKT1_S3_S3_PS1_S4_S4_Pi
	.p2align	8
	.type	_ZN9rocsparseL18gtsv_LBM_wv_kernelILj256ELj16EfEEviiiPKT1_S3_S3_PS1_S4_S4_Pi,@function
_ZN9rocsparseL18gtsv_LBM_wv_kernelILj256ELj16EfEEviiiPKT1_S3_S3_PS1_S4_S4_Pi: ; @_ZN9rocsparseL18gtsv_LBM_wv_kernelILj256ELj16EfEEviiiPKT1_S3_S3_PS1_S4_S4_Pi
; %bb.0:
	s_load_dword s27, s[0:1], 0x0
	v_lshl_or_b32 v0, s2, 8, v0
	s_waitcnt lgkmcnt(0)
	s_lshr_b32 s26, s27, 4
	v_cmp_gt_i32_e32 vcc, s26, v0
	s_and_saveexec_b64 s[2:3], vcc
	s_cbranch_execz .LBB40_30
; %bb.1:
	s_load_dwordx2 s[16:17], s[0:1], 0x10
	s_load_dwordx8 s[8:15], s[0:1], 0x20
	v_ashrrev_i32_e32 v1, 31, v0
	v_lshlrev_b64 v[2:3], 2, v[0:1]
	s_mul_i32 s28, s26, 15
	s_waitcnt lgkmcnt(0)
	v_lshl_add_u64 v[4:5], s[16:17], 0, v[2:3]
	global_load_dword v10, v[4:5], off
	v_add_u32_e32 v4, s28, v0
	v_mov_b32_e32 v5, 0
	v_lshlrev_b64 v[6:7], 2, v[4:5]
	v_lshl_add_u64 v[8:9], s[8:9], 0, v[6:7]
	global_load_dword v4, v[8:9], off
	s_load_dwordx2 s[6:7], s[0:1], 0x40
	v_lshl_add_u64 v[2:3], s[10:11], 0, v[2:3]
	s_cmp_lt_i32 s27, 1
	v_add_u32_e32 v13, s26, v0
	v_lshl_add_u64 v[6:7], s[12:13], 0, v[6:7]
	s_waitcnt vmcnt(1)
	global_store_dword v[2:3], v10, off
	s_waitcnt vmcnt(1)
	global_store_dword v[6:7], v4, off
	v_mov_b32_e32 v4, v5
	s_cbranch_scc1 .LBB40_23
; %bb.2:
	s_load_dwordx2 s[18:19], s[0:1], 0x18
	s_mov_b32 s22, 0x372fe950
	s_mul_i32 s29, s26, 14
	s_lshl_b32 s30, s26, 1
	s_mov_b64 s[20:21], 0
	s_waitcnt lgkmcnt(0)
	v_lshl_add_u64 v[4:5], v[0:1], 2, s[18:19]
	global_load_dword v6, v[4:5], off
	v_add_u32_e32 v1, s26, v13
	v_mov_b32_e32 v4, 0
	s_mov_b32 s23, 0x3fe3c6ef
	v_mov_b32_e32 v24, 2
	v_mov_b32_e32 v25, 1
	s_branch .LBB40_5
.LBB40_3:                               ;   in Loop: Header=BB40_5 Depth=1
	s_or_b64 exec, exec, s[4:5]
	v_fma_f32 v6, -v6, v27, v8
	v_mov_b32_e32 v5, s26
.LBB40_4:                               ;   in Loop: Header=BB40_5 Depth=1
	s_or_b64 exec, exec, s[2:3]
	v_add_u32_e32 v4, v5, v4
	v_cmp_le_i32_e32 vcc, s27, v4
	s_or_b64 s[20:21], vcc, s[20:21]
	s_andn2_b64 exec, exec, s[20:21]
	s_cbranch_execz .LBB40_22
.LBB40_5:                               ; =>This Inner Loop Header: Depth=1
	v_add_u32_e32 v10, v4, v0
	v_ashrrev_i32_e32 v11, 31, v10
	v_lshl_add_u64 v[8:9], v[10:11], 2, s[8:9]
	global_load_dword v9, v[8:9], off
	v_cmp_gt_u32_e64 s[0:1], s28, v4
	v_mov_b32_e32 v7, 0
	s_and_saveexec_b64 s[2:3], s[0:1]
	s_cbranch_execz .LBB40_7
; %bb.6:                                ;   in Loop: Header=BB40_5 Depth=1
	v_add_u32_e32 v14, v13, v4
	v_ashrrev_i32_e32 v15, 31, v14
	v_lshl_add_u64 v[14:15], v[14:15], 2, s[16:17]
	global_load_dword v7, v[14:15], off
.LBB40_7:                               ;   in Loop: Header=BB40_5 Depth=1
	s_or_b64 exec, exec, s[2:3]
	v_mov_b32_e32 v26, 0
	v_mov_b32_e32 v8, 0
	s_and_saveexec_b64 s[2:3], s[0:1]
	s_cbranch_execz .LBB40_9
; %bb.8:                                ;   in Loop: Header=BB40_5 Depth=1
	v_add_u32_e32 v14, v13, v4
	v_ashrrev_i32_e32 v15, 31, v14
	v_lshl_add_u64 v[14:15], v[14:15], 2, s[18:19]
	global_load_dword v8, v[14:15], off
.LBB40_9:                               ;   in Loop: Header=BB40_5 Depth=1
	s_or_b64 exec, exec, s[2:3]
	s_and_saveexec_b64 s[2:3], s[0:1]
	s_cbranch_execz .LBB40_11
; %bb.10:                               ;   in Loop: Header=BB40_5 Depth=1
	v_add_u32_e32 v14, v13, v4
	v_ashrrev_i32_e32 v15, 31, v14
	v_lshl_add_u64 v[14:15], v[14:15], 2, s[8:9]
	global_load_dword v26, v[14:15], off
.LBB40_11:                              ;   in Loop: Header=BB40_5 Depth=1
	s_or_b64 exec, exec, s[2:3]
	v_cmp_gt_u32_e64 s[2:3], s29, v4
	v_mov_b32_e32 v12, 0
	s_and_saveexec_b64 s[4:5], s[2:3]
	s_cbranch_execz .LBB40_13
; %bb.12:                               ;   in Loop: Header=BB40_5 Depth=1
	v_add_u32_e32 v14, v1, v4
	v_ashrrev_i32_e32 v15, 31, v14
	v_lshl_add_u64 v[14:15], v[14:15], 2, s[16:17]
	global_load_dword v12, v[14:15], off
.LBB40_13:                              ;   in Loop: Header=BB40_5 Depth=1
	s_or_b64 exec, exec, s[4:5]
	s_waitcnt vmcnt(0)
	v_cmp_gt_f32_e32 vcc, 0, v7
	v_mul_f32_e32 v27, v9, v7
	v_cmp_ne_u32_e64 s[4:5], s28, v4
	v_cndmask_b32_e64 v5, v7, -v7, vcc
	v_cmp_gt_f32_e32 vcc, 0, v12
	s_nop 1
	v_cndmask_b32_e64 v14, v12, -v12, vcc
	v_cmp_lt_f32_e32 vcc, v5, v14
	s_nop 1
	v_cndmask_b32_e32 v5, v5, v14, vcc
	v_cmp_gt_f32_e32 vcc, 0, v8
	s_nop 1
	v_cndmask_b32_e64 v14, v8, -v8, vcc
	v_cmp_lt_f32_e32 vcc, v14, v5
	s_nop 1
	v_cndmask_b32_e32 v5, v14, v5, vcc
	;; [unrolled: 6-line block ×4, first 2 shown]
	v_cmp_gt_f32_e32 vcc, 0, v6
	v_cvt_f64_f32_e32 v[14:15], v5
	s_nop 0
	v_cndmask_b32_e64 v5, v6, -v6, vcc
	v_cmp_gt_f32_e32 vcc, 0, v27
	v_cvt_f64_f32_e32 v[16:17], v5
	v_mul_f64 v[14:15], v[16:17], v[14:15]
	v_cndmask_b32_e64 v5, v27, -v27, vcc
	v_cvt_f64_f32_e32 v[16:17], v5
	v_mul_f64 v[16:17], v[16:17], s[22:23]
	v_cmp_nge_f64_e32 vcc, v[14:15], v[16:17]
	s_and_b64 s[4:5], s[4:5], vcc
	s_and_saveexec_b64 s[24:25], s[4:5]
	s_xor_b64 s[4:5], exec, s[24:25]
	s_cbranch_execz .LBB40_19
; %bb.14:                               ;   in Loop: Header=BB40_5 Depth=1
	v_add_u32_e32 v16, v13, v4
	v_ashrrev_i32_e32 v17, 31, v16
	v_ashrrev_i32_e32 v5, 31, v4
	v_lshlrev_b64 v[16:17], 2, v[16:17]
	v_lshl_add_u64 v[28:29], v[4:5], 2, v[2:3]
	v_lshl_add_u64 v[20:21], s[10:11], 0, v[16:17]
	v_lshlrev_b64 v[10:11], 2, v[10:11]
	global_load_dword v14, v[28:29], off
	global_load_dword v15, v[20:21], off
	v_lshl_add_u64 v[30:31], s[12:13], 0, v[10:11]
	v_lshl_add_u64 v[18:19], s[12:13], 0, v[16:17]
	global_load_dword v22, v[30:31], off
	global_load_dword v23, v[18:19], off
	v_fma_f32 v5, v6, v8, -v27
	v_div_scale_f32 v36, s[24:25], v5, v5, 1.0
	v_rcp_f32_e32 v37, v36
	v_lshl_add_u64 v[32:33], s[14:15], 0, v[10:11]
	v_lshl_add_u64 v[34:35], s[6:7], 0, v[10:11]
	v_div_scale_f32 v38, vcc, 1.0, v5, 1.0
	v_fma_f32 v10, -v36, v37, 1.0
	v_fmac_f32_e32 v37, v10, v37
	v_mul_f32_e32 v10, v38, v37
	v_fma_f32 v11, -v36, v10, v38
	v_fmac_f32_e32 v10, v11, v37
	v_fma_f32 v11, -v36, v10, v38
	v_div_fmas_f32 v10, v11, v37, v10
	v_mul_f32_e64 v27, v26, -v9
	v_div_fixup_f32 v10, v10, v5, 1.0
	v_mul_f32_e32 v5, v10, v27
	global_store_dword v[32:33], v5, off
	s_waitcnt vmcnt(3)
	v_pk_mul_f32 v[32:33], v[8:9], v[14:15]
	s_nop 0
	v_sub_f32_e32 v5, v32, v33
	v_mul_f32_e32 v5, v10, v5
	s_waitcnt vmcnt(1)
	v_pk_mul_f32 v[8:9], v[8:9], v[22:23]
	s_nop 0
	v_sub_f32_e32 v8, v8, v9
	v_mul_f32_e32 v8, v10, v8
	global_store_dword v[28:29], v5, off
	global_store_dword v[30:31], v8, off
	;; [unrolled: 1-line block ×3, first 2 shown]
	s_and_saveexec_b64 s[24:25], s[0:1]
	s_cbranch_execz .LBB40_16
; %bb.15:                               ;   in Loop: Header=BB40_5 Depth=1
	v_mov_b32_e32 v8, v15
	v_mov_b32_e32 v9, v14
	v_pk_mul_f32 v[8:9], v[6:7], v[8:9]
	s_nop 0
	v_sub_f32_e32 v5, v8, v9
	v_mov_b32_e32 v8, v23
	v_mov_b32_e32 v9, v22
	v_mul_f32_e32 v5, v10, v5
	v_pk_mul_f32 v[8:9], v[6:7], v[8:9]
	global_store_dword v[20:21], v5, off
	v_sub_f32_e32 v5, v8, v9
	v_mul_f32_e32 v5, v10, v5
	global_store_dword v[18:19], v5, off
	v_mul_f32_e32 v5, v6, v26
	v_mul_f32_e32 v5, v10, v5
	v_lshl_add_u64 v[8:9], s[14:15], 0, v[16:17]
	global_store_dword v[8:9], v5, off
	v_lshl_add_u64 v[8:9], s[6:7], 0, v[16:17]
	global_store_dword v[8:9], v24, off
.LBB40_16:                              ;   in Loop: Header=BB40_5 Depth=1
	s_or_b64 exec, exec, s[24:25]
	v_mov_b32_e32 v5, 0
	s_and_saveexec_b64 s[24:25], s[2:3]
	s_cbranch_execz .LBB40_18
; %bb.17:                               ;   in Loop: Header=BB40_5 Depth=1
	v_add_u32_e32 v8, v1, v4
	v_ashrrev_i32_e32 v9, 31, v8
	v_lshlrev_b64 v[8:9], 2, v[8:9]
	v_lshl_add_u64 v[16:17], s[10:11], 0, v[8:9]
	v_lshl_add_u64 v[8:9], s[18:19], 0, v[8:9]
	global_load_dword v11, v[8:9], off
	global_load_dword v5, v[16:17], off
	v_xor_b32_e32 v8, 0x80000000, v7
	v_mov_b32_e32 v9, v6
	v_pk_mul_f32 v[6:7], v[12:13], v[8:9] op_sel_hi:[0,1]
	v_mul_f32_e32 v12, v26, v7
	s_waitcnt vmcnt(1)
	v_pk_mul_f32 v[8:9], v[6:7], v[10:11] op_sel_hi:[1,0] neg_lo:[0,1]
	s_nop 0
	v_pk_mul_f32 v[6:7], v[8:9], v[14:15]
	s_nop 0
	v_sub_f32_e32 v6, v6, v7
	s_waitcnt vmcnt(0)
	v_add_f32_e32 v5, v6, v5
	global_store_dword v[16:17], v5, off
	v_fma_f32 v5, -v10, v12, v11
.LBB40_18:                              ;   in Loop: Header=BB40_5 Depth=1
	s_or_b64 exec, exec, s[24:25]
	v_mov_b32_e32 v6, v5
                                        ; implicit-def: $vgpr27
                                        ; implicit-def: $vgpr8
                                        ; implicit-def: $vgpr10_vgpr11
.LBB40_19:                              ;   in Loop: Header=BB40_5 Depth=1
	s_or_saveexec_b64 s[2:3], s[4:5]
	v_mov_b32_e32 v5, s30
	s_xor_b64 exec, exec, s[2:3]
	s_cbranch_execz .LBB40_4
; %bb.20:                               ;   in Loop: Header=BB40_5 Depth=1
	v_ashrrev_i32_e32 v5, 31, v4
	v_lshl_add_u64 v[14:15], v[4:5], 2, v[2:3]
	v_lshlrev_b64 v[10:11], 2, v[10:11]
	global_load_dword v5, v[14:15], off
	v_lshl_add_u64 v[16:17], s[12:13], 0, v[10:11]
	global_load_dword v12, v[16:17], off
	v_div_scale_f32 v20, s[4:5], v6, v6, 1.0
	v_rcp_f32_e32 v21, v20
	v_div_scale_f32 v22, vcc, 1.0, v6, 1.0
	v_lshl_add_u64 v[18:19], s[14:15], 0, v[10:11]
	v_fma_f32 v23, -v20, v21, 1.0
	v_fmac_f32_e32 v21, v23, v21
	v_mul_f32_e32 v23, v22, v21
	v_fma_f32 v26, -v20, v23, v22
	v_fmac_f32_e32 v23, v26, v21
	v_fma_f32 v20, -v20, v23, v22
	v_div_fmas_f32 v20, v20, v21, v23
	v_div_fixup_f32 v6, v20, v6, 1.0
	v_mul_f32_e32 v9, v6, v9
	global_store_dword v[18:19], v9, off
	v_lshl_add_u64 v[10:11], s[6:7], 0, v[10:11]
	s_waitcnt vmcnt(2)
	v_mul_f32_e32 v9, v6, v5
	s_waitcnt vmcnt(1)
	v_mul_f32_e32 v12, v6, v12
	global_store_dword v[14:15], v9, off
	global_store_dword v[16:17], v12, off
	;; [unrolled: 1-line block ×3, first 2 shown]
	s_and_saveexec_b64 s[4:5], s[0:1]
	s_cbranch_execz .LBB40_3
; %bb.21:                               ;   in Loop: Header=BB40_5 Depth=1
	v_add_u32_e32 v10, v13, v4
	v_ashrrev_i32_e32 v11, 31, v10
	v_lshl_add_u64 v[10:11], v[10:11], 2, s[10:11]
	global_load_dword v9, v[10:11], off
	v_mul_f32_e32 v7, v7, v6
	s_waitcnt vmcnt(0)
	v_fma_f32 v5, -v7, v5, v9
	global_store_dword v[10:11], v5, off
	s_branch .LBB40_3
.LBB40_22:
	s_or_b64 exec, exec, s[20:21]
.LBB40_23:
	v_subrev_u32_e32 v1, s26, v4
	v_add_u32_e32 v4, v1, v0
	v_ashrrev_i32_e32 v5, 31, v4
	s_waitcnt lgkmcnt(0)
	v_lshl_add_u64 v[4:5], v[4:5], 2, s[6:7]
	buffer_wbl2 sc1
	s_waitcnt vmcnt(0)
	buffer_inv sc1
	global_load_dword v4, v[4:5], off
	s_waitcnt vmcnt(0)
	v_mul_lo_u32 v4, v4, s26
	v_sub_u32_e32 v4, v1, v4
	v_cmp_lt_i32_e32 vcc, -1, v4
	s_and_b64 exec, exec, vcc
	s_cbranch_execz .LBB40_30
; %bb.24:
	v_subrev_u32_e32 v1, s26, v0
	s_lshl_b32 s4, s26, 1
	s_mov_b64 s[0:1], 0
	s_branch .LBB40_26
.LBB40_25:                              ;   in Loop: Header=BB40_26 Depth=1
	s_or_b64 exec, exec, s[2:3]
	v_sub_u32_e32 v4, v4, v5
	v_cmp_gt_i32_e32 vcc, 0, v4
	s_or_b64 s[0:1], vcc, s[0:1]
	s_andn2_b64 exec, exec, s[0:1]
	s_cbranch_execz .LBB40_30
.LBB40_26:                              ; =>This Inner Loop Header: Depth=1
	v_add_u32_e32 v6, v4, v0
	v_ashrrev_i32_e32 v7, 31, v6
	s_waitcnt vmcnt(0)
	v_lshlrev_b64 v[8:9], 2, v[6:7]
	v_lshl_add_u64 v[10:11], s[6:7], 0, v[8:9]
	global_load_dword v5, v[10:11], off
	v_lshl_add_u64 v[8:9], s[14:15], 0, v[8:9]
	global_load_dword v8, v[8:9], off
	s_waitcnt vmcnt(1)
	v_cmp_ne_u32_e32 vcc, 1, v5
	s_and_saveexec_b64 s[2:3], vcc
	s_xor_b64 s[2:3], exec, s[2:3]
	s_cbranch_execz .LBB40_28
; %bb.27:                               ;   in Loop: Header=BB40_26 Depth=1
	v_add_u32_e32 v10, v13, v4
	v_ashrrev_i32_e32 v11, 31, v10
	v_lshlrev_b64 v[10:11], 2, v[10:11]
	v_lshl_add_u64 v[14:15], s[10:11], 0, v[10:11]
	v_ashrrev_i32_e32 v5, 31, v4
	v_lshl_add_u64 v[16:17], v[4:5], 2, v[2:3]
	global_load_dword v5, v[14:15], off
	global_load_dword v9, v[16:17], off
	v_lshl_add_u64 v[10:11], s[12:13], 0, v[10:11]
	v_lshl_add_u64 v[6:7], v[6:7], 2, s[12:13]
	global_load_dword v12, v[10:11], off
	global_load_dword v24, v[6:7], off
	v_add_u32_e32 v18, v1, v4
	v_ashrrev_i32_e32 v19, 31, v18
	v_lshlrev_b64 v[18:19], 2, v[18:19]
	v_lshl_add_u64 v[20:21], s[14:15], 0, v[18:19]
	global_load_dword v20, v[20:21], off
	v_lshl_add_u64 v[22:23], s[10:11], 0, v[18:19]
	v_lshl_add_u64 v[18:19], s[12:13], 0, v[18:19]
	s_waitcnt vmcnt(3)
	v_fma_f32 v5, -v8, v5, v9
	s_waitcnt vmcnt(1)
	v_fma_f32 v8, -v8, v12, v24
	global_store_dword v[16:17], v5, off
	global_store_dword v[6:7], v8, off
	global_load_dword v5, v[14:15], off
	s_nop 0
	global_load_dword v6, v[22:23], off
	global_load_dword v7, v[10:11], off
	;; [unrolled: 1-line block ×3, first 2 shown]
	s_waitcnt vmcnt(2)
	v_fma_f32 v5, -v20, v5, v6
	s_waitcnt vmcnt(0)
	v_fma_f32 v6, -v20, v7, v8
	global_store_dword v[22:23], v5, off
	global_store_dword v[18:19], v6, off
                                        ; implicit-def: $vgpr8
                                        ; implicit-def: $vgpr6_vgpr7
.LBB40_28:                              ;   in Loop: Header=BB40_26 Depth=1
	s_or_saveexec_b64 s[2:3], s[2:3]
	v_mov_b32_e32 v5, s4
	s_xor_b64 exec, exec, s[2:3]
	s_cbranch_execz .LBB40_25
; %bb.29:                               ;   in Loop: Header=BB40_26 Depth=1
	v_add_u32_e32 v10, v13, v4
	v_ashrrev_i32_e32 v11, 31, v10
	v_lshlrev_b64 v[10:11], 2, v[10:11]
	v_lshl_add_u64 v[14:15], s[10:11], 0, v[10:11]
	v_ashrrev_i32_e32 v5, 31, v4
	v_lshl_add_u64 v[16:17], v[4:5], 2, v[2:3]
	global_load_dword v5, v[14:15], off
	global_load_dword v9, v[16:17], off
	v_lshl_add_u64 v[10:11], s[12:13], 0, v[10:11]
	v_lshl_add_u64 v[6:7], v[6:7], 2, s[12:13]
	global_load_dword v12, v[10:11], off
	global_load_dword v14, v[6:7], off
	s_waitcnt vmcnt(2)
	v_fma_f32 v5, -v8, v5, v9
	s_waitcnt vmcnt(0)
	v_fma_f32 v8, -v8, v12, v14
	global_store_dword v[16:17], v5, off
	global_store_dword v[6:7], v8, off
	v_mov_b32_e32 v5, s26
	s_branch .LBB40_25
.LBB40_30:
	s_endpgm
	.section	.rodata,"a",@progbits
	.p2align	6, 0x0
	.amdhsa_kernel _ZN9rocsparseL18gtsv_LBM_wv_kernelILj256ELj16EfEEviiiPKT1_S3_S3_PS1_S4_S4_Pi
		.amdhsa_group_segment_fixed_size 0
		.amdhsa_private_segment_fixed_size 0
		.amdhsa_kernarg_size 72
		.amdhsa_user_sgpr_count 2
		.amdhsa_user_sgpr_dispatch_ptr 0
		.amdhsa_user_sgpr_queue_ptr 0
		.amdhsa_user_sgpr_kernarg_segment_ptr 1
		.amdhsa_user_sgpr_dispatch_id 0
		.amdhsa_user_sgpr_kernarg_preload_length 0
		.amdhsa_user_sgpr_kernarg_preload_offset 0
		.amdhsa_user_sgpr_private_segment_size 0
		.amdhsa_uses_dynamic_stack 0
		.amdhsa_enable_private_segment 0
		.amdhsa_system_sgpr_workgroup_id_x 1
		.amdhsa_system_sgpr_workgroup_id_y 0
		.amdhsa_system_sgpr_workgroup_id_z 0
		.amdhsa_system_sgpr_workgroup_info 0
		.amdhsa_system_vgpr_workitem_id 0
		.amdhsa_next_free_vgpr 39
		.amdhsa_next_free_sgpr 31
		.amdhsa_accum_offset 40
		.amdhsa_reserve_vcc 1
		.amdhsa_float_round_mode_32 0
		.amdhsa_float_round_mode_16_64 0
		.amdhsa_float_denorm_mode_32 3
		.amdhsa_float_denorm_mode_16_64 3
		.amdhsa_dx10_clamp 1
		.amdhsa_ieee_mode 1
		.amdhsa_fp16_overflow 0
		.amdhsa_tg_split 0
		.amdhsa_exception_fp_ieee_invalid_op 0
		.amdhsa_exception_fp_denorm_src 0
		.amdhsa_exception_fp_ieee_div_zero 0
		.amdhsa_exception_fp_ieee_overflow 0
		.amdhsa_exception_fp_ieee_underflow 0
		.amdhsa_exception_fp_ieee_inexact 0
		.amdhsa_exception_int_div_zero 0
	.end_amdhsa_kernel
	.section	.text._ZN9rocsparseL18gtsv_LBM_wv_kernelILj256ELj16EfEEviiiPKT1_S3_S3_PS1_S4_S4_Pi,"axG",@progbits,_ZN9rocsparseL18gtsv_LBM_wv_kernelILj256ELj16EfEEviiiPKT1_S3_S3_PS1_S4_S4_Pi,comdat
.Lfunc_end40:
	.size	_ZN9rocsparseL18gtsv_LBM_wv_kernelILj256ELj16EfEEviiiPKT1_S3_S3_PS1_S4_S4_Pi, .Lfunc_end40-_ZN9rocsparseL18gtsv_LBM_wv_kernelILj256ELj16EfEEviiiPKT1_S3_S3_PS1_S4_S4_Pi
                                        ; -- End function
	.set _ZN9rocsparseL18gtsv_LBM_wv_kernelILj256ELj16EfEEviiiPKT1_S3_S3_PS1_S4_S4_Pi.num_vgpr, 39
	.set _ZN9rocsparseL18gtsv_LBM_wv_kernelILj256ELj16EfEEviiiPKT1_S3_S3_PS1_S4_S4_Pi.num_agpr, 0
	.set _ZN9rocsparseL18gtsv_LBM_wv_kernelILj256ELj16EfEEviiiPKT1_S3_S3_PS1_S4_S4_Pi.numbered_sgpr, 31
	.set _ZN9rocsparseL18gtsv_LBM_wv_kernelILj256ELj16EfEEviiiPKT1_S3_S3_PS1_S4_S4_Pi.num_named_barrier, 0
	.set _ZN9rocsparseL18gtsv_LBM_wv_kernelILj256ELj16EfEEviiiPKT1_S3_S3_PS1_S4_S4_Pi.private_seg_size, 0
	.set _ZN9rocsparseL18gtsv_LBM_wv_kernelILj256ELj16EfEEviiiPKT1_S3_S3_PS1_S4_S4_Pi.uses_vcc, 1
	.set _ZN9rocsparseL18gtsv_LBM_wv_kernelILj256ELj16EfEEviiiPKT1_S3_S3_PS1_S4_S4_Pi.uses_flat_scratch, 0
	.set _ZN9rocsparseL18gtsv_LBM_wv_kernelILj256ELj16EfEEviiiPKT1_S3_S3_PS1_S4_S4_Pi.has_dyn_sized_stack, 0
	.set _ZN9rocsparseL18gtsv_LBM_wv_kernelILj256ELj16EfEEviiiPKT1_S3_S3_PS1_S4_S4_Pi.has_recursion, 0
	.set _ZN9rocsparseL18gtsv_LBM_wv_kernelILj256ELj16EfEEviiiPKT1_S3_S3_PS1_S4_S4_Pi.has_indirect_call, 0
	.section	.AMDGPU.csdata,"",@progbits
; Kernel info:
; codeLenInByte = 2120
; TotalNumSgprs: 37
; NumVgprs: 39
; NumAgprs: 0
; TotalNumVgprs: 39
; ScratchSize: 0
; MemoryBound: 0
; FloatMode: 240
; IeeeMode: 1
; LDSByteSize: 0 bytes/workgroup (compile time only)
; SGPRBlocks: 4
; VGPRBlocks: 4
; NumSGPRsForWavesPerEU: 37
; NumVGPRsForWavesPerEU: 39
; AccumOffset: 40
; Occupancy: 8
; WaveLimiterHint : 0
; COMPUTE_PGM_RSRC2:SCRATCH_EN: 0
; COMPUTE_PGM_RSRC2:USER_SGPR: 2
; COMPUTE_PGM_RSRC2:TRAP_HANDLER: 0
; COMPUTE_PGM_RSRC2:TGID_X_EN: 1
; COMPUTE_PGM_RSRC2:TGID_Y_EN: 0
; COMPUTE_PGM_RSRC2:TGID_Z_EN: 0
; COMPUTE_PGM_RSRC2:TIDIG_COMP_CNT: 0
; COMPUTE_PGM_RSRC3_GFX90A:ACCUM_OFFSET: 9
; COMPUTE_PGM_RSRC3_GFX90A:TG_SPLIT: 0
	.section	.text._ZN9rocsparseL19gtsv_LBM_rhs_kernelILj256ELj16ELj8EfEEviiiPKT2_S3_S3_PS1_S3_PKi,"axG",@progbits,_ZN9rocsparseL19gtsv_LBM_rhs_kernelILj256ELj16ELj8EfEEviiiPKT2_S3_S3_PS1_S3_PKi,comdat
	.globl	_ZN9rocsparseL19gtsv_LBM_rhs_kernelILj256ELj16ELj8EfEEviiiPKT2_S3_S3_PS1_S3_PKi ; -- Begin function _ZN9rocsparseL19gtsv_LBM_rhs_kernelILj256ELj16ELj8EfEEviiiPKT2_S3_S3_PS1_S3_PKi
	.p2align	8
	.type	_ZN9rocsparseL19gtsv_LBM_rhs_kernelILj256ELj16ELj8EfEEviiiPKT2_S3_S3_PS1_S3_PKi,@function
_ZN9rocsparseL19gtsv_LBM_rhs_kernelILj256ELj16ELj8EfEEviiiPKT2_S3_S3_PS1_S3_PKi: ; @_ZN9rocsparseL19gtsv_LBM_rhs_kernelILj256ELj16ELj8EfEEviiiPKT2_S3_S3_PS1_S3_PKi
; %bb.0:
	s_load_dword s23, s[0:1], 0x0
	v_lshl_or_b32 v0, s2, 8, v0
	s_waitcnt lgkmcnt(0)
	s_lshr_b32 s22, s23, 4
	v_cmp_gt_i32_e32 vcc, s22, v0
	s_and_saveexec_b64 s[4:5], vcc
	s_cbranch_execz .LBB41_29
; %bb.1:
	s_load_dwordx4 s[8:11], s[0:1], 0x28
	s_load_dwordx2 s[6:7], s[0:1], 0x38
	s_cmp_lt_i32 s23, 1
	v_add_u32_e32 v20, s22, v0
	s_mul_i32 s24, s3, s23
	s_cbranch_scc1 .LBB41_21
; %bb.2:
	s_load_dwordx4 s[12:15], s[0:1], 0x10
	s_load_dwordx2 s[16:17], s[0:1], 0x20
	v_ashrrev_i32_e32 v1, 31, v0
	s_lshl_b32 s28, s24, 3
	s_add_i32 s29, s28, s23
	s_waitcnt lgkmcnt(0)
	v_lshl_add_u64 v[2:3], v[0:1], 2, s[14:15]
	global_load_dword v23, v[2:3], off
	s_add_i32 s30, s29, s23
	s_add_i32 s31, s30, s23
	;; [unrolled: 1-line block ×5, first 2 shown]
	s_mul_i32 s25, s22, 15
	s_mul_i32 s26, s22, 14
	s_lshl_b32 s27, s22, 1
	v_add_u32_e32 v1, s22, v20
	s_add_i32 s36, s35, s23
	v_mov_b32_e32 v3, 0
	s_mov_b64 s[18:19], 0
	v_mov_b32_e32 v21, 0
	s_branch .LBB41_5
.LBB41_3:                               ;   in Loop: Header=BB41_5 Depth=1
	s_or_b64 exec, exec, s[4:5]
	v_fma_f32 v23, -v23, v28, v24
	v_mov_b32_e32 v2, s22
.LBB41_4:                               ;   in Loop: Header=BB41_5 Depth=1
	s_or_b64 exec, exec, s[2:3]
	v_add_u32_e32 v21, v2, v21
	v_cmp_le_i32_e32 vcc, s23, v21
	s_or_b64 s[18:19], vcc, s[18:19]
	s_andn2_b64 exec, exec, s[18:19]
	s_cbranch_execz .LBB41_20
.LBB41_5:                               ; =>This Inner Loop Header: Depth=1
	v_add_u32_e32 v18, v21, v0
	v_ashrrev_i32_e32 v19, 31, v18
	v_lshl_add_u64 v[4:5], v[18:19], 2, s[16:17]
	global_load_dword v26, v[4:5], off
	v_cmp_gt_u32_e64 s[0:1], s25, v21
	v_mov_b32_e32 v22, 0
	s_and_saveexec_b64 s[2:3], s[0:1]
	s_cbranch_execz .LBB41_7
; %bb.6:                                ;   in Loop: Header=BB41_5 Depth=1
	v_add_u32_e32 v4, v20, v21
	v_ashrrev_i32_e32 v5, 31, v4
	v_lshl_add_u64 v[4:5], v[4:5], 2, s[12:13]
	global_load_dword v22, v[4:5], off
.LBB41_7:                               ;   in Loop: Header=BB41_5 Depth=1
	s_or_b64 exec, exec, s[2:3]
	v_mov_b32_e32 v25, 0
	v_mov_b32_e32 v24, 0
	s_and_saveexec_b64 s[2:3], s[0:1]
	s_cbranch_execz .LBB41_9
; %bb.8:                                ;   in Loop: Header=BB41_5 Depth=1
	v_add_u32_e32 v4, v20, v21
	v_ashrrev_i32_e32 v5, 31, v4
	v_lshl_add_u64 v[4:5], v[4:5], 2, s[14:15]
	global_load_dword v24, v[4:5], off
.LBB41_9:                               ;   in Loop: Header=BB41_5 Depth=1
	s_or_b64 exec, exec, s[2:3]
	s_and_saveexec_b64 s[2:3], s[0:1]
	s_cbranch_execz .LBB41_11
; %bb.10:                               ;   in Loop: Header=BB41_5 Depth=1
	v_add_u32_e32 v4, v20, v21
	v_ashrrev_i32_e32 v5, 31, v4
	v_lshl_add_u64 v[4:5], v[4:5], 2, s[16:17]
	global_load_dword v25, v[4:5], off
.LBB41_11:                              ;   in Loop: Header=BB41_5 Depth=1
	s_or_b64 exec, exec, s[2:3]
	v_cmp_gt_u32_e64 s[2:3], s26, v21
	v_mov_b32_e32 v27, 0
	s_and_saveexec_b64 s[4:5], s[2:3]
	s_cbranch_execz .LBB41_13
; %bb.12:                               ;   in Loop: Header=BB41_5 Depth=1
	v_add_u32_e32 v4, v1, v21
	v_ashrrev_i32_e32 v5, 31, v4
	v_lshl_add_u64 v[4:5], v[4:5], 2, s[12:13]
	global_load_dword v27, v[4:5], off
.LBB41_13:                              ;   in Loop: Header=BB41_5 Depth=1
	s_or_b64 exec, exec, s[4:5]
	v_add_u32_e32 v2, s28, v18
	v_lshl_add_u64 v[16:17], v[2:3], 2, s[8:9]
	v_add_u32_e32 v2, s29, v18
	v_lshl_add_u64 v[4:5], v[18:19], 2, s[6:7]
	v_lshl_add_u64 v[12:13], v[2:3], 2, s[8:9]
	v_add_u32_e32 v2, s30, v18
	global_load_dword v28, v[4:5], off
	v_lshl_add_u64 v[4:5], v[2:3], 2, s[8:9]
	v_add_u32_e32 v2, s31, v18
	v_lshl_add_u64 v[6:7], v[2:3], 2, s[8:9]
	v_add_u32_e32 v2, s33, v18
	;; [unrolled: 2-line block ×5, first 2 shown]
	v_lshl_add_u64 v[18:19], v[2:3], 2, s[8:9]
	global_load_dword v29, v[16:17], off
	global_load_dword v30, v[12:13], off
	;; [unrolled: 1-line block ×8, first 2 shown]
	v_cmp_ne_u32_e64 s[4:5], s25, v21
	s_waitcnt vmcnt(8)
	v_cmp_ne_u32_e32 vcc, 1, v28
	s_and_b64 s[4:5], s[4:5], vcc
	v_mul_f32_e32 v28, v26, v22
	s_and_saveexec_b64 s[20:21], s[4:5]
	s_xor_b64 s[4:5], exec, s[20:21]
	s_cbranch_execz .LBB41_17
; %bb.14:                               ;   in Loop: Header=BB41_5 Depth=1
	v_fma_f32 v28, v23, v24, -v28
	v_div_scale_f32 v37, s[20:21], v28, v28, 1.0
	v_rcp_f32_e32 v38, v37
	v_add_u32_e32 v39, v20, v21
	v_add_u32_e32 v2, s28, v39
	v_lshl_add_u64 v[40:41], v[2:3], 2, s[8:9]
	global_load_dword v56, v[40:41], off
	v_fma_f32 v2, -v37, v38, 1.0
	v_fmac_f32_e32 v38, v2, v38
	v_add_u32_e32 v2, s29, v39
	v_lshl_add_u64 v[42:43], v[2:3], 2, s[8:9]
	v_add_u32_e32 v2, s30, v39
	global_load_dword v57, v[42:43], off
	v_lshl_add_u64 v[44:45], v[2:3], 2, s[8:9]
	v_add_u32_e32 v2, s31, v39
	v_div_scale_f32 v54, vcc, 1.0, v28, 1.0
	v_lshl_add_u64 v[46:47], v[2:3], 2, s[8:9]
	v_add_u32_e32 v2, s33, v39
	global_load_dword v58, v[44:45], off
	global_load_dword v59, v[46:47], off
	v_lshl_add_u64 v[48:49], v[2:3], 2, s[8:9]
	v_mul_f32_e32 v61, v54, v38
	v_add_u32_e32 v2, s34, v39
	v_lshl_add_u64 v[50:51], v[2:3], 2, s[8:9]
	v_fma_f32 v2, -v37, v61, v54
	global_load_dword v60, v[48:49], off
	global_load_dword v62, v[50:51], off
	v_fmac_f32_e32 v61, v2, v38
	v_add_u32_e32 v2, s35, v39
	v_lshl_add_u64 v[52:53], v[2:3], 2, s[8:9]
	v_add_u32_e32 v2, s36, v39
	global_load_dword v63, v[52:53], off
	v_fma_f32 v37, -v37, v61, v54
	v_lshl_add_u64 v[54:55], v[2:3], 2, s[8:9]
	global_load_dword v2, v[54:55], off
	v_div_fmas_f32 v37, v37, v38, v61
	v_div_fixup_f32 v28, v37, v28, 1.0
	s_waitcnt vmcnt(14)
	v_mul_f32_e32 v37, v28, v30
	s_waitcnt vmcnt(9)
	v_mul_f32_e32 v30, v28, v35
	v_mul_f32_e32 v39, v28, v29
	;; [unrolled: 1-line block ×7, first 2 shown]
	s_waitcnt vmcnt(8)
	v_mul_f32_e32 v29, v28, v36
	v_mul_f32_e32 v36, v22, v37
	s_waitcnt vmcnt(7)
	v_mul_f32_e32 v35, v28, v56
	v_mul_f32_e32 v56, v26, v35
	v_fma_f32 v56, v24, v39, -v56
	global_store_dword v[16:17], v56, off
	v_fma_f32 v61, v23, v35, -v34
	v_mul_f32_e32 v16, v22, v38
	s_waitcnt vmcnt(7)
	v_mul_f32_e32 v17, v28, v57
	v_mul_f32_e32 v57, v26, v17
	v_fma_f32 v57, v24, v37, -v57
	global_store_dword v[12:13], v57, off
	v_mul_f32_e32 v56, v22, v32
	v_mul_f32_e32 v57, v22, v33
	v_fma_f32 v36, v23, v17, -v36
	s_waitcnt vmcnt(7)
	v_mul_f32_e32 v34, v28, v58
	s_waitcnt vmcnt(6)
	v_mul_f32_e32 v13, v28, v59
	v_mul_f32_e32 v12, v26, v34
	v_fma_f32 v58, v23, v34, -v16
	v_fma_f32 v59, v24, v38, -v12
	global_store_dword v[4:5], v59, off
	v_fma_f32 v56, v23, v13, -v56
	s_waitcnt vmcnt(6)
	v_mul_f32_e32 v16, v28, v60
	v_mul_f32_e32 v60, v26, v13
	s_waitcnt vmcnt(5)
	v_mul_f32_e32 v12, v28, v62
	v_fma_f32 v4, v24, v32, -v60
	v_mul_f32_e32 v59, v26, v16
	global_store_dword v[6:7], v4, off
	s_waitcnt vmcnt(5)
	v_mul_f32_e32 v5, v28, v63
	v_fma_f32 v6, v24, v33, -v59
	v_mul_f32_e32 v7, v26, v12
	s_waitcnt vmcnt(4)
	v_mul_f32_e32 v4, v28, v2
	global_store_dword v[8:9], v6, off
	v_fma_f32 v2, v24, v31, -v7
	v_mul_f32_e32 v6, v26, v5
	global_store_dword v[10:11], v2, off
	v_fma_f32 v2, v24, v30, -v6
	;; [unrolled: 3-line block ×3, first 2 shown]
	v_fma_f32 v57, v23, v16, -v57
	global_store_dword v[18:19], v2, off
	global_store_dword v[40:41], v61, off
	;; [unrolled: 1-line block ×6, first 2 shown]
	v_mul_f32_e32 v2, v22, v31
	v_fma_f32 v2, v23, v12, -v2
	global_store_dword v[50:51], v2, off
	v_mul_f32_e32 v2, v22, v30
	v_fma_f32 v2, v23, v5, -v2
	global_store_dword v[52:53], v2, off
	;; [unrolled: 3-line block ×3, first 2 shown]
	v_mov_b32_e32 v2, 0
	s_and_saveexec_b64 s[20:21], s[2:3]
	s_cbranch_execz .LBB41_16
; %bb.15:                               ;   in Loop: Header=BB41_5 Depth=1
	v_add_u32_e32 v6, v1, v21
	v_add_u32_e32 v2, s28, v6
	v_lshl_add_u64 v[8:9], v[2:3], 2, s[8:9]
	global_load_dword v7, v[8:9], off
	v_mul_f32_e32 v23, v23, v27
	v_mul_f32_e32 v22, v22, v27
	v_mul_f32_e32 v2, v23, v35
	v_fma_f32 v18, v22, v39, -v2
	v_add_u32_e32 v2, s29, v6
	v_lshl_add_u64 v[10:11], v[2:3], 2, s[8:9]
	v_add_u32_e32 v2, s30, v6
	global_load_dword v24, v[10:11], off
	v_lshl_add_u64 v[14:15], v[2:3], 2, s[8:9]
	v_mul_f32_e32 v4, v23, v4
	v_fma_f32 v4, v22, v29, -v4
	s_waitcnt vmcnt(1)
	v_add_f32_e32 v2, v18, v7
	global_store_dword v[8:9], v2, off
	global_load_dword v7, v[14:15], off
	v_mul_f32_e32 v2, v23, v17
	v_mul_f32_e32 v8, v23, v34
	v_fma_f32 v17, v22, v37, -v2
	v_add_u32_e32 v2, s31, v6
	v_fma_f32 v26, v22, v38, -v8
	v_lshl_add_u64 v[8:9], v[2:3], 2, s[8:9]
	v_add_u32_e32 v2, s33, v6
	v_lshl_add_u64 v[18:19], v[2:3], 2, s[8:9]
	s_waitcnt vmcnt(2)
	v_add_f32_e32 v2, v17, v24
	global_store_dword v[10:11], v2, off
	global_load_dword v17, v[8:9], off
	v_mul_f32_e32 v10, v23, v16
	s_waitcnt vmcnt(2)
	v_add_f32_e32 v2, v26, v7
	global_store_dword v[14:15], v2, off
	global_load_dword v7, v[18:19], off
	v_mul_f32_e32 v2, v23, v13
	v_fma_f32 v13, v22, v32, -v2
	v_add_u32_e32 v2, s34, v6
	v_fma_f32 v14, v22, v33, -v10
	v_lshl_add_u64 v[10:11], v[2:3], 2, s[8:9]
	s_waitcnt vmcnt(2)
	v_add_f32_e32 v2, v13, v17
	global_store_dword v[8:9], v2, off
	s_waitcnt vmcnt(1)
	v_add_f32_e32 v2, v14, v7
	global_store_dword v[18:19], v2, off
	global_load_dword v7, v[10:11], off
	v_mul_f32_e32 v2, v23, v12
	v_fma_f32 v12, v22, v31, -v2
	v_add_u32_e32 v2, s35, v6
	v_lshl_add_u64 v[8:9], v[2:3], 2, s[8:9]
	s_waitcnt vmcnt(0)
	v_add_f32_e32 v2, v12, v7
	global_store_dword v[10:11], v2, off
	global_load_dword v12, v[8:9], off
	v_mul_f32_e32 v2, v23, v5
	v_fma_f32 v5, v22, v30, -v2
	v_add_u32_e32 v2, s36, v6
	v_lshl_add_u64 v[10:11], v[2:3], 2, s[8:9]
	v_ashrrev_i32_e32 v7, 31, v6
	v_lshl_add_u64 v[6:7], v[6:7], 2, s[14:15]
	s_waitcnt vmcnt(0)
	v_add_f32_e32 v2, v5, v12
	global_store_dword v[8:9], v2, off
	global_load_dword v2, v[10:11], off
	s_waitcnt vmcnt(0)
	v_add_f32_e32 v2, v4, v2
	global_load_dword v5, v[6:7], off
	v_mul_f32_e32 v6, v25, v23
	global_store_dword v[10:11], v2, off
	s_waitcnt vmcnt(1)
	v_fma_f32 v2, -v28, v6, v5
.LBB41_16:                              ;   in Loop: Header=BB41_5 Depth=1
	s_or_b64 exec, exec, s[20:21]
	v_mov_b32_e32 v23, v2
                                        ; implicit-def: $vgpr22
                                        ; implicit-def: $vgpr24
                                        ; implicit-def: $vgpr28
                                        ; implicit-def: $vgpr16_vgpr17
                                        ; implicit-def: $vgpr29
                                        ; implicit-def: $vgpr12_vgpr13
                                        ; implicit-def: $vgpr30
                                        ; implicit-def: $vgpr4_vgpr5
                                        ; implicit-def: $vgpr31
                                        ; implicit-def: $vgpr6_vgpr7
                                        ; implicit-def: $vgpr32
                                        ; implicit-def: $vgpr8_vgpr9
                                        ; implicit-def: $vgpr33
                                        ; implicit-def: $vgpr10_vgpr11
                                        ; implicit-def: $vgpr34
                                        ; implicit-def: $vgpr14_vgpr15
                                        ; implicit-def: $vgpr35
                                        ; implicit-def: $vgpr18_vgpr19
                                        ; implicit-def: $vgpr36
.LBB41_17:                              ;   in Loop: Header=BB41_5 Depth=1
	s_or_saveexec_b64 s[2:3], s[4:5]
	v_mov_b32_e32 v2, s27
	s_xor_b64 exec, exec, s[2:3]
	s_cbranch_execz .LBB41_4
; %bb.18:                               ;   in Loop: Header=BB41_5 Depth=1
	v_div_scale_f32 v2, s[4:5], v23, v23, 1.0
	v_rcp_f32_e32 v25, v2
	v_div_scale_f32 v26, vcc, 1.0, v23, 1.0
	v_fma_f32 v27, -v2, v25, 1.0
	v_fmac_f32_e32 v25, v27, v25
	v_mul_f32_e32 v27, v26, v25
	v_fma_f32 v37, -v2, v27, v26
	v_fmac_f32_e32 v27, v37, v25
	v_fma_f32 v2, -v2, v27, v26
	v_div_fmas_f32 v2, v2, v25, v27
	v_div_fixup_f32 v23, v2, v23, 1.0
	s_waitcnt vmcnt(7)
	v_mul_f32_e32 v38, v23, v29
	s_waitcnt vmcnt(6)
	v_mul_f32_e32 v37, v23, v30
	;; [unrolled: 2-line block ×8, first 2 shown]
	global_store_dword v[16:17], v38, off
	global_store_dword v[12:13], v37, off
	;; [unrolled: 1-line block ×8, first 2 shown]
	s_and_saveexec_b64 s[4:5], s[0:1]
	s_cbranch_execz .LBB41_3
; %bb.19:                               ;   in Loop: Header=BB41_5 Depth=1
	v_add_u32_e32 v12, v20, v21
	v_add_u32_e32 v2, s28, v12
	v_lshl_add_u64 v[4:5], v[2:3], 2, s[8:9]
	global_load_dword v10, v[4:5], off
	v_add_u32_e32 v2, s29, v12
	v_lshl_add_u64 v[6:7], v[2:3], 2, s[8:9]
	v_add_u32_e32 v2, s30, v12
	global_load_dword v13, v[6:7], off
	v_lshl_add_u64 v[8:9], v[2:3], 2, s[8:9]
	s_waitcnt vmcnt(1)
	v_fma_f32 v2, -v22, v38, v10
	global_store_dword v[4:5], v2, off
	global_load_dword v14, v[8:9], off
	v_add_u32_e32 v2, s31, v12
	v_lshl_add_u64 v[4:5], v[2:3], 2, s[8:9]
	v_add_u32_e32 v2, s33, v12
	v_lshl_add_u64 v[10:11], v[2:3], 2, s[8:9]
	s_waitcnt vmcnt(2)
	v_fma_f32 v2, -v22, v37, v13
	global_store_dword v[6:7], v2, off
	global_load_dword v13, v[4:5], off
	s_waitcnt vmcnt(2)
	v_fma_f32 v2, -v22, v31, v14
	global_store_dword v[8:9], v2, off
	global_load_dword v8, v[10:11], off
	v_add_u32_e32 v2, s34, v12
	v_lshl_add_u64 v[6:7], v[2:3], 2, s[8:9]
	s_waitcnt vmcnt(2)
	v_fma_f32 v2, -v22, v30, v13
	global_store_dword v[4:5], v2, off
	s_waitcnt vmcnt(1)
	v_fma_f32 v2, -v22, v29, v8
	global_store_dword v[10:11], v2, off
	global_load_dword v8, v[6:7], off
	v_add_u32_e32 v2, s35, v12
	v_lshl_add_u64 v[4:5], v[2:3], 2, s[8:9]
	s_waitcnt vmcnt(0)
	v_fma_f32 v2, -v22, v27, v8
	global_store_dword v[6:7], v2, off
	global_load_dword v6, v[4:5], off
	v_add_u32_e32 v2, s36, v12
	s_waitcnt vmcnt(0)
	v_fma_f32 v6, -v22, v26, v6
	global_store_dword v[4:5], v6, off
	v_lshl_add_u64 v[4:5], v[2:3], 2, s[8:9]
	global_load_dword v2, v[4:5], off
	s_waitcnt vmcnt(0)
	v_fma_f32 v2, -v22, v25, v2
	global_store_dword v[4:5], v2, off
	s_branch .LBB41_3
.LBB41_20:
	s_or_b64 exec, exec, s[18:19]
	s_branch .LBB41_22
.LBB41_21:
	v_mov_b32_e32 v21, 0
.LBB41_22:
	v_subrev_u32_e32 v1, s22, v21
	v_add_u32_e32 v2, v1, v0
	v_ashrrev_i32_e32 v3, 31, v2
	s_waitcnt lgkmcnt(0)
	v_lshl_add_u64 v[2:3], v[2:3], 2, s[6:7]
	buffer_wbl2 sc1
	s_waitcnt vmcnt(0)
	buffer_inv sc1
	global_load_dword v2, v[2:3], off
	s_waitcnt vmcnt(0)
	v_mul_lo_u32 v2, v2, s22
	v_sub_u32_e32 v1, v1, v2
	v_cmp_lt_i32_e32 vcc, -1, v1
	s_and_b64 exec, exec, vcc
	s_cbranch_execz .LBB41_29
; %bb.23:
	s_lshl_b32 s4, s24, 3
	s_add_i32 s5, s4, s23
	s_add_i32 s12, s5, s23
	;; [unrolled: 1-line block ×7, first 2 shown]
	s_lshl_b32 s18, s22, 1
	s_mov_b64 s[0:1], 0
	v_mov_b32_e32 v3, 0
	s_branch .LBB41_25
.LBB41_24:                              ;   in Loop: Header=BB41_25 Depth=1
	s_or_b64 exec, exec, s[2:3]
	v_sub_u32_e32 v1, v1, v2
	v_cmp_gt_i32_e32 vcc, 0, v1
	s_or_b64 s[0:1], vcc, s[0:1]
	s_andn2_b64 exec, exec, s[0:1]
	s_cbranch_execz .LBB41_29
.LBB41_25:                              ; =>This Inner Loop Header: Depth=1
	v_add_u32_e32 v4, v1, v0
	s_waitcnt vmcnt(0)
	v_ashrrev_i32_e32 v5, 31, v4
	v_lshlrev_b64 v[6:7], 2, v[4:5]
	v_lshl_add_u64 v[8:9], s[6:7], 0, v[6:7]
	global_load_dword v2, v[8:9], off
	v_lshl_add_u64 v[6:7], s[10:11], 0, v[6:7]
	global_load_dword v5, v[6:7], off
	s_waitcnt vmcnt(1)
	v_cmp_ne_u32_e32 vcc, 1, v2
	s_and_saveexec_b64 s[2:3], vcc
	s_xor_b64 s[2:3], exec, s[2:3]
	s_cbranch_execz .LBB41_27
; %bb.26:                               ;   in Loop: Header=BB41_25 Depth=1
	v_add_u32_e32 v21, v20, v1
	v_add_u32_e32 v2, s4, v21
	v_lshl_add_u64 v[6:7], v[2:3], 2, s[8:9]
	v_add_u32_e32 v2, s5, v21
	v_lshl_add_u64 v[8:9], v[2:3], 2, s[8:9]
	;; [unrolled: 2-line block ×9, first 2 shown]
	global_load_dword v21, v[24:25], off
	global_load_dword v26, v[6:7], off
	;; [unrolled: 1-line block ×9, first 2 shown]
	v_add_u32_e32 v2, s5, v4
	v_lshl_add_u64 v[6:7], v[2:3], 2, s[8:9]
	s_waitcnt vmcnt(7)
	v_fma_f32 v2, -v5, v26, v21
	global_store_dword v[24:25], v2, off
	global_load_dword v10, v[6:7], off
	v_add_u32_e32 v2, s12, v4
	v_lshl_add_u64 v[8:9], v[2:3], 2, s[8:9]
	s_waitcnt vmcnt(0)
	v_fma_f32 v2, -v5, v27, v10
	global_store_dword v[6:7], v2, off
	global_load_dword v10, v[8:9], off
	;; [unrolled: 6-line block ×7, first 2 shown]
	v_subrev_u32_e32 v2, s22, v1
	v_add_u32_e32 v8, v2, v0
	v_ashrrev_i32_e32 v9, 31, v8
	v_lshl_add_u64 v[10:11], v[8:9], 2, s[10:11]
	v_add_u32_e32 v2, s4, v8
	global_load_dword v9, v[10:11], off
	v_lshl_add_u64 v[10:11], v[2:3], 2, s[8:9]
	s_waitcnt vmcnt(1)
	v_fma_f32 v2, -v5, v33, v4
	global_store_dword v[6:7], v2, off
	global_load_dword v6, v[10:11], off
	v_add_u32_e32 v2, s5, v8
	v_lshl_add_u64 v[4:5], v[2:3], 2, s[8:9]
	s_waitcnt vmcnt(0)
	v_fma_f32 v2, -v9, v26, v6
	global_store_dword v[10:11], v2, off
	global_load_dword v10, v[4:5], off
	v_add_u32_e32 v2, s12, v8
	;; [unrolled: 6-line block ×7, first 2 shown]
	s_waitcnt vmcnt(0)
	v_fma_f32 v4, -v9, v32, v4
	global_store_dword v[6:7], v4, off
	v_lshl_add_u64 v[4:5], v[2:3], 2, s[8:9]
	global_load_dword v2, v[4:5], off
	s_waitcnt vmcnt(0)
	v_fma_f32 v2, -v9, v33, v2
	global_store_dword v[4:5], v2, off
                                        ; implicit-def: $vgpr4
                                        ; implicit-def: $vgpr5
.LBB41_27:                              ;   in Loop: Header=BB41_25 Depth=1
	s_or_saveexec_b64 s[2:3], s[2:3]
	v_mov_b32_e32 v2, s18
	s_xor_b64 exec, exec, s[2:3]
	s_cbranch_execz .LBB41_24
; %bb.28:                               ;   in Loop: Header=BB41_25 Depth=1
	v_add_u32_e32 v12, v20, v1
	v_add_u32_e32 v2, s4, v12
	v_lshl_add_u64 v[6:7], v[2:3], 2, s[8:9]
	v_add_u32_e32 v2, s4, v4
	v_lshl_add_u64 v[8:9], v[2:3], 2, s[8:9]
	global_load_dword v13, v[6:7], off
	global_load_dword v14, v[8:9], off
	v_add_u32_e32 v2, s5, v12
	v_lshl_add_u64 v[6:7], v[2:3], 2, s[8:9]
	v_add_u32_e32 v2, s5, v4
	v_lshl_add_u64 v[10:11], v[2:3], 2, s[8:9]
	s_waitcnt vmcnt(0)
	v_fma_f32 v2, -v5, v13, v14
	global_store_dword v[8:9], v2, off
	global_load_dword v13, v[6:7], off
	global_load_dword v14, v[10:11], off
	v_add_u32_e32 v2, s12, v12
	v_lshl_add_u64 v[6:7], v[2:3], 2, s[8:9]
	v_add_u32_e32 v2, s12, v4
	v_lshl_add_u64 v[8:9], v[2:3], 2, s[8:9]
	s_waitcnt vmcnt(0)
	v_fma_f32 v2, -v5, v13, v14
	global_store_dword v[10:11], v2, off
	;; [unrolled: 9-line block ×7, first 2 shown]
	global_load_dword v2, v[6:7], off
	s_nop 0
	global_load_dword v4, v[10:11], off
	s_waitcnt vmcnt(0)
	v_fma_f32 v2, -v5, v2, v4
	global_store_dword v[10:11], v2, off
	v_mov_b32_e32 v2, s22
	s_branch .LBB41_24
.LBB41_29:
	s_endpgm
	.section	.rodata,"a",@progbits
	.p2align	6, 0x0
	.amdhsa_kernel _ZN9rocsparseL19gtsv_LBM_rhs_kernelILj256ELj16ELj8EfEEviiiPKT2_S3_S3_PS1_S3_PKi
		.amdhsa_group_segment_fixed_size 0
		.amdhsa_private_segment_fixed_size 0
		.amdhsa_kernarg_size 64
		.amdhsa_user_sgpr_count 2
		.amdhsa_user_sgpr_dispatch_ptr 0
		.amdhsa_user_sgpr_queue_ptr 0
		.amdhsa_user_sgpr_kernarg_segment_ptr 1
		.amdhsa_user_sgpr_dispatch_id 0
		.amdhsa_user_sgpr_kernarg_preload_length 0
		.amdhsa_user_sgpr_kernarg_preload_offset 0
		.amdhsa_user_sgpr_private_segment_size 0
		.amdhsa_uses_dynamic_stack 0
		.amdhsa_enable_private_segment 0
		.amdhsa_system_sgpr_workgroup_id_x 1
		.amdhsa_system_sgpr_workgroup_id_y 1
		.amdhsa_system_sgpr_workgroup_id_z 0
		.amdhsa_system_sgpr_workgroup_info 0
		.amdhsa_system_vgpr_workitem_id 0
		.amdhsa_next_free_vgpr 64
		.amdhsa_next_free_sgpr 37
		.amdhsa_accum_offset 64
		.amdhsa_reserve_vcc 1
		.amdhsa_float_round_mode_32 0
		.amdhsa_float_round_mode_16_64 0
		.amdhsa_float_denorm_mode_32 3
		.amdhsa_float_denorm_mode_16_64 3
		.amdhsa_dx10_clamp 1
		.amdhsa_ieee_mode 1
		.amdhsa_fp16_overflow 0
		.amdhsa_tg_split 0
		.amdhsa_exception_fp_ieee_invalid_op 0
		.amdhsa_exception_fp_denorm_src 0
		.amdhsa_exception_fp_ieee_div_zero 0
		.amdhsa_exception_fp_ieee_overflow 0
		.amdhsa_exception_fp_ieee_underflow 0
		.amdhsa_exception_fp_ieee_inexact 0
		.amdhsa_exception_int_div_zero 0
	.end_amdhsa_kernel
	.section	.text._ZN9rocsparseL19gtsv_LBM_rhs_kernelILj256ELj16ELj8EfEEviiiPKT2_S3_S3_PS1_S3_PKi,"axG",@progbits,_ZN9rocsparseL19gtsv_LBM_rhs_kernelILj256ELj16ELj8EfEEviiiPKT2_S3_S3_PS1_S3_PKi,comdat
.Lfunc_end41:
	.size	_ZN9rocsparseL19gtsv_LBM_rhs_kernelILj256ELj16ELj8EfEEviiiPKT2_S3_S3_PS1_S3_PKi, .Lfunc_end41-_ZN9rocsparseL19gtsv_LBM_rhs_kernelILj256ELj16ELj8EfEEviiiPKT2_S3_S3_PS1_S3_PKi
                                        ; -- End function
	.set _ZN9rocsparseL19gtsv_LBM_rhs_kernelILj256ELj16ELj8EfEEviiiPKT2_S3_S3_PS1_S3_PKi.num_vgpr, 64
	.set _ZN9rocsparseL19gtsv_LBM_rhs_kernelILj256ELj16ELj8EfEEviiiPKT2_S3_S3_PS1_S3_PKi.num_agpr, 0
	.set _ZN9rocsparseL19gtsv_LBM_rhs_kernelILj256ELj16ELj8EfEEviiiPKT2_S3_S3_PS1_S3_PKi.numbered_sgpr, 37
	.set _ZN9rocsparseL19gtsv_LBM_rhs_kernelILj256ELj16ELj8EfEEviiiPKT2_S3_S3_PS1_S3_PKi.num_named_barrier, 0
	.set _ZN9rocsparseL19gtsv_LBM_rhs_kernelILj256ELj16ELj8EfEEviiiPKT2_S3_S3_PS1_S3_PKi.private_seg_size, 0
	.set _ZN9rocsparseL19gtsv_LBM_rhs_kernelILj256ELj16ELj8EfEEviiiPKT2_S3_S3_PS1_S3_PKi.uses_vcc, 1
	.set _ZN9rocsparseL19gtsv_LBM_rhs_kernelILj256ELj16ELj8EfEEviiiPKT2_S3_S3_PS1_S3_PKi.uses_flat_scratch, 0
	.set _ZN9rocsparseL19gtsv_LBM_rhs_kernelILj256ELj16ELj8EfEEviiiPKT2_S3_S3_PS1_S3_PKi.has_dyn_sized_stack, 0
	.set _ZN9rocsparseL19gtsv_LBM_rhs_kernelILj256ELj16ELj8EfEEviiiPKT2_S3_S3_PS1_S3_PKi.has_recursion, 0
	.set _ZN9rocsparseL19gtsv_LBM_rhs_kernelILj256ELj16ELj8EfEEviiiPKT2_S3_S3_PS1_S3_PKi.has_indirect_call, 0
	.section	.AMDGPU.csdata,"",@progbits
; Kernel info:
; codeLenInByte = 3884
; TotalNumSgprs: 43
; NumVgprs: 64
; NumAgprs: 0
; TotalNumVgprs: 64
; ScratchSize: 0
; MemoryBound: 0
; FloatMode: 240
; IeeeMode: 1
; LDSByteSize: 0 bytes/workgroup (compile time only)
; SGPRBlocks: 5
; VGPRBlocks: 7
; NumSGPRsForWavesPerEU: 43
; NumVGPRsForWavesPerEU: 64
; AccumOffset: 64
; Occupancy: 8
; WaveLimiterHint : 0
; COMPUTE_PGM_RSRC2:SCRATCH_EN: 0
; COMPUTE_PGM_RSRC2:USER_SGPR: 2
; COMPUTE_PGM_RSRC2:TRAP_HANDLER: 0
; COMPUTE_PGM_RSRC2:TGID_X_EN: 1
; COMPUTE_PGM_RSRC2:TGID_Y_EN: 1
; COMPUTE_PGM_RSRC2:TGID_Z_EN: 0
; COMPUTE_PGM_RSRC2:TIDIG_COMP_CNT: 0
; COMPUTE_PGM_RSRC3_GFX90A:ACCUM_OFFSET: 15
; COMPUTE_PGM_RSRC3_GFX90A:TG_SPLIT: 0
	.section	.text._ZN9rocsparseL19gtsv_LBM_rhs_kernelILj256ELj16ELj4EfEEviiiPKT2_S3_S3_PS1_S3_PKi,"axG",@progbits,_ZN9rocsparseL19gtsv_LBM_rhs_kernelILj256ELj16ELj4EfEEviiiPKT2_S3_S3_PS1_S3_PKi,comdat
	.globl	_ZN9rocsparseL19gtsv_LBM_rhs_kernelILj256ELj16ELj4EfEEviiiPKT2_S3_S3_PS1_S3_PKi ; -- Begin function _ZN9rocsparseL19gtsv_LBM_rhs_kernelILj256ELj16ELj4EfEEviiiPKT2_S3_S3_PS1_S3_PKi
	.p2align	8
	.type	_ZN9rocsparseL19gtsv_LBM_rhs_kernelILj256ELj16ELj4EfEEviiiPKT2_S3_S3_PS1_S3_PKi,@function
_ZN9rocsparseL19gtsv_LBM_rhs_kernelILj256ELj16ELj4EfEEviiiPKT2_S3_S3_PS1_S3_PKi: ; @_ZN9rocsparseL19gtsv_LBM_rhs_kernelILj256ELj16ELj4EfEEviiiPKT2_S3_S3_PS1_S3_PKi
; %bb.0:
	s_load_dword s23, s[0:1], 0x0
	v_lshl_or_b32 v0, s2, 8, v0
	s_waitcnt lgkmcnt(0)
	s_lshr_b32 s22, s23, 4
	v_cmp_gt_i32_e32 vcc, s22, v0
	s_and_saveexec_b64 s[4:5], vcc
	s_cbranch_execz .LBB42_29
; %bb.1:
	s_load_dwordx4 s[8:11], s[0:1], 0x28
	s_load_dwordx2 s[6:7], s[0:1], 0x38
	s_cmp_lt_i32 s23, 1
	v_add_u32_e32 v12, s22, v0
	s_mul_i32 s24, s3, s23
	s_cbranch_scc1 .LBB42_21
; %bb.2:
	s_load_dwordx4 s[12:15], s[0:1], 0x10
	s_load_dwordx2 s[16:17], s[0:1], 0x20
	v_ashrrev_i32_e32 v1, 31, v0
	s_lshl_b32 s28, s24, 2
	s_add_i32 s29, s28, s23
	s_waitcnt lgkmcnt(0)
	v_lshl_add_u64 v[2:3], v[0:1], 2, s[14:15]
	global_load_dword v14, v[2:3], off
	s_add_i32 s30, s29, s23
	s_mul_i32 s25, s22, 15
	s_mul_i32 s26, s22, 14
	s_lshl_b32 s27, s22, 1
	v_add_u32_e32 v13, s22, v12
	s_add_i32 s31, s30, s23
	v_mov_b32_e32 v3, 0
	s_mov_b64 s[18:19], 0
	v_mov_b32_e32 v1, 0
	s_branch .LBB42_5
.LBB42_3:                               ;   in Loop: Header=BB42_5 Depth=1
	s_or_b64 exec, exec, s[4:5]
	v_fma_f32 v14, -v14, v20, v16
	v_mov_b32_e32 v2, s22
.LBB42_4:                               ;   in Loop: Header=BB42_5 Depth=1
	s_or_b64 exec, exec, s[2:3]
	v_add_u32_e32 v1, v2, v1
	v_cmp_le_i32_e32 vcc, s23, v1
	s_or_b64 s[18:19], vcc, s[18:19]
	s_andn2_b64 exec, exec, s[18:19]
	s_cbranch_execz .LBB42_20
.LBB42_5:                               ; =>This Inner Loop Header: Depth=1
	v_add_u32_e32 v10, v1, v0
	v_ashrrev_i32_e32 v11, 31, v10
	v_lshl_add_u64 v[4:5], v[10:11], 2, s[16:17]
	global_load_dword v18, v[4:5], off
	v_cmp_gt_u32_e64 s[0:1], s25, v1
	v_mov_b32_e32 v15, 0
	s_and_saveexec_b64 s[2:3], s[0:1]
	s_cbranch_execz .LBB42_7
; %bb.6:                                ;   in Loop: Header=BB42_5 Depth=1
	v_add_u32_e32 v4, v12, v1
	v_ashrrev_i32_e32 v5, 31, v4
	v_lshl_add_u64 v[4:5], v[4:5], 2, s[12:13]
	global_load_dword v15, v[4:5], off
.LBB42_7:                               ;   in Loop: Header=BB42_5 Depth=1
	s_or_b64 exec, exec, s[2:3]
	v_mov_b32_e32 v17, 0
	v_mov_b32_e32 v16, 0
	s_and_saveexec_b64 s[2:3], s[0:1]
	s_cbranch_execz .LBB42_9
; %bb.8:                                ;   in Loop: Header=BB42_5 Depth=1
	v_add_u32_e32 v4, v12, v1
	v_ashrrev_i32_e32 v5, 31, v4
	v_lshl_add_u64 v[4:5], v[4:5], 2, s[14:15]
	global_load_dword v16, v[4:5], off
.LBB42_9:                               ;   in Loop: Header=BB42_5 Depth=1
	s_or_b64 exec, exec, s[2:3]
	s_and_saveexec_b64 s[2:3], s[0:1]
	s_cbranch_execz .LBB42_11
; %bb.10:                               ;   in Loop: Header=BB42_5 Depth=1
	v_add_u32_e32 v4, v12, v1
	v_ashrrev_i32_e32 v5, 31, v4
	v_lshl_add_u64 v[4:5], v[4:5], 2, s[16:17]
	global_load_dword v17, v[4:5], off
.LBB42_11:                              ;   in Loop: Header=BB42_5 Depth=1
	s_or_b64 exec, exec, s[2:3]
	v_cmp_gt_u32_e64 s[2:3], s26, v1
	v_mov_b32_e32 v19, 0
	s_and_saveexec_b64 s[4:5], s[2:3]
	s_cbranch_execz .LBB42_13
; %bb.12:                               ;   in Loop: Header=BB42_5 Depth=1
	v_add_u32_e32 v4, v13, v1
	v_ashrrev_i32_e32 v5, 31, v4
	v_lshl_add_u64 v[4:5], v[4:5], 2, s[12:13]
	global_load_dword v19, v[4:5], off
.LBB42_13:                              ;   in Loop: Header=BB42_5 Depth=1
	s_or_b64 exec, exec, s[4:5]
	v_lshl_add_u64 v[4:5], v[10:11], 2, s[6:7]
	v_add_u32_e32 v2, s28, v10
	global_load_dword v20, v[4:5], off
	v_lshl_add_u64 v[4:5], v[2:3], 2, s[8:9]
	v_add_u32_e32 v2, s29, v10
	v_lshl_add_u64 v[6:7], v[2:3], 2, s[8:9]
	v_add_u32_e32 v2, s30, v10
	;; [unrolled: 2-line block ×3, first 2 shown]
	v_lshl_add_u64 v[10:11], v[2:3], 2, s[8:9]
	global_load_dword v21, v[4:5], off
	global_load_dword v22, v[6:7], off
	;; [unrolled: 1-line block ×4, first 2 shown]
	v_cmp_ne_u32_e64 s[4:5], s25, v1
	s_waitcnt vmcnt(4)
	v_cmp_ne_u32_e32 vcc, 1, v20
	s_and_b64 s[4:5], s[4:5], vcc
	v_mul_f32_e32 v20, v18, v15
	s_and_saveexec_b64 s[20:21], s[4:5]
	s_xor_b64 s[4:5], exec, s[20:21]
	s_cbranch_execz .LBB42_17
; %bb.14:                               ;   in Loop: Header=BB42_5 Depth=1
	v_add_u32_e32 v25, v12, v1
	v_add_u32_e32 v2, s28, v25
	v_lshl_add_u64 v[30:31], v[2:3], 2, s[8:9]
	v_add_u32_e32 v2, s29, v25
	v_lshl_add_u64 v[32:33], v[2:3], 2, s[8:9]
	v_add_u32_e32 v2, s30, v25
	global_load_dword v27, v[30:31], off
	global_load_dword v28, v[32:33], off
	v_lshl_add_u64 v[34:35], v[2:3], 2, s[8:9]
	v_add_u32_e32 v2, s31, v25
	global_load_dword v29, v[34:35], off
	v_lshl_add_u64 v[36:37], v[2:3], 2, s[8:9]
	global_load_dword v2, v[36:37], off
	v_fma_f32 v20, v14, v16, -v20
	v_div_scale_f32 v25, s[20:21], v20, v20, 1.0
	v_rcp_f32_e32 v26, v25
	v_div_scale_f32 v38, vcc, 1.0, v20, 1.0
	v_fma_f32 v39, -v25, v26, 1.0
	v_fmac_f32_e32 v26, v39, v26
	v_mul_f32_e32 v39, v38, v26
	v_fma_f32 v40, -v25, v39, v38
	v_fmac_f32_e32 v39, v40, v26
	v_fma_f32 v25, -v25, v39, v38
	v_div_fmas_f32 v25, v25, v26, v39
	v_div_fixup_f32 v20, v25, v20, 1.0
	s_waitcnt vmcnt(7)
	v_mul_f32_e32 v25, v20, v21
	s_waitcnt vmcnt(6)
	v_mul_f32_e32 v26, v20, v22
	;; [unrolled: 2-line block ×3, first 2 shown]
	v_mul_f32_e32 v23, v15, v25
	s_waitcnt vmcnt(4)
	v_mul_f32_e32 v22, v20, v24
	v_mul_f32_e32 v24, v15, v26
	;; [unrolled: 1-line block ×4, first 2 shown]
	s_waitcnt vmcnt(3)
	v_mul_f32_e32 v27, v20, v27
	s_waitcnt vmcnt(2)
	v_mul_f32_e32 v28, v20, v28
	v_mul_f32_e32 v40, v18, v27
	v_fma_f32 v41, v14, v27, -v23
	s_waitcnt vmcnt(1)
	v_mul_f32_e32 v23, v20, v29
	v_fma_f32 v29, v16, v25, -v40
	v_mul_f32_e32 v40, v18, v28
	v_fma_f32 v42, v14, v28, -v24
	s_waitcnt vmcnt(0)
	v_mul_f32_e32 v24, v20, v2
	global_store_dword v[4:5], v29, off
	v_fma_f32 v2, v16, v26, -v40
	v_mul_f32_e32 v4, v18, v23
	global_store_dword v[6:7], v2, off
	v_fma_f32 v2, v16, v21, -v4
	;; [unrolled: 3-line block ×3, first 2 shown]
	v_fma_f32 v5, v14, v23, -v38
	v_fma_f32 v6, v14, v24, -v39
	global_store_dword v[10:11], v2, off
	global_store_dword v[30:31], v41, off
	;; [unrolled: 1-line block ×5, first 2 shown]
	v_mov_b32_e32 v2, 0
	s_and_saveexec_b64 s[20:21], s[2:3]
	s_cbranch_execz .LBB42_16
; %bb.15:                               ;   in Loop: Header=BB42_5 Depth=1
	v_add_u32_e32 v4, v13, v1
	v_add_u32_e32 v2, s28, v4
	v_lshl_add_u64 v[6:7], v[2:3], 2, s[8:9]
	v_add_u32_e32 v2, s29, v4
	global_load_dword v16, v[6:7], off
	v_lshl_add_u64 v[8:9], v[2:3], 2, s[8:9]
	global_load_dword v18, v[8:9], off
	v_mul_f32_e32 v29, v15, v19
	v_mul_f32_e32 v19, v14, v19
	;; [unrolled: 1-line block ×4, first 2 shown]
	v_fma_f32 v25, v29, v25, -v2
	v_add_u32_e32 v2, s30, v4
	v_fma_f32 v26, v29, v26, -v10
	v_lshl_add_u64 v[10:11], v[2:3], 2, s[8:9]
	v_add_u32_e32 v2, s31, v4
	v_lshl_add_u64 v[14:15], v[2:3], 2, s[8:9]
	v_ashrrev_i32_e32 v5, 31, v4
	v_lshl_add_u64 v[4:5], v[4:5], 2, s[14:15]
	global_load_dword v4, v[4:5], off
	v_mul_f32_e32 v5, v19, v23
	v_fma_f32 v5, v29, v21, -v5
	s_waitcnt vmcnt(2)
	v_add_f32_e32 v2, v25, v16
	global_store_dword v[6:7], v2, off
	s_waitcnt vmcnt(2)
	v_add_f32_e32 v2, v26, v18
	global_store_dword v[8:9], v2, off
	global_load_dword v6, v[10:11], off
	v_mul_f32_e32 v7, v19, v24
	global_load_dword v2, v[14:15], off
	v_fma_f32 v7, v29, v22, -v7
	v_mul_f32_e32 v8, v17, v19
	s_waitcnt vmcnt(1)
	v_add_f32_e32 v5, v5, v6
	global_store_dword v[10:11], v5, off
	s_waitcnt vmcnt(1)
	v_add_f32_e32 v2, v7, v2
	global_store_dword v[14:15], v2, off
	v_fma_f32 v2, -v20, v8, v4
.LBB42_16:                              ;   in Loop: Header=BB42_5 Depth=1
	s_or_b64 exec, exec, s[20:21]
	v_mov_b32_e32 v14, v2
                                        ; implicit-def: $vgpr15
                                        ; implicit-def: $vgpr16
                                        ; implicit-def: $vgpr20
                                        ; implicit-def: $vgpr4_vgpr5
                                        ; implicit-def: $vgpr21
                                        ; implicit-def: $vgpr6_vgpr7
                                        ; implicit-def: $vgpr22
                                        ; implicit-def: $vgpr8_vgpr9
                                        ; implicit-def: $vgpr23
                                        ; implicit-def: $vgpr10_vgpr11
                                        ; implicit-def: $vgpr24
.LBB42_17:                              ;   in Loop: Header=BB42_5 Depth=1
	s_or_saveexec_b64 s[2:3], s[4:5]
	v_mov_b32_e32 v2, s27
	s_xor_b64 exec, exec, s[2:3]
	s_cbranch_execz .LBB42_4
; %bb.18:                               ;   in Loop: Header=BB42_5 Depth=1
	v_div_scale_f32 v2, s[4:5], v14, v14, 1.0
	v_rcp_f32_e32 v17, v2
	v_div_scale_f32 v18, vcc, 1.0, v14, 1.0
	v_fma_f32 v19, -v2, v17, 1.0
	v_fmac_f32_e32 v17, v19, v17
	v_mul_f32_e32 v19, v18, v17
	v_fma_f32 v25, -v2, v19, v18
	v_fmac_f32_e32 v19, v25, v17
	v_fma_f32 v2, -v2, v19, v18
	v_div_fmas_f32 v2, v2, v17, v19
	v_div_fixup_f32 v14, v2, v14, 1.0
	s_waitcnt vmcnt(3)
	v_mul_f32_e32 v21, v14, v21
	s_waitcnt vmcnt(2)
	v_mul_f32_e32 v19, v14, v22
	;; [unrolled: 2-line block ×4, first 2 shown]
	global_store_dword v[4:5], v21, off
	global_store_dword v[6:7], v19, off
	global_store_dword v[8:9], v18, off
	global_store_dword v[10:11], v17, off
	s_and_saveexec_b64 s[4:5], s[0:1]
	s_cbranch_execz .LBB42_3
; %bb.19:                               ;   in Loop: Header=BB42_5 Depth=1
	v_add_u32_e32 v10, v12, v1
	v_add_u32_e32 v2, s28, v10
	v_lshl_add_u64 v[4:5], v[2:3], 2, s[8:9]
	v_add_u32_e32 v2, s29, v10
	global_load_dword v22, v[4:5], off
	v_lshl_add_u64 v[6:7], v[2:3], 2, s[8:9]
	global_load_dword v23, v[6:7], off
	v_add_u32_e32 v2, s30, v10
	v_lshl_add_u64 v[8:9], v[2:3], 2, s[8:9]
	v_add_u32_e32 v2, s31, v10
	v_lshl_add_u64 v[10:11], v[2:3], 2, s[8:9]
	s_waitcnt vmcnt(1)
	v_fma_f32 v2, -v15, v21, v22
	global_store_dword v[4:5], v2, off
	s_waitcnt vmcnt(1)
	v_fma_f32 v2, -v15, v19, v23
	global_store_dword v[6:7], v2, off
	global_load_dword v4, v[8:9], off
	s_nop 0
	global_load_dword v2, v[10:11], off
	s_waitcnt vmcnt(1)
	v_fma_f32 v4, -v15, v18, v4
	global_store_dword v[8:9], v4, off
	s_waitcnt vmcnt(1)
	v_fma_f32 v2, -v15, v17, v2
	global_store_dword v[10:11], v2, off
	s_branch .LBB42_3
.LBB42_20:
	s_or_b64 exec, exec, s[18:19]
	s_branch .LBB42_22
.LBB42_21:
	v_mov_b32_e32 v1, 0
.LBB42_22:
	v_subrev_u32_e32 v1, s22, v1
	v_add_u32_e32 v2, v1, v0
	v_ashrrev_i32_e32 v3, 31, v2
	s_waitcnt lgkmcnt(0)
	v_lshl_add_u64 v[2:3], v[2:3], 2, s[6:7]
	buffer_wbl2 sc1
	s_waitcnt vmcnt(0)
	buffer_inv sc1
	global_load_dword v2, v[2:3], off
	s_waitcnt vmcnt(0)
	v_mul_lo_u32 v2, v2, s22
	v_sub_u32_e32 v1, v1, v2
	v_cmp_lt_i32_e32 vcc, -1, v1
	s_and_b64 exec, exec, vcc
	s_cbranch_execz .LBB42_29
; %bb.23:
	s_lshl_b32 s4, s24, 2
	s_add_i32 s5, s4, s23
	s_add_i32 s12, s5, s23
	;; [unrolled: 1-line block ×3, first 2 shown]
	s_lshl_b32 s14, s22, 1
	s_mov_b64 s[0:1], 0
	v_mov_b32_e32 v3, 0
	s_branch .LBB42_25
.LBB42_24:                              ;   in Loop: Header=BB42_25 Depth=1
	s_or_b64 exec, exec, s[2:3]
	v_sub_u32_e32 v1, v1, v2
	v_cmp_gt_i32_e32 vcc, 0, v1
	s_or_b64 s[0:1], vcc, s[0:1]
	s_andn2_b64 exec, exec, s[0:1]
	s_cbranch_execz .LBB42_29
.LBB42_25:                              ; =>This Inner Loop Header: Depth=1
	v_add_u32_e32 v4, v1, v0
	s_waitcnt vmcnt(0)
	v_ashrrev_i32_e32 v5, 31, v4
	v_lshlrev_b64 v[6:7], 2, v[4:5]
	v_lshl_add_u64 v[8:9], s[6:7], 0, v[6:7]
	global_load_dword v2, v[8:9], off
	v_lshl_add_u64 v[6:7], s[10:11], 0, v[6:7]
	global_load_dword v5, v[6:7], off
	s_waitcnt vmcnt(1)
	v_cmp_ne_u32_e32 vcc, 1, v2
	s_and_saveexec_b64 s[2:3], vcc
	s_xor_b64 s[2:3], exec, s[2:3]
	s_cbranch_execz .LBB42_27
; %bb.26:                               ;   in Loop: Header=BB42_25 Depth=1
	v_add_u32_e32 v13, v12, v1
	v_add_u32_e32 v2, s4, v13
	v_lshl_add_u64 v[6:7], v[2:3], 2, s[8:9]
	v_add_u32_e32 v2, s5, v13
	v_lshl_add_u64 v[8:9], v[2:3], 2, s[8:9]
	;; [unrolled: 2-line block ×5, first 2 shown]
	global_load_dword v13, v[6:7], off
	global_load_dword v18, v[16:17], off
	;; [unrolled: 1-line block ×5, first 2 shown]
	v_add_u32_e32 v2, s5, v4
	v_lshl_add_u64 v[6:7], v[2:3], 2, s[8:9]
	s_waitcnt vmcnt(3)
	v_fma_f32 v2, -v5, v13, v18
	global_store_dword v[16:17], v2, off
	global_load_dword v10, v[6:7], off
	v_add_u32_e32 v2, s12, v4
	v_lshl_add_u64 v[8:9], v[2:3], 2, s[8:9]
	s_waitcnt vmcnt(0)
	v_fma_f32 v2, -v5, v19, v10
	global_store_dword v[6:7], v2, off
	global_load_dword v10, v[8:9], off
	;; [unrolled: 6-line block ×3, first 2 shown]
	v_subrev_u32_e32 v2, s22, v1
	v_add_u32_e32 v8, v2, v0
	v_ashrrev_i32_e32 v9, 31, v8
	v_lshl_add_u64 v[10:11], v[8:9], 2, s[10:11]
	v_add_u32_e32 v2, s4, v8
	global_load_dword v9, v[10:11], off
	v_lshl_add_u64 v[10:11], v[2:3], 2, s[8:9]
	s_waitcnt vmcnt(1)
	v_fma_f32 v2, -v5, v21, v4
	global_store_dword v[6:7], v2, off
	global_load_dword v6, v[10:11], off
	v_add_u32_e32 v2, s5, v8
	v_lshl_add_u64 v[4:5], v[2:3], 2, s[8:9]
	s_waitcnt vmcnt(0)
	v_fma_f32 v2, -v9, v13, v6
	global_store_dword v[10:11], v2, off
	global_load_dword v10, v[4:5], off
	v_add_u32_e32 v2, s12, v8
	;; [unrolled: 6-line block ×3, first 2 shown]
	s_waitcnt vmcnt(0)
	v_fma_f32 v4, -v9, v20, v4
	global_store_dword v[6:7], v4, off
	v_lshl_add_u64 v[4:5], v[2:3], 2, s[8:9]
	global_load_dword v2, v[4:5], off
	s_waitcnt vmcnt(0)
	v_fma_f32 v2, -v9, v21, v2
	global_store_dword v[4:5], v2, off
                                        ; implicit-def: $vgpr4
                                        ; implicit-def: $vgpr5
.LBB42_27:                              ;   in Loop: Header=BB42_25 Depth=1
	s_or_saveexec_b64 s[2:3], s[2:3]
	v_mov_b32_e32 v2, s14
	s_xor_b64 exec, exec, s[2:3]
	s_cbranch_execz .LBB42_24
; %bb.28:                               ;   in Loop: Header=BB42_25 Depth=1
	v_add_u32_e32 v13, v12, v1
	v_add_u32_e32 v2, s4, v13
	v_lshl_add_u64 v[6:7], v[2:3], 2, s[8:9]
	v_add_u32_e32 v2, s4, v4
	v_lshl_add_u64 v[8:9], v[2:3], 2, s[8:9]
	global_load_dword v14, v[6:7], off
	global_load_dword v15, v[8:9], off
	v_add_u32_e32 v2, s5, v13
	v_lshl_add_u64 v[6:7], v[2:3], 2, s[8:9]
	v_add_u32_e32 v2, s5, v4
	v_lshl_add_u64 v[10:11], v[2:3], 2, s[8:9]
	s_waitcnt vmcnt(0)
	v_fma_f32 v2, -v5, v14, v15
	global_store_dword v[8:9], v2, off
	global_load_dword v14, v[6:7], off
	global_load_dword v15, v[10:11], off
	v_add_u32_e32 v2, s12, v13
	v_lshl_add_u64 v[6:7], v[2:3], 2, s[8:9]
	v_add_u32_e32 v2, s12, v4
	v_lshl_add_u64 v[8:9], v[2:3], 2, s[8:9]
	s_waitcnt vmcnt(0)
	v_fma_f32 v2, -v5, v14, v15
	global_store_dword v[10:11], v2, off
	;; [unrolled: 9-line block ×3, first 2 shown]
	global_load_dword v2, v[6:7], off
	s_nop 0
	global_load_dword v4, v[10:11], off
	s_waitcnt vmcnt(0)
	v_fma_f32 v2, -v5, v2, v4
	global_store_dword v[10:11], v2, off
	v_mov_b32_e32 v2, s22
	s_branch .LBB42_24
.LBB42_29:
	s_endpgm
	.section	.rodata,"a",@progbits
	.p2align	6, 0x0
	.amdhsa_kernel _ZN9rocsparseL19gtsv_LBM_rhs_kernelILj256ELj16ELj4EfEEviiiPKT2_S3_S3_PS1_S3_PKi
		.amdhsa_group_segment_fixed_size 0
		.amdhsa_private_segment_fixed_size 0
		.amdhsa_kernarg_size 64
		.amdhsa_user_sgpr_count 2
		.amdhsa_user_sgpr_dispatch_ptr 0
		.amdhsa_user_sgpr_queue_ptr 0
		.amdhsa_user_sgpr_kernarg_segment_ptr 1
		.amdhsa_user_sgpr_dispatch_id 0
		.amdhsa_user_sgpr_kernarg_preload_length 0
		.amdhsa_user_sgpr_kernarg_preload_offset 0
		.amdhsa_user_sgpr_private_segment_size 0
		.amdhsa_uses_dynamic_stack 0
		.amdhsa_enable_private_segment 0
		.amdhsa_system_sgpr_workgroup_id_x 1
		.amdhsa_system_sgpr_workgroup_id_y 1
		.amdhsa_system_sgpr_workgroup_id_z 0
		.amdhsa_system_sgpr_workgroup_info 0
		.amdhsa_system_vgpr_workitem_id 0
		.amdhsa_next_free_vgpr 43
		.amdhsa_next_free_sgpr 32
		.amdhsa_accum_offset 44
		.amdhsa_reserve_vcc 1
		.amdhsa_float_round_mode_32 0
		.amdhsa_float_round_mode_16_64 0
		.amdhsa_float_denorm_mode_32 3
		.amdhsa_float_denorm_mode_16_64 3
		.amdhsa_dx10_clamp 1
		.amdhsa_ieee_mode 1
		.amdhsa_fp16_overflow 0
		.amdhsa_tg_split 0
		.amdhsa_exception_fp_ieee_invalid_op 0
		.amdhsa_exception_fp_denorm_src 0
		.amdhsa_exception_fp_ieee_div_zero 0
		.amdhsa_exception_fp_ieee_overflow 0
		.amdhsa_exception_fp_ieee_underflow 0
		.amdhsa_exception_fp_ieee_inexact 0
		.amdhsa_exception_int_div_zero 0
	.end_amdhsa_kernel
	.section	.text._ZN9rocsparseL19gtsv_LBM_rhs_kernelILj256ELj16ELj4EfEEviiiPKT2_S3_S3_PS1_S3_PKi,"axG",@progbits,_ZN9rocsparseL19gtsv_LBM_rhs_kernelILj256ELj16ELj4EfEEviiiPKT2_S3_S3_PS1_S3_PKi,comdat
.Lfunc_end42:
	.size	_ZN9rocsparseL19gtsv_LBM_rhs_kernelILj256ELj16ELj4EfEEviiiPKT2_S3_S3_PS1_S3_PKi, .Lfunc_end42-_ZN9rocsparseL19gtsv_LBM_rhs_kernelILj256ELj16ELj4EfEEviiiPKT2_S3_S3_PS1_S3_PKi
                                        ; -- End function
	.set _ZN9rocsparseL19gtsv_LBM_rhs_kernelILj256ELj16ELj4EfEEviiiPKT2_S3_S3_PS1_S3_PKi.num_vgpr, 43
	.set _ZN9rocsparseL19gtsv_LBM_rhs_kernelILj256ELj16ELj4EfEEviiiPKT2_S3_S3_PS1_S3_PKi.num_agpr, 0
	.set _ZN9rocsparseL19gtsv_LBM_rhs_kernelILj256ELj16ELj4EfEEviiiPKT2_S3_S3_PS1_S3_PKi.numbered_sgpr, 32
	.set _ZN9rocsparseL19gtsv_LBM_rhs_kernelILj256ELj16ELj4EfEEviiiPKT2_S3_S3_PS1_S3_PKi.num_named_barrier, 0
	.set _ZN9rocsparseL19gtsv_LBM_rhs_kernelILj256ELj16ELj4EfEEviiiPKT2_S3_S3_PS1_S3_PKi.private_seg_size, 0
	.set _ZN9rocsparseL19gtsv_LBM_rhs_kernelILj256ELj16ELj4EfEEviiiPKT2_S3_S3_PS1_S3_PKi.uses_vcc, 1
	.set _ZN9rocsparseL19gtsv_LBM_rhs_kernelILj256ELj16ELj4EfEEviiiPKT2_S3_S3_PS1_S3_PKi.uses_flat_scratch, 0
	.set _ZN9rocsparseL19gtsv_LBM_rhs_kernelILj256ELj16ELj4EfEEviiiPKT2_S3_S3_PS1_S3_PKi.has_dyn_sized_stack, 0
	.set _ZN9rocsparseL19gtsv_LBM_rhs_kernelILj256ELj16ELj4EfEEviiiPKT2_S3_S3_PS1_S3_PKi.has_recursion, 0
	.set _ZN9rocsparseL19gtsv_LBM_rhs_kernelILj256ELj16ELj4EfEEviiiPKT2_S3_S3_PS1_S3_PKi.has_indirect_call, 0
	.section	.AMDGPU.csdata,"",@progbits
; Kernel info:
; codeLenInByte = 2432
; TotalNumSgprs: 38
; NumVgprs: 43
; NumAgprs: 0
; TotalNumVgprs: 43
; ScratchSize: 0
; MemoryBound: 0
; FloatMode: 240
; IeeeMode: 1
; LDSByteSize: 0 bytes/workgroup (compile time only)
; SGPRBlocks: 4
; VGPRBlocks: 5
; NumSGPRsForWavesPerEU: 38
; NumVGPRsForWavesPerEU: 43
; AccumOffset: 44
; Occupancy: 8
; WaveLimiterHint : 0
; COMPUTE_PGM_RSRC2:SCRATCH_EN: 0
; COMPUTE_PGM_RSRC2:USER_SGPR: 2
; COMPUTE_PGM_RSRC2:TRAP_HANDLER: 0
; COMPUTE_PGM_RSRC2:TGID_X_EN: 1
; COMPUTE_PGM_RSRC2:TGID_Y_EN: 1
; COMPUTE_PGM_RSRC2:TGID_Z_EN: 0
; COMPUTE_PGM_RSRC2:TIDIG_COMP_CNT: 0
; COMPUTE_PGM_RSRC3_GFX90A:ACCUM_OFFSET: 10
; COMPUTE_PGM_RSRC3_GFX90A:TG_SPLIT: 0
	.section	.text._ZN9rocsparseL19gtsv_LBM_rhs_kernelILj256ELj16ELj2EfEEviiiPKT2_S3_S3_PS1_S3_PKi,"axG",@progbits,_ZN9rocsparseL19gtsv_LBM_rhs_kernelILj256ELj16ELj2EfEEviiiPKT2_S3_S3_PS1_S3_PKi,comdat
	.globl	_ZN9rocsparseL19gtsv_LBM_rhs_kernelILj256ELj16ELj2EfEEviiiPKT2_S3_S3_PS1_S3_PKi ; -- Begin function _ZN9rocsparseL19gtsv_LBM_rhs_kernelILj256ELj16ELj2EfEEviiiPKT2_S3_S3_PS1_S3_PKi
	.p2align	8
	.type	_ZN9rocsparseL19gtsv_LBM_rhs_kernelILj256ELj16ELj2EfEEviiiPKT2_S3_S3_PS1_S3_PKi,@function
_ZN9rocsparseL19gtsv_LBM_rhs_kernelILj256ELj16ELj2EfEEviiiPKT2_S3_S3_PS1_S3_PKi: ; @_ZN9rocsparseL19gtsv_LBM_rhs_kernelILj256ELj16ELj2EfEEviiiPKT2_S3_S3_PS1_S3_PKi
; %bb.0:
	s_load_dword s23, s[0:1], 0x0
	v_lshl_or_b32 v0, s2, 8, v0
	s_waitcnt lgkmcnt(0)
	s_lshr_b32 s22, s23, 4
	v_cmp_gt_i32_e32 vcc, s22, v0
	s_and_saveexec_b64 s[4:5], vcc
	s_cbranch_execz .LBB43_29
; %bb.1:
	s_load_dwordx4 s[8:11], s[0:1], 0x28
	s_load_dwordx2 s[6:7], s[0:1], 0x38
	s_cmp_lt_i32 s23, 1
	v_add_u32_e32 v8, s22, v0
	s_mul_i32 s24, s3, s23
	s_cbranch_scc1 .LBB43_21
; %bb.2:
	s_load_dwordx4 s[12:15], s[0:1], 0x10
	s_load_dwordx2 s[16:17], s[0:1], 0x20
	v_ashrrev_i32_e32 v1, 31, v0
	s_lshl_b32 s28, s24, 1
	s_mul_i32 s25, s22, 15
	s_waitcnt lgkmcnt(0)
	v_lshl_add_u64 v[2:3], v[0:1], 2, s[14:15]
	global_load_dword v10, v[2:3], off
	s_mul_i32 s26, s22, 14
	s_lshl_b32 s27, s22, 1
	v_add_u32_e32 v9, s22, v8
	s_add_i32 s29, s28, s23
	v_mov_b32_e32 v3, 0
	s_mov_b64 s[18:19], 0
	v_mov_b32_e32 v1, 0
	s_branch .LBB43_5
.LBB43_3:                               ;   in Loop: Header=BB43_5 Depth=1
	s_or_b64 exec, exec, s[4:5]
	v_fma_f32 v10, -v10, v16, v12
	v_mov_b32_e32 v2, s22
.LBB43_4:                               ;   in Loop: Header=BB43_5 Depth=1
	s_or_b64 exec, exec, s[2:3]
	v_add_u32_e32 v1, v2, v1
	v_cmp_le_i32_e32 vcc, s23, v1
	s_or_b64 s[18:19], vcc, s[18:19]
	s_andn2_b64 exec, exec, s[18:19]
	s_cbranch_execz .LBB43_20
.LBB43_5:                               ; =>This Inner Loop Header: Depth=1
	v_add_u32_e32 v6, v1, v0
	v_ashrrev_i32_e32 v7, 31, v6
	v_lshl_add_u64 v[4:5], v[6:7], 2, s[16:17]
	global_load_dword v14, v[4:5], off
	v_cmp_gt_u32_e64 s[0:1], s25, v1
	v_mov_b32_e32 v11, 0
	s_and_saveexec_b64 s[2:3], s[0:1]
	s_cbranch_execz .LBB43_7
; %bb.6:                                ;   in Loop: Header=BB43_5 Depth=1
	v_add_u32_e32 v4, v8, v1
	v_ashrrev_i32_e32 v5, 31, v4
	v_lshl_add_u64 v[4:5], v[4:5], 2, s[12:13]
	global_load_dword v11, v[4:5], off
.LBB43_7:                               ;   in Loop: Header=BB43_5 Depth=1
	s_or_b64 exec, exec, s[2:3]
	v_mov_b32_e32 v13, 0
	v_mov_b32_e32 v12, 0
	s_and_saveexec_b64 s[2:3], s[0:1]
	s_cbranch_execz .LBB43_9
; %bb.8:                                ;   in Loop: Header=BB43_5 Depth=1
	v_add_u32_e32 v4, v8, v1
	v_ashrrev_i32_e32 v5, 31, v4
	v_lshl_add_u64 v[4:5], v[4:5], 2, s[14:15]
	global_load_dword v12, v[4:5], off
.LBB43_9:                               ;   in Loop: Header=BB43_5 Depth=1
	s_or_b64 exec, exec, s[2:3]
	s_and_saveexec_b64 s[2:3], s[0:1]
	s_cbranch_execz .LBB43_11
; %bb.10:                               ;   in Loop: Header=BB43_5 Depth=1
	v_add_u32_e32 v4, v8, v1
	v_ashrrev_i32_e32 v5, 31, v4
	v_lshl_add_u64 v[4:5], v[4:5], 2, s[16:17]
	global_load_dword v13, v[4:5], off
.LBB43_11:                              ;   in Loop: Header=BB43_5 Depth=1
	s_or_b64 exec, exec, s[2:3]
	v_cmp_gt_u32_e64 s[2:3], s26, v1
	v_mov_b32_e32 v15, 0
	s_and_saveexec_b64 s[4:5], s[2:3]
	s_cbranch_execz .LBB43_13
; %bb.12:                               ;   in Loop: Header=BB43_5 Depth=1
	v_add_u32_e32 v4, v9, v1
	v_ashrrev_i32_e32 v5, 31, v4
	v_lshl_add_u64 v[4:5], v[4:5], 2, s[12:13]
	global_load_dword v15, v[4:5], off
.LBB43_13:                              ;   in Loop: Header=BB43_5 Depth=1
	s_or_b64 exec, exec, s[4:5]
	v_lshl_add_u64 v[4:5], v[6:7], 2, s[6:7]
	global_load_dword v16, v[4:5], off
	v_add_u32_e32 v2, s28, v6
	v_lshl_add_u64 v[4:5], v[2:3], 2, s[8:9]
	v_add_u32_e32 v2, s29, v6
	v_lshl_add_u64 v[6:7], v[2:3], 2, s[8:9]
	global_load_dword v17, v[4:5], off
	global_load_dword v18, v[6:7], off
	v_cmp_ne_u32_e32 vcc, s25, v1
	s_waitcnt vmcnt(2)
	v_cmp_ne_u32_e64 s[4:5], 1, v16
	s_and_b64 s[4:5], vcc, s[4:5]
	v_mul_f32_e32 v16, v14, v11
	s_and_saveexec_b64 s[20:21], s[4:5]
	s_xor_b64 s[4:5], exec, s[20:21]
	s_cbranch_execz .LBB43_17
; %bb.14:                               ;   in Loop: Header=BB43_5 Depth=1
	v_add_u32_e32 v19, v8, v1
	v_add_u32_e32 v2, s28, v19
	v_lshl_add_u64 v[22:23], v[2:3], 2, s[8:9]
	v_add_u32_e32 v2, s29, v19
	v_lshl_add_u64 v[24:25], v[2:3], 2, s[8:9]
	global_load_dword v2, v[22:23], off
	global_load_dword v20, v[24:25], off
	v_fma_f32 v16, v10, v12, -v16
	v_div_scale_f32 v19, s[20:21], v16, v16, 1.0
	v_rcp_f32_e32 v21, v19
	v_div_scale_f32 v26, vcc, 1.0, v16, 1.0
	v_fma_f32 v27, -v19, v21, 1.0
	v_fmac_f32_e32 v21, v27, v21
	v_mul_f32_e32 v27, v26, v21
	v_fma_f32 v28, -v19, v27, v26
	v_fmac_f32_e32 v27, v28, v21
	v_fma_f32 v19, -v19, v27, v26
	v_div_fmas_f32 v19, v19, v21, v27
	v_div_fixup_f32 v16, v19, v16, 1.0
	s_waitcnt vmcnt(3)
	v_mul_f32_e32 v17, v16, v17
	s_waitcnt vmcnt(2)
	v_mul_f32_e32 v18, v16, v18
	v_mul_f32_e32 v21, v11, v17
	;; [unrolled: 1-line block ×3, first 2 shown]
	s_waitcnt vmcnt(1)
	v_mul_f32_e32 v19, v16, v2
	s_waitcnt vmcnt(0)
	v_mul_f32_e32 v20, v16, v20
	v_mul_f32_e32 v2, v14, v19
	v_fma_f32 v2, v12, v17, -v2
	v_mul_f32_e32 v14, v14, v20
	global_store_dword v[4:5], v2, off
	v_fma_f32 v2, v12, v18, -v14
	v_fma_f32 v21, v10, v19, -v21
	;; [unrolled: 1-line block ×3, first 2 shown]
	global_store_dword v[6:7], v2, off
	global_store_dword v[22:23], v21, off
	;; [unrolled: 1-line block ×3, first 2 shown]
	v_mov_b32_e32 v2, 0
	s_and_saveexec_b64 s[20:21], s[2:3]
	s_cbranch_execz .LBB43_16
; %bb.15:                               ;   in Loop: Header=BB43_5 Depth=1
	v_add_u32_e32 v4, v9, v1
	v_add_u32_e32 v2, s28, v4
	v_lshl_add_u64 v[6:7], v[2:3], 2, s[8:9]
	v_add_u32_e32 v2, s29, v4
	v_ashrrev_i32_e32 v5, 31, v4
	v_lshl_add_u64 v[22:23], v[2:3], 2, s[8:9]
	global_load_dword v2, v[6:7], off
	global_load_dword v12, v[22:23], off
	v_lshl_add_u64 v[4:5], v[4:5], 2, s[14:15]
	global_load_dword v4, v[4:5], off
	v_mul_f32_e32 v10, v10, v15
	v_mul_f32_e32 v5, v11, v15
	;; [unrolled: 1-line block ×4, first 2 shown]
	v_fma_f32 v11, v5, v17, -v11
	v_fma_f32 v5, v5, v18, -v14
	v_mul_f32_e32 v10, v13, v10
	s_waitcnt vmcnt(2)
	v_add_f32_e32 v2, v11, v2
	global_store_dword v[6:7], v2, off
	s_waitcnt vmcnt(2)
	v_add_f32_e32 v2, v5, v12
	global_store_dword v[22:23], v2, off
	s_waitcnt vmcnt(2)
	v_fma_f32 v2, -v16, v10, v4
.LBB43_16:                              ;   in Loop: Header=BB43_5 Depth=1
	s_or_b64 exec, exec, s[20:21]
	v_mov_b32_e32 v10, v2
                                        ; implicit-def: $vgpr16
                                        ; implicit-def: $vgpr12
                                        ; implicit-def: $vgpr17
                                        ; implicit-def: $vgpr18
                                        ; implicit-def: $vgpr4_vgpr5
                                        ; implicit-def: $vgpr6_vgpr7
                                        ; implicit-def: $vgpr11
.LBB43_17:                              ;   in Loop: Header=BB43_5 Depth=1
	s_or_saveexec_b64 s[2:3], s[4:5]
	v_mov_b32_e32 v2, s27
	s_xor_b64 exec, exec, s[2:3]
	s_cbranch_execz .LBB43_4
; %bb.18:                               ;   in Loop: Header=BB43_5 Depth=1
	v_div_scale_f32 v2, s[4:5], v10, v10, 1.0
	v_rcp_f32_e32 v13, v2
	v_div_scale_f32 v14, vcc, 1.0, v10, 1.0
	v_fma_f32 v15, -v2, v13, 1.0
	v_fmac_f32_e32 v13, v15, v13
	v_mul_f32_e32 v15, v14, v13
	v_fma_f32 v19, -v2, v15, v14
	v_fmac_f32_e32 v15, v19, v13
	v_fma_f32 v2, -v2, v15, v14
	v_div_fmas_f32 v2, v2, v13, v15
	v_div_fixup_f32 v10, v2, v10, 1.0
	s_waitcnt vmcnt(1)
	v_mul_f32_e32 v14, v10, v17
	s_waitcnt vmcnt(0)
	v_mul_f32_e32 v13, v10, v18
	global_store_dword v[4:5], v14, off
	global_store_dword v[6:7], v13, off
	s_and_saveexec_b64 s[4:5], s[0:1]
	s_cbranch_execz .LBB43_3
; %bb.19:                               ;   in Loop: Header=BB43_5 Depth=1
	v_add_u32_e32 v6, v8, v1
	v_add_u32_e32 v2, s28, v6
	v_lshl_add_u64 v[4:5], v[2:3], 2, s[8:9]
	v_add_u32_e32 v2, s29, v6
	v_lshl_add_u64 v[6:7], v[2:3], 2, s[8:9]
	global_load_dword v15, v[4:5], off
	global_load_dword v2, v[6:7], off
	s_waitcnt vmcnt(1)
	v_fma_f32 v14, -v11, v14, v15
	s_waitcnt vmcnt(0)
	v_fma_f32 v2, -v11, v13, v2
	global_store_dword v[4:5], v14, off
	global_store_dword v[6:7], v2, off
	s_branch .LBB43_3
.LBB43_20:
	s_or_b64 exec, exec, s[18:19]
	s_branch .LBB43_22
.LBB43_21:
	v_mov_b32_e32 v1, 0
.LBB43_22:
	v_subrev_u32_e32 v1, s22, v1
	v_add_u32_e32 v2, v1, v0
	v_ashrrev_i32_e32 v3, 31, v2
	s_waitcnt lgkmcnt(0)
	v_lshl_add_u64 v[2:3], v[2:3], 2, s[6:7]
	buffer_wbl2 sc1
	s_waitcnt vmcnt(0)
	buffer_inv sc1
	global_load_dword v2, v[2:3], off
	s_waitcnt vmcnt(0)
	v_mul_lo_u32 v2, v2, s22
	v_sub_u32_e32 v1, v1, v2
	v_cmp_lt_i32_e32 vcc, -1, v1
	s_and_b64 exec, exec, vcc
	s_cbranch_execz .LBB43_29
; %bb.23:
	s_lshl_b32 s4, s24, 1
	s_add_i32 s5, s4, s23
	s_lshl_b32 s12, s22, 1
	s_mov_b64 s[0:1], 0
	v_mov_b32_e32 v3, 0
	s_branch .LBB43_25
.LBB43_24:                              ;   in Loop: Header=BB43_25 Depth=1
	s_or_b64 exec, exec, s[2:3]
	v_sub_u32_e32 v1, v1, v2
	v_cmp_gt_i32_e32 vcc, 0, v1
	s_or_b64 s[0:1], vcc, s[0:1]
	s_andn2_b64 exec, exec, s[0:1]
	s_cbranch_execz .LBB43_29
.LBB43_25:                              ; =>This Inner Loop Header: Depth=1
	v_add_u32_e32 v4, v1, v0
	s_waitcnt vmcnt(0)
	v_ashrrev_i32_e32 v5, 31, v4
	v_lshlrev_b64 v[6:7], 2, v[4:5]
	v_lshl_add_u64 v[10:11], s[6:7], 0, v[6:7]
	global_load_dword v2, v[10:11], off
	v_lshl_add_u64 v[6:7], s[10:11], 0, v[6:7]
	global_load_dword v5, v[6:7], off
	s_waitcnt vmcnt(1)
	v_cmp_ne_u32_e32 vcc, 1, v2
	s_and_saveexec_b64 s[2:3], vcc
	s_xor_b64 s[2:3], exec, s[2:3]
	s_cbranch_execz .LBB43_27
; %bb.26:                               ;   in Loop: Header=BB43_25 Depth=1
	v_add_u32_e32 v9, v8, v1
	v_add_u32_e32 v2, s4, v9
	v_lshl_add_u64 v[6:7], v[2:3], 2, s[8:9]
	v_add_u32_e32 v2, s5, v9
	v_lshl_add_u64 v[10:11], v[2:3], 2, s[8:9]
	v_add_u32_e32 v2, s4, v4
	v_lshl_add_u64 v[12:13], v[2:3], 2, s[8:9]
	global_load_dword v9, v[6:7], off
	global_load_dword v14, v[12:13], off
	;; [unrolled: 1-line block ×3, first 2 shown]
	v_add_u32_e32 v2, s5, v4
	v_lshl_add_u64 v[6:7], v[2:3], 2, s[8:9]
	s_waitcnt vmcnt(1)
	v_fma_f32 v2, -v5, v9, v14
	global_store_dword v[12:13], v2, off
	global_load_dword v4, v[6:7], off
	v_subrev_u32_e32 v2, s22, v1
	v_add_u32_e32 v10, v2, v0
	v_ashrrev_i32_e32 v11, 31, v10
	v_lshl_add_u64 v[12:13], v[10:11], 2, s[10:11]
	v_add_u32_e32 v2, s4, v10
	global_load_dword v11, v[12:13], off
	v_lshl_add_u64 v[12:13], v[2:3], 2, s[8:9]
	s_waitcnt vmcnt(1)
	v_fma_f32 v2, -v5, v15, v4
	global_store_dword v[6:7], v2, off
	global_load_dword v4, v[12:13], off
	v_add_u32_e32 v2, s5, v10
	s_waitcnt vmcnt(0)
	v_fma_f32 v4, -v11, v9, v4
	global_store_dword v[12:13], v4, off
	v_lshl_add_u64 v[4:5], v[2:3], 2, s[8:9]
	global_load_dword v2, v[4:5], off
	s_waitcnt vmcnt(0)
	v_fma_f32 v2, -v11, v15, v2
	global_store_dword v[4:5], v2, off
                                        ; implicit-def: $vgpr4
                                        ; implicit-def: $vgpr5
.LBB43_27:                              ;   in Loop: Header=BB43_25 Depth=1
	s_or_saveexec_b64 s[2:3], s[2:3]
	v_mov_b32_e32 v2, s12
	s_xor_b64 exec, exec, s[2:3]
	s_cbranch_execz .LBB43_24
; %bb.28:                               ;   in Loop: Header=BB43_25 Depth=1
	v_add_u32_e32 v9, v8, v1
	v_add_u32_e32 v2, s4, v9
	v_lshl_add_u64 v[6:7], v[2:3], 2, s[8:9]
	v_add_u32_e32 v2, s4, v4
	v_lshl_add_u64 v[10:11], v[2:3], 2, s[8:9]
	global_load_dword v14, v[6:7], off
	global_load_dword v15, v[10:11], off
	v_add_u32_e32 v2, s5, v9
	v_lshl_add_u64 v[6:7], v[2:3], 2, s[8:9]
	v_add_u32_e32 v2, s5, v4
	v_lshl_add_u64 v[12:13], v[2:3], 2, s[8:9]
	s_waitcnt vmcnt(0)
	v_fma_f32 v2, -v5, v14, v15
	global_store_dword v[10:11], v2, off
	global_load_dword v2, v[6:7], off
	s_nop 0
	global_load_dword v4, v[12:13], off
	s_waitcnt vmcnt(0)
	v_fma_f32 v2, -v5, v2, v4
	global_store_dword v[12:13], v2, off
	v_mov_b32_e32 v2, s22
	s_branch .LBB43_24
.LBB43_29:
	s_endpgm
	.section	.rodata,"a",@progbits
	.p2align	6, 0x0
	.amdhsa_kernel _ZN9rocsparseL19gtsv_LBM_rhs_kernelILj256ELj16ELj2EfEEviiiPKT2_S3_S3_PS1_S3_PKi
		.amdhsa_group_segment_fixed_size 0
		.amdhsa_private_segment_fixed_size 0
		.amdhsa_kernarg_size 64
		.amdhsa_user_sgpr_count 2
		.amdhsa_user_sgpr_dispatch_ptr 0
		.amdhsa_user_sgpr_queue_ptr 0
		.amdhsa_user_sgpr_kernarg_segment_ptr 1
		.amdhsa_user_sgpr_dispatch_id 0
		.amdhsa_user_sgpr_kernarg_preload_length 0
		.amdhsa_user_sgpr_kernarg_preload_offset 0
		.amdhsa_user_sgpr_private_segment_size 0
		.amdhsa_uses_dynamic_stack 0
		.amdhsa_enable_private_segment 0
		.amdhsa_system_sgpr_workgroup_id_x 1
		.amdhsa_system_sgpr_workgroup_id_y 1
		.amdhsa_system_sgpr_workgroup_id_z 0
		.amdhsa_system_sgpr_workgroup_info 0
		.amdhsa_system_vgpr_workitem_id 0
		.amdhsa_next_free_vgpr 29
		.amdhsa_next_free_sgpr 30
		.amdhsa_accum_offset 32
		.amdhsa_reserve_vcc 1
		.amdhsa_float_round_mode_32 0
		.amdhsa_float_round_mode_16_64 0
		.amdhsa_float_denorm_mode_32 3
		.amdhsa_float_denorm_mode_16_64 3
		.amdhsa_dx10_clamp 1
		.amdhsa_ieee_mode 1
		.amdhsa_fp16_overflow 0
		.amdhsa_tg_split 0
		.amdhsa_exception_fp_ieee_invalid_op 0
		.amdhsa_exception_fp_denorm_src 0
		.amdhsa_exception_fp_ieee_div_zero 0
		.amdhsa_exception_fp_ieee_overflow 0
		.amdhsa_exception_fp_ieee_underflow 0
		.amdhsa_exception_fp_ieee_inexact 0
		.amdhsa_exception_int_div_zero 0
	.end_amdhsa_kernel
	.section	.text._ZN9rocsparseL19gtsv_LBM_rhs_kernelILj256ELj16ELj2EfEEviiiPKT2_S3_S3_PS1_S3_PKi,"axG",@progbits,_ZN9rocsparseL19gtsv_LBM_rhs_kernelILj256ELj16ELj2EfEEviiiPKT2_S3_S3_PS1_S3_PKi,comdat
.Lfunc_end43:
	.size	_ZN9rocsparseL19gtsv_LBM_rhs_kernelILj256ELj16ELj2EfEEviiiPKT2_S3_S3_PS1_S3_PKi, .Lfunc_end43-_ZN9rocsparseL19gtsv_LBM_rhs_kernelILj256ELj16ELj2EfEEviiiPKT2_S3_S3_PS1_S3_PKi
                                        ; -- End function
	.set _ZN9rocsparseL19gtsv_LBM_rhs_kernelILj256ELj16ELj2EfEEviiiPKT2_S3_S3_PS1_S3_PKi.num_vgpr, 29
	.set _ZN9rocsparseL19gtsv_LBM_rhs_kernelILj256ELj16ELj2EfEEviiiPKT2_S3_S3_PS1_S3_PKi.num_agpr, 0
	.set _ZN9rocsparseL19gtsv_LBM_rhs_kernelILj256ELj16ELj2EfEEviiiPKT2_S3_S3_PS1_S3_PKi.numbered_sgpr, 30
	.set _ZN9rocsparseL19gtsv_LBM_rhs_kernelILj256ELj16ELj2EfEEviiiPKT2_S3_S3_PS1_S3_PKi.num_named_barrier, 0
	.set _ZN9rocsparseL19gtsv_LBM_rhs_kernelILj256ELj16ELj2EfEEviiiPKT2_S3_S3_PS1_S3_PKi.private_seg_size, 0
	.set _ZN9rocsparseL19gtsv_LBM_rhs_kernelILj256ELj16ELj2EfEEviiiPKT2_S3_S3_PS1_S3_PKi.uses_vcc, 1
	.set _ZN9rocsparseL19gtsv_LBM_rhs_kernelILj256ELj16ELj2EfEEviiiPKT2_S3_S3_PS1_S3_PKi.uses_flat_scratch, 0
	.set _ZN9rocsparseL19gtsv_LBM_rhs_kernelILj256ELj16ELj2EfEEviiiPKT2_S3_S3_PS1_S3_PKi.has_dyn_sized_stack, 0
	.set _ZN9rocsparseL19gtsv_LBM_rhs_kernelILj256ELj16ELj2EfEEviiiPKT2_S3_S3_PS1_S3_PKi.has_recursion, 0
	.set _ZN9rocsparseL19gtsv_LBM_rhs_kernelILj256ELj16ELj2EfEEviiiPKT2_S3_S3_PS1_S3_PKi.has_indirect_call, 0
	.section	.AMDGPU.csdata,"",@progbits
; Kernel info:
; codeLenInByte = 1696
; TotalNumSgprs: 36
; NumVgprs: 29
; NumAgprs: 0
; TotalNumVgprs: 29
; ScratchSize: 0
; MemoryBound: 0
; FloatMode: 240
; IeeeMode: 1
; LDSByteSize: 0 bytes/workgroup (compile time only)
; SGPRBlocks: 4
; VGPRBlocks: 3
; NumSGPRsForWavesPerEU: 36
; NumVGPRsForWavesPerEU: 29
; AccumOffset: 32
; Occupancy: 8
; WaveLimiterHint : 0
; COMPUTE_PGM_RSRC2:SCRATCH_EN: 0
; COMPUTE_PGM_RSRC2:USER_SGPR: 2
; COMPUTE_PGM_RSRC2:TRAP_HANDLER: 0
; COMPUTE_PGM_RSRC2:TGID_X_EN: 1
; COMPUTE_PGM_RSRC2:TGID_Y_EN: 1
; COMPUTE_PGM_RSRC2:TGID_Z_EN: 0
; COMPUTE_PGM_RSRC2:TIDIG_COMP_CNT: 0
; COMPUTE_PGM_RSRC3_GFX90A:ACCUM_OFFSET: 7
; COMPUTE_PGM_RSRC3_GFX90A:TG_SPLIT: 0
	.section	.text._ZN9rocsparseL19gtsv_LBM_rhs_kernelILj256ELj16ELj1EfEEviiiPKT2_S3_S3_PS1_S3_PKi,"axG",@progbits,_ZN9rocsparseL19gtsv_LBM_rhs_kernelILj256ELj16ELj1EfEEviiiPKT2_S3_S3_PS1_S3_PKi,comdat
	.globl	_ZN9rocsparseL19gtsv_LBM_rhs_kernelILj256ELj16ELj1EfEEviiiPKT2_S3_S3_PS1_S3_PKi ; -- Begin function _ZN9rocsparseL19gtsv_LBM_rhs_kernelILj256ELj16ELj1EfEEviiiPKT2_S3_S3_PS1_S3_PKi
	.p2align	8
	.type	_ZN9rocsparseL19gtsv_LBM_rhs_kernelILj256ELj16ELj1EfEEviiiPKT2_S3_S3_PS1_S3_PKi,@function
_ZN9rocsparseL19gtsv_LBM_rhs_kernelILj256ELj16ELj1EfEEviiiPKT2_S3_S3_PS1_S3_PKi: ; @_ZN9rocsparseL19gtsv_LBM_rhs_kernelILj256ELj16ELj1EfEEviiiPKT2_S3_S3_PS1_S3_PKi
; %bb.0:
	s_load_dword s24, s[0:1], 0x0
	v_lshl_or_b32 v0, s2, 8, v0
	s_waitcnt lgkmcnt(0)
	s_lshr_b32 s22, s24, 4
	v_cmp_gt_i32_e32 vcc, s22, v0
	s_and_saveexec_b64 s[4:5], vcc
	s_cbranch_execz .LBB44_29
; %bb.1:
	s_load_dwordx4 s[8:11], s[0:1], 0x28
	s_load_dwordx2 s[6:7], s[0:1], 0x38
	s_cmp_lt_i32 s24, 1
	s_mul_i32 s23, s24, s3
	s_cbranch_scc1 .LBB44_21
; %bb.2:
	s_load_dwordx4 s[12:15], s[0:1], 0x10
	s_load_dwordx2 s[16:17], s[0:1], 0x20
	v_ashrrev_i32_e32 v1, 31, v0
	v_add_u32_e32 v13, s22, v0
	s_mul_i32 s25, s22, 15
	s_waitcnt lgkmcnt(0)
	v_lshl_add_u64 v[2:3], v[0:1], 2, s[14:15]
	global_load_dword v5, v[2:3], off
	s_mul_i32 s26, s22, 14
	s_lshl_b32 s27, s22, 1
	v_add_u32_e32 v14, s22, v13
	v_add_u32_e32 v15, s23, v13
	v_mov_b32_e32 v3, 0
	s_mov_b64 s[18:19], 0
	v_mov_b32_e32 v1, 0
	s_branch .LBB44_5
.LBB44_3:                               ;   in Loop: Header=BB44_5 Depth=1
	s_or_b64 exec, exec, s[4:5]
	v_fma_f32 v5, -v5, v7, v16
	v_mov_b32_e32 v2, s22
.LBB44_4:                               ;   in Loop: Header=BB44_5 Depth=1
	s_or_b64 exec, exec, s[2:3]
	v_add_u32_e32 v1, v2, v1
	v_cmp_le_i32_e32 vcc, s24, v1
	s_or_b64 s[18:19], vcc, s[18:19]
	s_andn2_b64 exec, exec, s[18:19]
	s_cbranch_execz .LBB44_20
.LBB44_5:                               ; =>This Inner Loop Header: Depth=1
	v_add_u32_e32 v8, v1, v0
	v_ashrrev_i32_e32 v9, 31, v8
	v_lshl_add_u64 v[6:7], v[8:9], 2, s[16:17]
	global_load_dword v18, v[6:7], off
	v_cmp_gt_u32_e64 s[0:1], s25, v1
	v_add_u32_e32 v6, v13, v1
	v_mov_b32_e32 v4, 0
	s_and_saveexec_b64 s[2:3], s[0:1]
	s_cbranch_execz .LBB44_7
; %bb.6:                                ;   in Loop: Header=BB44_5 Depth=1
	v_ashrrev_i32_e32 v7, 31, v6
	s_waitcnt vmcnt(1)
	v_lshl_add_u64 v[10:11], v[6:7], 2, s[12:13]
	global_load_dword v4, v[10:11], off
.LBB44_7:                               ;   in Loop: Header=BB44_5 Depth=1
	s_or_b64 exec, exec, s[2:3]
	v_mov_b32_e32 v17, 0
	v_mov_b32_e32 v16, 0
	s_and_saveexec_b64 s[2:3], s[0:1]
	s_cbranch_execz .LBB44_9
; %bb.8:                                ;   in Loop: Header=BB44_5 Depth=1
	v_ashrrev_i32_e32 v7, 31, v6
	s_waitcnt vmcnt(1)
	v_lshl_add_u64 v[10:11], v[6:7], 2, s[14:15]
	global_load_dword v16, v[10:11], off
.LBB44_9:                               ;   in Loop: Header=BB44_5 Depth=1
	s_or_b64 exec, exec, s[2:3]
	s_and_saveexec_b64 s[2:3], s[0:1]
	s_cbranch_execz .LBB44_11
; %bb.10:                               ;   in Loop: Header=BB44_5 Depth=1
	v_ashrrev_i32_e32 v7, 31, v6
	v_lshl_add_u64 v[6:7], v[6:7], 2, s[16:17]
	global_load_dword v17, v[6:7], off
.LBB44_11:                              ;   in Loop: Header=BB44_5 Depth=1
	s_or_b64 exec, exec, s[2:3]
	v_cmp_gt_u32_e64 s[2:3], s26, v1
	v_mov_b32_e32 v6, 0
	s_and_saveexec_b64 s[4:5], s[2:3]
	s_cbranch_execz .LBB44_13
; %bb.12:                               ;   in Loop: Header=BB44_5 Depth=1
	v_add_u32_e32 v6, v14, v1
	v_ashrrev_i32_e32 v7, 31, v6
	v_lshl_add_u64 v[6:7], v[6:7], 2, s[12:13]
	global_load_dword v6, v[6:7], off
.LBB44_13:                              ;   in Loop: Header=BB44_5 Depth=1
	s_or_b64 exec, exec, s[4:5]
	s_waitcnt vmcnt(1)
	v_lshl_add_u64 v[10:11], v[8:9], 2, s[6:7]
	global_load_dword v7, v[10:11], off
	v_add_u32_e32 v2, s23, v8
	v_lshl_add_u64 v[8:9], v[2:3], 2, s[8:9]
	global_load_dword v10, v[8:9], off
	v_cmp_ne_u32_e32 vcc, s25, v1
	s_waitcnt vmcnt(1)
	v_cmp_ne_u32_e64 s[4:5], 1, v7
	s_and_b64 s[4:5], vcc, s[4:5]
	v_mul_f32_e32 v7, v18, v4
	s_and_saveexec_b64 s[20:21], s[4:5]
	s_xor_b64 s[4:5], exec, s[20:21]
	s_cbranch_execz .LBB44_17
; %bb.14:                               ;   in Loop: Header=BB44_5 Depth=1
	v_add_u32_e32 v2, v15, v1
	v_lshl_add_u64 v[20:21], v[2:3], 2, s[8:9]
	global_load_dword v11, v[20:21], off
	v_fma_f32 v2, v5, v16, -v7
	v_div_scale_f32 v7, s[20:21], v2, v2, 1.0
	v_rcp_f32_e32 v12, v7
	v_div_scale_f32 v19, vcc, 1.0, v2, 1.0
	v_fma_f32 v22, -v7, v12, 1.0
	v_fmac_f32_e32 v12, v22, v12
	v_mul_f32_e32 v22, v19, v12
	v_fma_f32 v23, -v7, v22, v19
	v_fmac_f32_e32 v22, v23, v12
	v_fma_f32 v7, -v7, v22, v19
	v_div_fmas_f32 v7, v7, v12, v22
	v_div_fixup_f32 v12, v7, v2, 1.0
	s_waitcnt vmcnt(0)
	v_pk_mul_f32 v[10:11], v[12:13], v[10:11] op_sel_hi:[0,1]
	v_mul_f32_e32 v2, v18, v11
	v_mul_f32_e32 v7, v4, v10
	v_fma_f32 v2, v16, v10, -v2
	v_fma_f32 v7, v5, v11, -v7
	global_store_dword v[8:9], v2, off
	global_store_dword v[20:21], v7, off
	v_mov_b32_e32 v2, 0
	s_and_saveexec_b64 s[20:21], s[2:3]
	s_cbranch_execz .LBB44_16
; %bb.15:                               ;   in Loop: Header=BB44_5 Depth=1
	v_add_u32_e32 v8, v14, v1
	v_add_u32_e32 v2, s23, v8
	v_lshl_add_u64 v[18:19], v[2:3], 2, s[8:9]
	v_ashrrev_i32_e32 v9, 31, v8
	global_load_dword v2, v[18:19], off
	v_lshl_add_u64 v[8:9], v[8:9], 2, s[14:15]
	global_load_dword v8, v[8:9], off
	v_pk_mul_f32 v[4:5], v[4:5], v[6:7] op_sel_hi:[1,0]
	s_nop 0
	v_pk_mul_f32 v[6:7], v[4:5], v[10:11]
	v_mul_f32_e32 v4, v17, v5
	v_sub_f32_e32 v5, v6, v7
	s_waitcnt vmcnt(1)
	v_add_f32_e32 v2, v5, v2
	global_store_dword v[18:19], v2, off
	s_waitcnt vmcnt(1)
	v_fma_f32 v2, -v12, v4, v8
.LBB44_16:                              ;   in Loop: Header=BB44_5 Depth=1
	s_or_b64 exec, exec, s[20:21]
	v_mov_b32_e32 v5, v2
                                        ; implicit-def: $vgpr7
                                        ; implicit-def: $vgpr16
                                        ; implicit-def: $vgpr10
                                        ; implicit-def: $vgpr8_vgpr9
.LBB44_17:                              ;   in Loop: Header=BB44_5 Depth=1
	s_or_saveexec_b64 s[2:3], s[4:5]
	v_mov_b32_e32 v2, s27
	s_xor_b64 exec, exec, s[2:3]
	s_cbranch_execz .LBB44_4
; %bb.18:                               ;   in Loop: Header=BB44_5 Depth=1
	v_div_scale_f32 v2, s[4:5], v5, v5, 1.0
	v_rcp_f32_e32 v6, v2
	v_div_scale_f32 v11, vcc, 1.0, v5, 1.0
	v_fma_f32 v12, -v2, v6, 1.0
	v_fmac_f32_e32 v6, v12, v6
	v_mul_f32_e32 v12, v11, v6
	v_fma_f32 v17, -v2, v12, v11
	v_fmac_f32_e32 v12, v17, v6
	v_fma_f32 v2, -v2, v12, v11
	v_div_fmas_f32 v2, v2, v6, v12
	v_div_fixup_f32 v5, v2, v5, 1.0
	s_waitcnt vmcnt(0)
	v_mul_f32_e32 v6, v5, v10
	global_store_dword v[8:9], v6, off
	s_and_saveexec_b64 s[4:5], s[0:1]
	s_cbranch_execz .LBB44_3
; %bb.19:                               ;   in Loop: Header=BB44_5 Depth=1
	v_add_u32_e32 v2, v15, v1
	v_lshl_add_u64 v[8:9], v[2:3], 2, s[8:9]
	global_load_dword v2, v[8:9], off
	s_waitcnt vmcnt(0)
	v_fma_f32 v2, -v4, v6, v2
	global_store_dword v[8:9], v2, off
	s_branch .LBB44_3
.LBB44_20:
	s_or_b64 exec, exec, s[18:19]
	s_branch .LBB44_22
.LBB44_21:
	v_mov_b32_e32 v1, 0
.LBB44_22:
	v_subrev_u32_e32 v1, s22, v1
	v_add_u32_e32 v2, v1, v0
	v_ashrrev_i32_e32 v3, 31, v2
	s_waitcnt lgkmcnt(0)
	v_lshl_add_u64 v[2:3], v[2:3], 2, s[6:7]
	buffer_wbl2 sc1
	s_waitcnt vmcnt(0)
	buffer_inv sc1
	global_load_dword v2, v[2:3], off
	s_waitcnt vmcnt(0)
	v_mul_lo_u32 v2, v2, s22
	v_sub_u32_e32 v1, v1, v2
	v_cmp_lt_i32_e32 vcc, -1, v1
	s_and_b64 exec, exec, vcc
	s_cbranch_execz .LBB44_29
; %bb.23:
	s_add_i32 s0, s23, s22
	v_add_u32_e32 v6, s0, v0
	s_lshl_b32 s4, s22, 1
	s_mov_b64 s[0:1], 0
	v_mov_b32_e32 v3, 0
	s_branch .LBB44_25
.LBB44_24:                              ;   in Loop: Header=BB44_25 Depth=1
	s_or_b64 exec, exec, s[2:3]
	v_sub_u32_e32 v1, v1, v2
	v_cmp_gt_i32_e32 vcc, 0, v1
	s_or_b64 s[0:1], vcc, s[0:1]
	s_andn2_b64 exec, exec, s[0:1]
	s_cbranch_execz .LBB44_29
.LBB44_25:                              ; =>This Inner Loop Header: Depth=1
	v_add_u32_e32 v4, v1, v0
	s_waitcnt vmcnt(0)
	v_ashrrev_i32_e32 v5, 31, v4
	v_lshlrev_b64 v[8:9], 2, v[4:5]
	v_lshl_add_u64 v[10:11], s[6:7], 0, v[8:9]
	global_load_dword v2, v[10:11], off
	v_lshl_add_u64 v[8:9], s[10:11], 0, v[8:9]
	global_load_dword v5, v[8:9], off
	s_waitcnt vmcnt(1)
	v_cmp_ne_u32_e32 vcc, 1, v2
	s_and_saveexec_b64 s[2:3], vcc
	s_xor_b64 s[2:3], exec, s[2:3]
	s_cbranch_execz .LBB44_27
; %bb.26:                               ;   in Loop: Header=BB44_25 Depth=1
	v_add_u32_e32 v2, v6, v1
	v_lshl_add_u64 v[8:9], v[2:3], 2, s[8:9]
	v_add_u32_e32 v2, s23, v4
	v_lshl_add_u64 v[10:11], v[2:3], 2, s[8:9]
	global_load_dword v7, v[8:9], off
	global_load_dword v4, v[10:11], off
	v_subrev_u32_e32 v2, s22, v1
	v_add_u32_e32 v8, v2, v0
	v_ashrrev_i32_e32 v9, 31, v8
	v_add_u32_e32 v2, s23, v8
	v_lshl_add_u64 v[8:9], v[8:9], 2, s[10:11]
	global_load_dword v8, v[8:9], off
	s_waitcnt vmcnt(1)
	v_fma_f32 v4, -v5, v7, v4
	global_store_dword v[10:11], v4, off
	v_lshl_add_u64 v[4:5], v[2:3], 2, s[8:9]
	global_load_dword v2, v[4:5], off
	s_waitcnt vmcnt(0)
	v_fma_f32 v2, -v8, v7, v2
	global_store_dword v[4:5], v2, off
                                        ; implicit-def: $vgpr4
                                        ; implicit-def: $vgpr5
.LBB44_27:                              ;   in Loop: Header=BB44_25 Depth=1
	s_or_saveexec_b64 s[2:3], s[2:3]
	v_mov_b32_e32 v2, s4
	s_xor_b64 exec, exec, s[2:3]
	s_cbranch_execz .LBB44_24
; %bb.28:                               ;   in Loop: Header=BB44_25 Depth=1
	v_add_u32_e32 v2, v6, v1
	v_lshl_add_u64 v[8:9], v[2:3], 2, s[8:9]
	v_add_u32_e32 v2, s23, v4
	v_lshl_add_u64 v[10:11], v[2:3], 2, s[8:9]
	global_load_dword v2, v[8:9], off
	global_load_dword v4, v[10:11], off
	s_waitcnt vmcnt(0)
	v_fma_f32 v2, -v5, v2, v4
	global_store_dword v[10:11], v2, off
	v_mov_b32_e32 v2, s22
	s_branch .LBB44_24
.LBB44_29:
	s_endpgm
	.section	.rodata,"a",@progbits
	.p2align	6, 0x0
	.amdhsa_kernel _ZN9rocsparseL19gtsv_LBM_rhs_kernelILj256ELj16ELj1EfEEviiiPKT2_S3_S3_PS1_S3_PKi
		.amdhsa_group_segment_fixed_size 0
		.amdhsa_private_segment_fixed_size 0
		.amdhsa_kernarg_size 64
		.amdhsa_user_sgpr_count 2
		.amdhsa_user_sgpr_dispatch_ptr 0
		.amdhsa_user_sgpr_queue_ptr 0
		.amdhsa_user_sgpr_kernarg_segment_ptr 1
		.amdhsa_user_sgpr_dispatch_id 0
		.amdhsa_user_sgpr_kernarg_preload_length 0
		.amdhsa_user_sgpr_kernarg_preload_offset 0
		.amdhsa_user_sgpr_private_segment_size 0
		.amdhsa_uses_dynamic_stack 0
		.amdhsa_enable_private_segment 0
		.amdhsa_system_sgpr_workgroup_id_x 1
		.amdhsa_system_sgpr_workgroup_id_y 1
		.amdhsa_system_sgpr_workgroup_id_z 0
		.amdhsa_system_sgpr_workgroup_info 0
		.amdhsa_system_vgpr_workitem_id 0
		.amdhsa_next_free_vgpr 24
		.amdhsa_next_free_sgpr 28
		.amdhsa_accum_offset 24
		.amdhsa_reserve_vcc 1
		.amdhsa_float_round_mode_32 0
		.amdhsa_float_round_mode_16_64 0
		.amdhsa_float_denorm_mode_32 3
		.amdhsa_float_denorm_mode_16_64 3
		.amdhsa_dx10_clamp 1
		.amdhsa_ieee_mode 1
		.amdhsa_fp16_overflow 0
		.amdhsa_tg_split 0
		.amdhsa_exception_fp_ieee_invalid_op 0
		.amdhsa_exception_fp_denorm_src 0
		.amdhsa_exception_fp_ieee_div_zero 0
		.amdhsa_exception_fp_ieee_overflow 0
		.amdhsa_exception_fp_ieee_underflow 0
		.amdhsa_exception_fp_ieee_inexact 0
		.amdhsa_exception_int_div_zero 0
	.end_amdhsa_kernel
	.section	.text._ZN9rocsparseL19gtsv_LBM_rhs_kernelILj256ELj16ELj1EfEEviiiPKT2_S3_S3_PS1_S3_PKi,"axG",@progbits,_ZN9rocsparseL19gtsv_LBM_rhs_kernelILj256ELj16ELj1EfEEviiiPKT2_S3_S3_PS1_S3_PKi,comdat
.Lfunc_end44:
	.size	_ZN9rocsparseL19gtsv_LBM_rhs_kernelILj256ELj16ELj1EfEEviiiPKT2_S3_S3_PS1_S3_PKi, .Lfunc_end44-_ZN9rocsparseL19gtsv_LBM_rhs_kernelILj256ELj16ELj1EfEEviiiPKT2_S3_S3_PS1_S3_PKi
                                        ; -- End function
	.set _ZN9rocsparseL19gtsv_LBM_rhs_kernelILj256ELj16ELj1EfEEviiiPKT2_S3_S3_PS1_S3_PKi.num_vgpr, 24
	.set _ZN9rocsparseL19gtsv_LBM_rhs_kernelILj256ELj16ELj1EfEEviiiPKT2_S3_S3_PS1_S3_PKi.num_agpr, 0
	.set _ZN9rocsparseL19gtsv_LBM_rhs_kernelILj256ELj16ELj1EfEEviiiPKT2_S3_S3_PS1_S3_PKi.numbered_sgpr, 28
	.set _ZN9rocsparseL19gtsv_LBM_rhs_kernelILj256ELj16ELj1EfEEviiiPKT2_S3_S3_PS1_S3_PKi.num_named_barrier, 0
	.set _ZN9rocsparseL19gtsv_LBM_rhs_kernelILj256ELj16ELj1EfEEviiiPKT2_S3_S3_PS1_S3_PKi.private_seg_size, 0
	.set _ZN9rocsparseL19gtsv_LBM_rhs_kernelILj256ELj16ELj1EfEEviiiPKT2_S3_S3_PS1_S3_PKi.uses_vcc, 1
	.set _ZN9rocsparseL19gtsv_LBM_rhs_kernelILj256ELj16ELj1EfEEviiiPKT2_S3_S3_PS1_S3_PKi.uses_flat_scratch, 0
	.set _ZN9rocsparseL19gtsv_LBM_rhs_kernelILj256ELj16ELj1EfEEviiiPKT2_S3_S3_PS1_S3_PKi.has_dyn_sized_stack, 0
	.set _ZN9rocsparseL19gtsv_LBM_rhs_kernelILj256ELj16ELj1EfEEviiiPKT2_S3_S3_PS1_S3_PKi.has_recursion, 0
	.set _ZN9rocsparseL19gtsv_LBM_rhs_kernelILj256ELj16ELj1EfEEviiiPKT2_S3_S3_PS1_S3_PKi.has_indirect_call, 0
	.section	.AMDGPU.csdata,"",@progbits
; Kernel info:
; codeLenInByte = 1316
; TotalNumSgprs: 34
; NumVgprs: 24
; NumAgprs: 0
; TotalNumVgprs: 24
; ScratchSize: 0
; MemoryBound: 0
; FloatMode: 240
; IeeeMode: 1
; LDSByteSize: 0 bytes/workgroup (compile time only)
; SGPRBlocks: 4
; VGPRBlocks: 2
; NumSGPRsForWavesPerEU: 34
; NumVGPRsForWavesPerEU: 24
; AccumOffset: 24
; Occupancy: 8
; WaveLimiterHint : 0
; COMPUTE_PGM_RSRC2:SCRATCH_EN: 0
; COMPUTE_PGM_RSRC2:USER_SGPR: 2
; COMPUTE_PGM_RSRC2:TRAP_HANDLER: 0
; COMPUTE_PGM_RSRC2:TGID_X_EN: 1
; COMPUTE_PGM_RSRC2:TGID_Y_EN: 1
; COMPUTE_PGM_RSRC2:TGID_Z_EN: 0
; COMPUTE_PGM_RSRC2:TIDIG_COMP_CNT: 0
; COMPUTE_PGM_RSRC3_GFX90A:ACCUM_OFFSET: 5
; COMPUTE_PGM_RSRC3_GFX90A:TG_SPLIT: 0
	.section	.text._ZN9rocsparseL29gtsv_spike_block_level_kernelILj256ELj16EfEEviiiPT1_PKS1_S4_S2_S2_S2_S2_S2_,"axG",@progbits,_ZN9rocsparseL29gtsv_spike_block_level_kernelILj256ELj16EfEEviiiPT1_PKS1_S4_S2_S2_S2_S2_S2_,comdat
	.globl	_ZN9rocsparseL29gtsv_spike_block_level_kernelILj256ELj16EfEEviiiPT1_PKS1_S4_S2_S2_S2_S2_S2_ ; -- Begin function _ZN9rocsparseL29gtsv_spike_block_level_kernelILj256ELj16EfEEviiiPT1_PKS1_S4_S2_S2_S2_S2_S2_
	.p2align	8
	.type	_ZN9rocsparseL29gtsv_spike_block_level_kernelILj256ELj16EfEEviiiPT1_PKS1_S4_S2_S2_S2_S2_S2_,@function
_ZN9rocsparseL29gtsv_spike_block_level_kernelILj256ELj16EfEEviiiPT1_PKS1_S4_S2_S2_S2_S2_S2_: ; @_ZN9rocsparseL29gtsv_spike_block_level_kernelILj256ELj16EfEEviiiPT1_PKS1_S4_S2_S2_S2_S2_S2_
; %bb.0:
	s_load_dword s14, s[0:1], 0x0
	s_load_dwordx2 s[8:9], s[0:1], 0x18
	v_lshl_or_b32 v2, s2, 8, v0
	v_mov_b32_e32 v4, 0
	v_mov_b32_e32 v3, 0
	s_waitcnt lgkmcnt(0)
	s_lshr_b32 s18, s14, 4
	v_cmp_gt_i32_e64 s[4:5], s18, v2
	s_and_saveexec_b64 s[6:7], s[4:5]
	s_cbranch_execz .LBB45_2
; %bb.1:
	v_ashrrev_i32_e32 v3, 31, v2
	v_lshl_add_u64 v[6:7], v[2:3], 2, s[8:9]
	global_load_dword v3, v[6:7], off
.LBB45_2:
	s_or_b64 exec, exec, s[6:7]
	s_load_dwordx2 s[6:7], s[0:1], 0x20
	v_lshlrev_b32_e32 v1, 2, v0
	v_or_b32_e32 v6, 0x800, v1
	s_waitcnt vmcnt(0)
	ds_write_b32 v1, v3 offset:2048
	s_and_saveexec_b64 s[10:11], s[4:5]
	s_cbranch_execz .LBB45_4
; %bb.3:
	v_mad_u64_u32 v[4:5], s[12:13], s18, 15, v[2:3]
	v_mov_b32_e32 v5, 0
	v_lshl_add_u64 v[4:5], v[4:5], 2, s[8:9]
	global_load_dword v4, v[4:5], off
.LBB45_4:
	s_or_b64 exec, exec, s[10:11]
	s_waitcnt vmcnt(0)
	ds_write_b32 v6, v4 offset:1024
	v_mov_b32_e32 v4, 0
	v_mov_b32_e32 v3, 0
	s_and_saveexec_b64 s[8:9], s[4:5]
	s_cbranch_execz .LBB45_6
; %bb.5:
	v_ashrrev_i32_e32 v3, 31, v2
	s_waitcnt lgkmcnt(0)
	v_lshl_add_u64 v[8:9], v[2:3], 2, s[6:7]
	global_load_dword v3, v[8:9], off
.LBB45_6:
	s_or_b64 exec, exec, s[8:9]
	s_load_dwordx2 s[12:13], s[0:1], 0x10
	s_waitcnt vmcnt(0)
	ds_write_b32 v1, v3
	s_and_saveexec_b64 s[8:9], s[4:5]
	s_cbranch_execz .LBB45_8
; %bb.7:
	v_mad_u64_u32 v[4:5], s[10:11], s18, 15, v[2:3]
	v_mov_b32_e32 v5, 0
	s_waitcnt lgkmcnt(0)
	v_lshl_add_u64 v[4:5], v[4:5], 2, s[6:7]
	global_load_dword v4, v[4:5], off
.LBB45_8:
	s_or_b64 exec, exec, s[8:9]
	s_mul_i32 s14, s14, s3
	s_waitcnt vmcnt(0)
	ds_write_b32 v1, v4 offset:1024
	v_mov_b32_e32 v3, 0
	v_add_u32_e32 v4, s14, v2
	v_mov_b32_e32 v7, 0
	s_waitcnt lgkmcnt(0)
	s_and_saveexec_b64 s[6:7], s[4:5]
	s_cbranch_execz .LBB45_10
; %bb.9:
	v_ashrrev_i32_e32 v5, 31, v4
	v_lshl_add_u64 v[8:9], v[4:5], 2, s[12:13]
	global_load_dword v7, v[8:9], off
.LBB45_10:
	s_or_b64 exec, exec, s[6:7]
	v_or_b32_e32 v5, 0x1000, v1
	s_mul_i32 s19, s18, 15
	s_waitcnt vmcnt(0)
	ds_write_b32 v1, v7 offset:4096
	s_and_saveexec_b64 s[6:7], s[4:5]
	s_cbranch_execz .LBB45_12
; %bb.11:
	s_mul_i32 s8, s18, 15
	s_add_i32 s8, s8, s14
	v_add_u32_e32 v8, s8, v2
	v_mov_b32_e32 v9, 0
	v_lshl_add_u64 v[8:9], v[8:9], 2, s[12:13]
	global_load_dword v3, v[8:9], off
.LBB45_12:
	s_or_b64 exec, exec, s[6:7]
	s_movk_i32 s6, 0x80
	v_cmp_gt_u32_e32 vcc, s6, v0
	s_waitcnt vmcnt(0)
	ds_write_b32 v5, v3 offset:1024
	s_waitcnt lgkmcnt(0)
	s_barrier
	s_and_saveexec_b64 s[6:7], vcc
	s_cbranch_execz .LBB45_14
; %bb.13:
	v_add_u32_e32 v3, v6, v1
	v_add_u32_e32 v7, v1, v1
	ds_read2st64_b64 v[8:11], v3 offset1:2
	ds_read2st64_b64 v[12:15], v7 offset1:2
	v_add_u32_e32 v22, v5, v1
	ds_read2st64_b64 v[16:19], v22 offset1:2
	s_waitcnt lgkmcnt(1)
	v_fma_f32 v20, -v9, v14, 1.0
	v_div_scale_f32 v21, s[8:9], v20, v20, 1.0
	v_rcp_f32_e32 v23, v21
	v_div_scale_f32 v24, vcc, 1.0, v20, 1.0
	v_fma_f32 v25, -v21, v23, 1.0
	v_fmac_f32_e32 v23, v25, v23
	v_mul_f32_e32 v25, v24, v23
	v_fma_f32 v26, -v21, v25, v24
	v_fmac_f32_e32 v25, v26, v23
	v_fma_f32 v21, -v21, v25, v24
	v_div_fmas_f32 v21, v21, v23, v25
	v_div_fixup_f32 v23, v21, v20, 1.0
	s_waitcnt lgkmcnt(0)
	v_fma_f32 v20, -v14, v17, v18
	v_fma_f32 v17, -v9, v18, v17
	v_mul_f32_e32 v14, v14, v13
	v_mul_f32_e32 v9, v9, v10
	;; [unrolled: 1-line block ×4, first 2 shown]
	v_mul_f32_e64 v14, v14, -v23
	v_mul_f32_e32 v13, v23, v13
	v_mul_f32_e64 v9, v9, -v23
	v_mul_f32_e32 v10, v23, v10
	v_fma_f32 v16, -v17, v12, v16
	v_fma_f32 v21, -v11, v20, v19
	;; [unrolled: 1-line block ×3, first 2 shown]
	v_mul_f32_e64 v12, v13, -v12
	v_fma_f32 v15, -v14, v11, v15
	v_mul_f32_e64 v11, v10, -v11
	ds_write2st64_b64 v22, v[16:17], v[20:21] offset1:2
	ds_write2st64_b64 v7, v[12:13], v[14:15] offset1:2
	;; [unrolled: 1-line block ×3, first 2 shown]
.LBB45_14:
	s_or_b64 exec, exec, s[6:7]
	v_cmp_gt_u32_e32 vcc, 64, v0
	s_waitcnt lgkmcnt(0)
	s_barrier
	s_and_saveexec_b64 s[6:7], vcc
	s_cbranch_execz .LBB45_16
; %bb.15:
	v_lshlrev_b32_e32 v3, 4, v0
	v_add_u32_e32 v7, 0x800, v3
	v_add_u32_e32 v20, 0x400, v3
	ds_read2_b32 v[8:9], v7 offset1:2
	ds_read2_b32 v[10:11], v20 offset0:1 offset1:3
	v_mad_u32_u24 v21, v0, 12, v5
	v_add_u32_e32 v22, 0x400, v21
	v_add_u32_e32 v25, 0xc00, v3
	s_waitcnt lgkmcnt(0)
	v_fma_f32 v16, -v9, v10, 1.0
	v_div_scale_f32 v17, s[8:9], v16, v16, 1.0
	v_rcp_f32_e32 v18, v17
	v_div_scale_f32 v19, vcc, 1.0, v16, 1.0
	v_fma_f32 v12, -v17, v18, 1.0
	v_fmac_f32_e32 v18, v12, v18
	v_mul_f32_e32 v23, v19, v18
	v_fma_f32 v12, -v17, v23, v19
	v_fmac_f32_e32 v23, v12, v18
	ds_read2_b32 v[12:13], v22 offset0:1 offset1:3
	ds_read2_b32 v[14:15], v21 offset1:2
	v_fma_f32 v17, -v17, v23, v19
	v_div_fmas_f32 v17, v17, v18, v23
	v_div_fixup_f32 v23, v17, v16, 1.0
	ds_read2_b32 v[18:19], v25 offset0:1 offset1:3
	s_waitcnt lgkmcnt(1)
	v_fma_f32 v16, -v10, v15, v12
	v_mul_f32_e32 v24, v23, v16
	ds_read2_b32 v[16:17], v3 offset1:2
	v_fma_f32 v12, -v9, v12, v15
	v_mul_f32_e32 v12, v12, v23
	s_waitcnt lgkmcnt(1)
	v_mul_f32_e32 v9, v9, v18
	v_mul_f32_e64 v9, v9, -v23
	s_waitcnt lgkmcnt(0)
	v_fma_f32 v14, -v12, v16, v14
	ds_write2_b32 v21, v14, v12 offset1:2
	v_fma_f32 v12, -v19, v24, v13
	ds_write2_b32 v22, v24, v12 offset0:1 offset1:3
	v_mul_f32_e32 v10, v10, v17
	v_mul_f32_e32 v12, v23, v17
	v_fma_f32 v8, -v9, v16, v8
	v_mul_f32_e64 v10, v10, -v23
	ds_write2_b32 v7, v8, v9 offset1:2
	v_mul_f32_e64 v7, v12, -v16
	v_mul_f32_e32 v13, v23, v18
	ds_write2_b32 v3, v7, v12 offset1:2
	v_fma_f32 v3, -v10, v19, v11
	ds_write2_b32 v20, v10, v3 offset0:1 offset1:3
	v_mul_f32_e64 v3, v13, -v19
	ds_write2_b32 v25, v13, v3 offset0:1 offset1:3
.LBB45_16:
	s_or_b64 exec, exec, s[6:7]
	v_cmp_gt_u32_e32 vcc, 32, v0
	s_waitcnt lgkmcnt(0)
	s_barrier
	s_and_saveexec_b64 s[6:7], vcc
	s_cbranch_execz .LBB45_18
; %bb.17:
	v_lshlrev_b32_e32 v3, 5, v0
	v_add_u32_e32 v7, 0x800, v3
	v_add_u32_e32 v20, 0x400, v3
	ds_read2_b32 v[8:9], v7 offset1:4
	ds_read2_b32 v[10:11], v20 offset0:3 offset1:7
	v_add_u32_e32 v21, 0x1400, v3
	v_add_u32_e32 v23, 0x1000, v3
	ds_read2_b32 v[12:13], v21 offset0:3 offset1:7
	v_add_u32_e32 v25, 0xc00, v3
	s_waitcnt lgkmcnt(1)
	v_fma_f32 v16, -v9, v10, 1.0
	v_div_scale_f32 v17, s[8:9], v16, v16, 1.0
	v_rcp_f32_e32 v18, v17
	v_div_scale_f32 v19, vcc, 1.0, v16, 1.0
	v_fma_f32 v14, -v17, v18, 1.0
	v_fmac_f32_e32 v18, v14, v18
	v_mul_f32_e32 v22, v19, v18
	v_fma_f32 v14, -v17, v22, v19
	v_fmac_f32_e32 v22, v14, v18
	ds_read2_b32 v[14:15], v23 offset1:4
	v_fma_f32 v17, -v17, v22, v19
	v_div_fmas_f32 v17, v17, v18, v22
	v_div_fixup_f32 v22, v17, v16, 1.0
	ds_read2_b32 v[18:19], v25 offset0:3 offset1:7
	s_waitcnt lgkmcnt(1)
	v_fma_f32 v16, -v10, v15, v12
	v_mul_f32_e32 v24, v22, v16
	ds_read2_b32 v[16:17], v3 offset1:4
	v_fma_f32 v12, -v9, v12, v15
	v_mul_f32_e32 v12, v12, v22
	s_waitcnt lgkmcnt(1)
	v_mul_f32_e32 v9, v9, v18
	v_mul_f32_e64 v9, v9, -v22
	s_waitcnt lgkmcnt(0)
	v_fma_f32 v14, -v12, v16, v14
	ds_write2_b32 v23, v14, v12 offset1:4
	v_fma_f32 v12, -v19, v24, v13
	ds_write2_b32 v21, v24, v12 offset0:3 offset1:7
	v_mul_f32_e32 v10, v10, v17
	v_mul_f32_e32 v12, v22, v17
	v_fma_f32 v8, -v9, v16, v8
	v_mul_f32_e64 v10, v10, -v22
	ds_write2_b32 v7, v8, v9 offset1:4
	v_mul_f32_e64 v7, v12, -v16
	v_mul_f32_e32 v13, v22, v18
	ds_write2_b32 v3, v7, v12 offset1:4
	v_fma_f32 v3, -v10, v19, v11
	ds_write2_b32 v20, v10, v3 offset0:3 offset1:7
	v_mul_f32_e64 v3, v13, -v19
	ds_write2_b32 v25, v13, v3 offset0:3 offset1:7
.LBB45_18:
	s_or_b64 exec, exec, s[6:7]
	v_cmp_gt_u32_e32 vcc, 16, v0
	s_waitcnt lgkmcnt(0)
	s_barrier
	s_and_saveexec_b64 s[6:7], vcc
	s_cbranch_execz .LBB45_20
; %bb.19:
	v_lshlrev_b32_e32 v3, 6, v0
	v_add_u32_e32 v7, 0x800, v3
	v_add_u32_e32 v20, 0x400, v3
	ds_read2_b32 v[8:9], v7 offset1:8
	ds_read2_b32 v[10:11], v20 offset0:7 offset1:15
	v_add_u32_e32 v21, 0x1400, v3
	v_add_u32_e32 v23, 0x1000, v3
	ds_read2_b32 v[12:13], v21 offset0:7 offset1:15
	v_add_u32_e32 v25, 0xc00, v3
	s_waitcnt lgkmcnt(1)
	v_fma_f32 v16, -v9, v10, 1.0
	v_div_scale_f32 v17, s[8:9], v16, v16, 1.0
	v_rcp_f32_e32 v18, v17
	v_div_scale_f32 v19, vcc, 1.0, v16, 1.0
	v_fma_f32 v14, -v17, v18, 1.0
	v_fmac_f32_e32 v18, v14, v18
	v_mul_f32_e32 v22, v19, v18
	v_fma_f32 v14, -v17, v22, v19
	v_fmac_f32_e32 v22, v14, v18
	ds_read2_b32 v[14:15], v23 offset1:8
	v_fma_f32 v17, -v17, v22, v19
	v_div_fmas_f32 v17, v17, v18, v22
	v_div_fixup_f32 v22, v17, v16, 1.0
	ds_read2_b32 v[18:19], v25 offset0:7 offset1:15
	s_waitcnt lgkmcnt(1)
	v_fma_f32 v16, -v10, v15, v12
	v_mul_f32_e32 v24, v22, v16
	ds_read2_b32 v[16:17], v3 offset1:8
	v_fma_f32 v12, -v9, v12, v15
	v_mul_f32_e32 v12, v12, v22
	s_waitcnt lgkmcnt(1)
	v_mul_f32_e32 v9, v9, v18
	v_mul_f32_e64 v9, v9, -v22
	s_waitcnt lgkmcnt(0)
	v_fma_f32 v14, -v12, v16, v14
	ds_write2_b32 v23, v14, v12 offset1:8
	v_fma_f32 v12, -v19, v24, v13
	ds_write2_b32 v21, v24, v12 offset0:7 offset1:15
	v_mul_f32_e32 v10, v10, v17
	v_mul_f32_e32 v12, v22, v17
	v_fma_f32 v8, -v9, v16, v8
	v_mul_f32_e64 v10, v10, -v22
	ds_write2_b32 v7, v8, v9 offset1:8
	v_mul_f32_e64 v7, v12, -v16
	v_mul_f32_e32 v13, v22, v18
	ds_write2_b32 v3, v7, v12 offset1:8
	v_fma_f32 v3, -v10, v19, v11
	ds_write2_b32 v20, v10, v3 offset0:7 offset1:15
	v_mul_f32_e64 v3, v13, -v19
	ds_write2_b32 v25, v13, v3 offset0:7 offset1:15
.LBB45_20:
	;; [unrolled: 58-line block ×4, first 2 shown]
	s_or_b64 exec, exec, s[6:7]
	v_cmp_gt_u32_e32 vcc, 2, v0
	s_waitcnt lgkmcnt(0)
	s_barrier
	s_and_saveexec_b64 s[6:7], vcc
	s_cbranch_execz .LBB45_26
; %bb.25:
	v_lshlrev_b32_e32 v3, 9, v0
	v_add_u32_e32 v7, 0xfc, v3
	ds_read2st64_b32 v[8:9], v7 offset0:4 offset1:5
	ds_read2st64_b32 v[10:11], v3 offset0:8 offset1:9
	;; [unrolled: 1-line block ×3, first 2 shown]
	ds_read2st64_b32 v[14:15], v3 offset1:1
	ds_read2st64_b32 v[16:17], v7 offset0:12 offset1:13
	ds_read2st64_b32 v[18:19], v7 offset0:20 offset1:21
	s_waitcnt lgkmcnt(4)
	v_fma_f32 v20, -v11, v8, 1.0
	v_div_scale_f32 v21, s[8:9], v20, v20, 1.0
	v_rcp_f32_e32 v22, v21
	s_nop 0
	v_fma_f32 v23, -v21, v22, 1.0
	v_fmac_f32_e32 v22, v23, v22
	v_div_scale_f32 v23, vcc, 1.0, v20, 1.0
	v_mul_f32_e32 v24, v23, v22
	v_fma_f32 v25, -v21, v24, v23
	v_fmac_f32_e32 v24, v25, v22
	v_fma_f32 v21, -v21, v24, v23
	v_div_fmas_f32 v21, v21, v22, v24
	v_div_fixup_f32 v20, v21, v20, 1.0
	s_waitcnt lgkmcnt(0)
	v_fma_f32 v21, -v8, v13, v18
	v_fma_f32 v13, -v11, v18, v13
	v_mul_f32_e32 v13, v13, v20
	v_mul_f32_e32 v21, v20, v21
	v_fma_f32 v12, -v13, v14, v12
	v_mul_f32_e32 v11, v11, v16
	ds_write2st64_b32 v3, v12, v13 offset0:16 offset1:17
	v_fma_f32 v12, -v17, v21, v19
	v_mul_f32_e64 v11, v11, -v20
	ds_write2st64_b32 v7, v21, v12 offset0:20 offset1:21
	v_mul_f32_e32 v8, v8, v15
	v_mul_f32_e32 v12, v20, v15
	v_fma_f32 v10, -v11, v14, v10
	v_mul_f32_e64 v8, v8, -v20
	ds_write2st64_b32 v3, v10, v11 offset0:8 offset1:9
	v_mul_f32_e64 v10, v12, -v14
	v_mul_f32_e32 v13, v20, v16
	ds_write2st64_b32 v3, v10, v12 offset1:1
	v_fma_f32 v3, -v8, v17, v9
	ds_write2st64_b32 v7, v8, v3 offset0:4 offset1:5
	v_mul_f32_e64 v3, v13, -v17
	ds_write2st64_b32 v7, v13, v3 offset0:12 offset1:13
.LBB45_26:
	s_or_b64 exec, exec, s[6:7]
	v_cmp_eq_u32_e64 s[6:7], 0, v0
	s_waitcnt lgkmcnt(0)
	s_barrier
	s_and_saveexec_b64 s[8:9], s[6:7]
	s_cbranch_execz .LBB45_28
; %bb.27:
	s_movk_i32 s10, 0xa00
	v_add_u32_e64 v3, s10, 0
	v_mov_b32_e32 v0, 0
	ds_read2_b32 v[8:9], v3 offset1:255
	ds_read_b32 v7, v0 offset:1532
	v_mov_b32_e32 v18, 0x7fc
	ds_read2_b32 v[10:11], v18 offset1:1
	ds_read_b32 v19, v0 offset:6140
	v_mov_b32_e32 v21, 0xffc
	ds_read2_b32 v[12:13], v21 offset1:1
	s_waitcnt lgkmcnt(3)
	v_fma_f32 v16, -v8, v7, 1.0
	v_div_scale_f32 v17, s[10:11], v16, v16, 1.0
	v_rcp_f32_e32 v20, v17
	v_div_scale_f32 v22, vcc, 1.0, v16, 1.0
	s_movk_i32 s10, 0x1200
	v_fma_f32 v14, -v17, v20, 1.0
	v_fmac_f32_e32 v20, v14, v20
	v_mul_f32_e32 v23, v22, v20
	v_fma_f32 v14, -v17, v23, v22
	v_fmac_f32_e32 v23, v14, v20
	v_add_u32_e64 v24, s10, 0
	ds_read2_b32 v[14:15], v24 offset1:255
	v_fma_f32 v17, -v17, v23, v22
	v_div_fmas_f32 v17, v17, v20, v23
	v_div_fixup_f32 v20, v17, v16, 1.0
	ds_read2st64_b32 v[16:17], v0 offset1:2
	s_waitcnt lgkmcnt(1)
	v_fma_f32 v22, -v7, v14, v15
	v_fma_f32 v14, -v8, v15, v14
	v_mul_f32_e32 v22, v20, v22
	v_mul_f32_e32 v14, v14, v20
	ds_write2_b32 v24, v14, v22 offset1:255
	s_waitcnt lgkmcnt(1)
	v_fma_f32 v13, -v14, v16, v13
	v_fma_f32 v14, -v12, v22, v19
	v_mul_f32_e32 v8, v8, v9
	ds_write_b32 v0, v14 offset:6140
	v_mul_f32_e32 v7, v7, v17
	v_mul_f32_e32 v14, v20, v17
	v_mul_f32_e64 v8, v8, -v20
	v_mul_f32_e32 v9, v20, v9
	v_mul_f32_e64 v7, v7, -v20
	ds_write2_b32 v3, v8, v9 offset1:255
	v_fma_f32 v3, -v8, v16, v11
	v_mul_f32_e64 v8, v14, -v16
	ds_write_b32 v0, v7 offset:1532
	ds_write2st64_b32 v0, v8, v14 offset1:2
	v_fma_f32 v0, -v7, v12, v10
	ds_write2_b32 v18, v0, v3 offset1:1
	v_mul_f32_e64 v0, v9, -v12
	ds_write2_b32 v21, v0, v13 offset1:1
.LBB45_28:
	s_or_b64 exec, exec, s[8:9]
	s_load_dwordx2 s[14:15], s[0:1], 0x48
	s_load_dwordx4 s[8:11], s[0:1], 0x38
	s_waitcnt lgkmcnt(0)
	s_barrier
	s_and_saveexec_b64 s[16:17], s[4:5]
	s_cbranch_execnz .LBB45_31
; %bb.29:
	s_or_b64 exec, exec, s[16:17]
	s_and_saveexec_b64 s[4:5], s[6:7]
	s_cbranch_execnz .LBB45_35
.LBB45_30:
	s_endpgm
.LBB45_31:
	s_cmp_eq_u32 s3, 0
	s_cbranch_scc1 .LBB45_39
; %bb.32:
	s_mul_i32 s18, s18, 15
	s_cbranch_execnz .LBB45_34
.LBB45_33:
	s_load_dwordx4 s[20:23], s[0:1], 0x28
	ds_read2st64_b32 v[6:7], v6 offset1:4
	ds_read2st64_b32 v[0:1], v1 offset1:4
	v_ashrrev_i32_e32 v3, 31, v2
	v_add_u32_e32 v8, s19, v2
	v_lshlrev_b64 v[2:3], 2, v[2:3]
	v_mov_b32_e32 v9, 0
	s_waitcnt lgkmcnt(0)
	v_lshl_add_u64 v[10:11], s[20:21], 0, v[2:3]
	v_lshlrev_b64 v[8:9], 2, v[8:9]
	v_lshl_add_u64 v[2:3], s[22:23], 0, v[2:3]
	global_store_dword v[10:11], v6, off
	v_lshl_add_u64 v[10:11], s[20:21], 0, v[8:9]
	global_store_dword v[2:3], v0, off
	v_lshl_add_u64 v[2:3], s[22:23], 0, v[8:9]
	s_mov_b32 s18, s19
	global_store_dword v[10:11], v7, off
	global_store_dword v[2:3], v1, off
.LBB45_34:
	ds_read2st64_b32 v[0:1], v5 offset1:4
	v_ashrrev_i32_e32 v5, 31, v4
	v_add_u32_e32 v2, s18, v4
	v_mov_b32_e32 v3, 0
	v_lshl_add_u64 v[4:5], v[4:5], 2, s[12:13]
	v_lshl_add_u64 v[2:3], v[2:3], 2, s[12:13]
	s_waitcnt lgkmcnt(0)
	global_store_dword v[4:5], v0, off
	global_store_dword v[2:3], v1, off
	s_or_b64 exec, exec, s[16:17]
	s_and_saveexec_b64 s[4:5], s[6:7]
	s_cbranch_execz .LBB45_30
.LBB45_35:
	s_cmp_eq_u32 s3, 0
	s_cbranch_scc1 .LBB45_40
; %bb.36:
	s_load_dword s6, s[0:1], 0x50
	s_cbranch_execnz .LBB45_38
.LBB45_37:
	s_waitcnt lgkmcnt(0)
	s_load_dword s6, s[0:1], 0x50
	v_mov_b32_e32 v0, 0x7fc
	ds_read2_b32 v[0:1], v0 offset1:1
	s_mov_b32 s4, s3
	s_ashr_i32 s3, s2, 31
	s_lshl_b64 s[12:13], s[2:3], 2
	s_mov_b32 s3, s4
	s_add_u32 s4, s10, s12
	v_mov_b32_e32 v2, 0
	s_addc_u32 s5, s11, s13
	ds_read_b32 v3, v2 offset:4092
	ds_read_b32 v4, v2
	s_waitcnt lgkmcnt(0)
	s_add_i32 s0, s6, s2
	s_mov_b32 s1, 0
	s_lshl_b64 s[0:1], s[0:1], 2
	global_store_dword v2, v1, s[4:5]
	s_add_u32 s4, s10, s0
	s_addc_u32 s5, s11, s1
	global_store_dword v2, v3, s[4:5]
	s_add_u32 s4, s14, s12
	s_addc_u32 s5, s15, s13
	s_add_u32 s0, s14, s0
	s_addc_u32 s1, s15, s1
	global_store_dword v2, v4, s[4:5]
	global_store_dword v2, v0, s[0:1]
.LBB45_38:
	s_waitcnt lgkmcnt(0)
	s_mul_i32 s0, s6, s3
	s_lshl_b32 s0, s0, 1
	s_add_i32 s0, s0, s2
	s_mov_b32 s1, 0
	v_mov_b32_e32 v0, 0
	s_lshl_b64 s[2:3], s[0:1], 2
	ds_read_b32 v1, v0 offset:4096
	ds_read_b32 v2, v0 offset:6140
	s_add_u32 s2, s8, s2
	s_addc_u32 s3, s9, s3
	s_add_i32 s0, s0, s6
	s_lshl_b64 s[0:1], s[0:1], 2
	s_add_u32 s0, s8, s0
	s_addc_u32 s1, s9, s1
	s_waitcnt lgkmcnt(1)
	global_store_dword v0, v1, s[2:3]
	s_waitcnt lgkmcnt(0)
	global_store_dword v0, v2, s[0:1]
	s_endpgm
.LBB45_39:
                                        ; implicit-def: $sgpr18
	s_branch .LBB45_33
.LBB45_40:
                                        ; implicit-def: $sgpr6
	s_branch .LBB45_37
	.section	.rodata,"a",@progbits
	.p2align	6, 0x0
	.amdhsa_kernel _ZN9rocsparseL29gtsv_spike_block_level_kernelILj256ELj16EfEEviiiPT1_PKS1_S4_S2_S2_S2_S2_S2_
		.amdhsa_group_segment_fixed_size 6144
		.amdhsa_private_segment_fixed_size 0
		.amdhsa_kernarg_size 336
		.amdhsa_user_sgpr_count 2
		.amdhsa_user_sgpr_dispatch_ptr 0
		.amdhsa_user_sgpr_queue_ptr 0
		.amdhsa_user_sgpr_kernarg_segment_ptr 1
		.amdhsa_user_sgpr_dispatch_id 0
		.amdhsa_user_sgpr_kernarg_preload_length 0
		.amdhsa_user_sgpr_kernarg_preload_offset 0
		.amdhsa_user_sgpr_private_segment_size 0
		.amdhsa_uses_dynamic_stack 0
		.amdhsa_enable_private_segment 0
		.amdhsa_system_sgpr_workgroup_id_x 1
		.amdhsa_system_sgpr_workgroup_id_y 1
		.amdhsa_system_sgpr_workgroup_id_z 0
		.amdhsa_system_sgpr_workgroup_info 0
		.amdhsa_system_vgpr_workitem_id 0
		.amdhsa_next_free_vgpr 27
		.amdhsa_next_free_sgpr 24
		.amdhsa_accum_offset 28
		.amdhsa_reserve_vcc 1
		.amdhsa_float_round_mode_32 0
		.amdhsa_float_round_mode_16_64 0
		.amdhsa_float_denorm_mode_32 3
		.amdhsa_float_denorm_mode_16_64 3
		.amdhsa_dx10_clamp 1
		.amdhsa_ieee_mode 1
		.amdhsa_fp16_overflow 0
		.amdhsa_tg_split 0
		.amdhsa_exception_fp_ieee_invalid_op 0
		.amdhsa_exception_fp_denorm_src 0
		.amdhsa_exception_fp_ieee_div_zero 0
		.amdhsa_exception_fp_ieee_overflow 0
		.amdhsa_exception_fp_ieee_underflow 0
		.amdhsa_exception_fp_ieee_inexact 0
		.amdhsa_exception_int_div_zero 0
	.end_amdhsa_kernel
	.section	.text._ZN9rocsparseL29gtsv_spike_block_level_kernelILj256ELj16EfEEviiiPT1_PKS1_S4_S2_S2_S2_S2_S2_,"axG",@progbits,_ZN9rocsparseL29gtsv_spike_block_level_kernelILj256ELj16EfEEviiiPT1_PKS1_S4_S2_S2_S2_S2_S2_,comdat
.Lfunc_end45:
	.size	_ZN9rocsparseL29gtsv_spike_block_level_kernelILj256ELj16EfEEviiiPT1_PKS1_S4_S2_S2_S2_S2_S2_, .Lfunc_end45-_ZN9rocsparseL29gtsv_spike_block_level_kernelILj256ELj16EfEEviiiPT1_PKS1_S4_S2_S2_S2_S2_S2_
                                        ; -- End function
	.set _ZN9rocsparseL29gtsv_spike_block_level_kernelILj256ELj16EfEEviiiPT1_PKS1_S4_S2_S2_S2_S2_S2_.num_vgpr, 27
	.set _ZN9rocsparseL29gtsv_spike_block_level_kernelILj256ELj16EfEEviiiPT1_PKS1_S4_S2_S2_S2_S2_S2_.num_agpr, 0
	.set _ZN9rocsparseL29gtsv_spike_block_level_kernelILj256ELj16EfEEviiiPT1_PKS1_S4_S2_S2_S2_S2_S2_.numbered_sgpr, 24
	.set _ZN9rocsparseL29gtsv_spike_block_level_kernelILj256ELj16EfEEviiiPT1_PKS1_S4_S2_S2_S2_S2_S2_.num_named_barrier, 0
	.set _ZN9rocsparseL29gtsv_spike_block_level_kernelILj256ELj16EfEEviiiPT1_PKS1_S4_S2_S2_S2_S2_S2_.private_seg_size, 0
	.set _ZN9rocsparseL29gtsv_spike_block_level_kernelILj256ELj16EfEEviiiPT1_PKS1_S4_S2_S2_S2_S2_S2_.uses_vcc, 1
	.set _ZN9rocsparseL29gtsv_spike_block_level_kernelILj256ELj16EfEEviiiPT1_PKS1_S4_S2_S2_S2_S2_S2_.uses_flat_scratch, 0
	.set _ZN9rocsparseL29gtsv_spike_block_level_kernelILj256ELj16EfEEviiiPT1_PKS1_S4_S2_S2_S2_S2_S2_.has_dyn_sized_stack, 0
	.set _ZN9rocsparseL29gtsv_spike_block_level_kernelILj256ELj16EfEEviiiPT1_PKS1_S4_S2_S2_S2_S2_S2_.has_recursion, 0
	.set _ZN9rocsparseL29gtsv_spike_block_level_kernelILj256ELj16EfEEviiiPT1_PKS1_S4_S2_S2_S2_S2_S2_.has_indirect_call, 0
	.section	.AMDGPU.csdata,"",@progbits
; Kernel info:
; codeLenInByte = 3748
; TotalNumSgprs: 30
; NumVgprs: 27
; NumAgprs: 0
; TotalNumVgprs: 27
; ScratchSize: 0
; MemoryBound: 0
; FloatMode: 240
; IeeeMode: 1
; LDSByteSize: 6144 bytes/workgroup (compile time only)
; SGPRBlocks: 3
; VGPRBlocks: 3
; NumSGPRsForWavesPerEU: 30
; NumVGPRsForWavesPerEU: 27
; AccumOffset: 28
; Occupancy: 8
; WaveLimiterHint : 0
; COMPUTE_PGM_RSRC2:SCRATCH_EN: 0
; COMPUTE_PGM_RSRC2:USER_SGPR: 2
; COMPUTE_PGM_RSRC2:TRAP_HANDLER: 0
; COMPUTE_PGM_RSRC2:TGID_X_EN: 1
; COMPUTE_PGM_RSRC2:TGID_Y_EN: 1
; COMPUTE_PGM_RSRC2:TGID_Z_EN: 0
; COMPUTE_PGM_RSRC2:TIDIG_COMP_CNT: 0
; COMPUTE_PGM_RSRC3_GFX90A:ACCUM_OFFSET: 6
; COMPUTE_PGM_RSRC3_GFX90A:TG_SPLIT: 0
	.section	.text._ZN9rocsparseL33gtsv_solve_spike_propagate_kernelILj256ELj16EfEEviiiPT1_PKS1_S4_S4_,"axG",@progbits,_ZN9rocsparseL33gtsv_solve_spike_propagate_kernelILj256ELj16EfEEviiiPT1_PKS1_S4_S4_,comdat
	.globl	_ZN9rocsparseL33gtsv_solve_spike_propagate_kernelILj256ELj16EfEEviiiPT1_PKS1_S4_S4_ ; -- Begin function _ZN9rocsparseL33gtsv_solve_spike_propagate_kernelILj256ELj16EfEEviiiPT1_PKS1_S4_S4_
	.p2align	8
	.type	_ZN9rocsparseL33gtsv_solve_spike_propagate_kernelILj256ELj16EfEEviiiPT1_PKS1_S4_S4_,@function
_ZN9rocsparseL33gtsv_solve_spike_propagate_kernelILj256ELj16EfEEviiiPT1_PKS1_S4_S4_: ; @_ZN9rocsparseL33gtsv_solve_spike_propagate_kernelILj256ELj16EfEEviiiPT1_PKS1_S4_S4_
; %bb.0:
	s_load_dword s8, s[0:1], 0x0
	v_lshl_or_b32 v2, s2, 8, v0
	v_mov_b32_e32 v4, 0
	v_ashrrev_i32_e32 v3, 31, v2
	v_mov_b32_e32 v5, 0
	s_waitcnt lgkmcnt(0)
	s_lshr_b32 s12, s8, 4
	v_cmp_le_i32_e64 s[4:5], s12, v2
	v_cmp_gt_i32_e32 vcc, s12, v2
	s_and_saveexec_b64 s[6:7], vcc
	s_cbranch_execz .LBB46_2
; %bb.1:
	s_load_dwordx2 s[10:11], s[0:1], 0x18
	v_mad_u64_u32 v[4:5], s[14:15], s12, 15, v[2:3]
	v_mov_b32_e32 v5, 0
	s_waitcnt lgkmcnt(0)
	v_lshl_add_u64 v[6:7], v[2:3], 2, s[10:11]
	v_lshl_add_u64 v[8:9], v[4:5], 2, s[10:11]
	global_load_dword v4, v[6:7], off
	global_load_dword v5, v[8:9], off
.LBB46_2:
	s_or_b64 exec, exec, s[6:7]
	s_load_dwordx2 s[6:7], s[0:1], 0x10
	v_lshlrev_b32_e32 v1, 2, v0
	v_add_u32_e32 v6, 16, v1
	s_waitcnt vmcnt(0)
	ds_write2st64_b32 v6, v4, v5 offset0:16 offset1:20
	s_and_saveexec_b64 s[10:11], s[4:5]
	s_xor_b64 s[4:5], exec, s[10:11]
; %bb.3:
	v_mov_b32_e32 v3, 0
	ds_write2st64_b32 v6, v3, v3 offset0:8 offset1:12
; %bb.4:
	s_or_saveexec_b64 s[4:5], s[4:5]
	v_mov_b32_e32 v4, 0
	s_mul_i32 s8, s8, s3
	v_mov_b32_e32 v5, 0
	s_xor_b64 exec, exec, s[4:5]
	s_cbranch_execz .LBB46_6
; %bb.5:
	s_load_dwordx2 s[10:11], s[0:1], 0x20
	v_mad_u64_u32 v[6:7], s[14:15], s12, 15, v[2:3]
	v_mov_b32_e32 v7, 0
	s_waitcnt lgkmcnt(0)
	v_lshl_add_u64 v[10:11], v[6:7], 2, s[10:11]
	v_add_u32_e32 v6, s8, v6
	v_lshl_add_u64 v[8:9], v[2:3], 2, s[10:11]
	v_lshl_add_u64 v[6:7], v[6:7], 2, s[6:7]
	global_load_dword v3, v[8:9], off
	global_load_dword v12, v[10:11], off
	;; [unrolled: 1-line block ×3, first 2 shown]
	v_add_u32_e32 v6, 16, v1
	s_waitcnt vmcnt(1)
	ds_write2st64_b32 v6, v3, v12 offset0:8 offset1:12
.LBB46_6:
	s_or_b64 exec, exec, s[4:5]
	v_add_u32_e32 v2, s8, v2
	s_waitcnt vmcnt(0)
	ds_write_b32 v1, v5 offset:4
	s_and_saveexec_b64 s[4:5], vcc
	s_cbranch_execz .LBB46_8
; %bb.7:
	v_ashrrev_i32_e32 v3, 31, v2
	s_waitcnt lgkmcnt(0)
	v_lshl_add_u64 v[4:5], v[2:3], 2, s[6:7]
	global_load_dword v4, v[4:5], off
.LBB46_8:
	s_or_b64 exec, exec, s[4:5]
	s_mov_b32 s14, 0
	v_cmp_eq_u32_e64 s[4:5], 0, v0
	s_waitcnt vmcnt(0)
	ds_write_b32 v1, v4 offset:1028
	s_waitcnt lgkmcnt(0)
	s_barrier
	s_and_saveexec_b64 s[8:9], s[4:5]
	s_cbranch_execz .LBB46_14
; %bb.9:
	s_load_dword s13, s[0:1], 0x30
	s_load_dwordx2 s[10:11], s[0:1], 0x28
	s_cmp_lt_i32 s2, 1
	s_waitcnt lgkmcnt(0)
	s_mul_i32 s3, s3, s13
	s_cbranch_scc1 .LBB46_11
; %bb.10:
	s_lshl_b32 s0, s3, 1
	s_add_i32 s1, s2, s13
	s_add_i32 s0, s1, s0
	s_add_i32 s0, s0, -1
	s_mov_b32 s1, 0
	s_lshl_b64 s[0:1], s[0:1], 2
	s_add_u32 s0, s10, s0
	s_addc_u32 s1, s11, s1
	s_load_dword s14, s[0:1], 0x0
.LBB46_11:
	s_add_i32 s0, s13, -1
	v_mov_b32_e32 v3, 0
	s_waitcnt lgkmcnt(0)
	v_mov_b32_e32 v4, s14
	s_mov_b32 s1, 0
	s_cmp_ge_u32 s2, s0
	s_mov_b32 s14, 0
	ds_write_b32 v3, v4
	s_cbranch_scc1 .LBB46_13
; %bb.12:
	s_lshl_b32 s0, s3, 1
	s_add_i32 s0, s2, s0
	s_add_i32 s14, s0, 1
	s_mov_b32 s15, 0
	s_lshl_b64 s[14:15], s[14:15], 2
	s_add_u32 s14, s10, s14
	s_addc_u32 s15, s11, s15
	s_load_dword s14, s[14:15], 0x0
.LBB46_13:
	s_lshl_b32 s0, s3, 1
	s_add_i32 s0, s0, s2
	s_lshl_b64 s[2:3], s[0:1], 2
	s_add_u32 s2, s10, s2
	s_addc_u32 s3, s11, s3
	s_add_i32 s0, s0, s13
	s_lshl_b64 s[0:1], s[0:1], 2
	s_add_u32 s0, s10, s0
	s_addc_u32 s1, s11, s1
	s_load_dword s10, s[0:1], 0x0
	s_load_dword s11, s[2:3], 0x0
	s_waitcnt lgkmcnt(0)
	v_mov_b32_e32 v4, s14
	ds_write_b32 v3, v4 offset:2052
	v_mov_b32_e32 v4, s10
	v_mov_b32_e32 v5, s11
	ds_write_b64 v3, v[4:5] offset:1024
.LBB46_14:
	s_or_b64 exec, exec, s[8:9]
	s_waitcnt lgkmcnt(0)
	s_barrier
	s_and_saveexec_b64 s[0:1], s[4:5]
	s_cbranch_execz .LBB46_16
; %bb.15:
	s_movk_i32 s2, 0xa10
	v_mov_b32_e32 v3, 0
	v_add_u32_e64 v6, s2, 0
	v_add_u32_e64 v8, 4, 0
	s_movk_i32 s2, 0x1210
	ds_read2st64_b32 v[4:5], v3 offset1:2
	ds_read2_b32 v[6:7], v6 offset1:255
	ds_read2st64_b32 v[8:9], v8 offset0:6 offset1:8
	v_add_u32_e64 v10, s2, 0
	ds_read2_b32 v[10:11], v10 offset1:255
	s_waitcnt lgkmcnt(1)
	v_fma_f32 v5, -v7, v9, v5
	s_waitcnt lgkmcnt(0)
	v_fma_f32 v5, -v11, v4, v5
	ds_write_b32 v3, v5 offset:512
	v_fma_f32 v5, -v6, v9, v8
	v_fma_f32 v4, -v10, v4, v5
	ds_write_b32 v3, v4 offset:1540
.LBB46_16:
	s_or_b64 exec, exec, s[0:1]
	v_cmp_gt_u32_e64 s[0:1], 2, v0
	s_waitcnt lgkmcnt(0)
	s_barrier
	s_and_saveexec_b64 s[2:3], s[0:1]
	s_cbranch_execz .LBB46_18
; %bb.17:
	s_movk_i32 s0, 0x1fc
	v_mad_u32_u24 v3, v0, s0, v1
	v_lshlrev_b32_e32 v10, 9, v0
	v_add_u32_e32 v6, 0x910, v10
	v_add_u32_e32 v8, 4, v3
	ds_read2st64_b32 v[4:5], v3 offset1:1
	ds_read2_b32 v[6:7], v6 offset1:255
	ds_read2st64_b32 v[8:9], v8 offset0:5 offset1:6
	v_add_u32_e32 v10, 0x1110, v10
	ds_read2_b32 v[10:11], v10 offset1:255
	s_waitcnt lgkmcnt(1)
	v_fma_f32 v5, -v7, v9, v5
	s_waitcnt lgkmcnt(0)
	v_fma_f32 v5, -v11, v4, v5
	ds_write_b32 v3, v5 offset:256
	v_fma_f32 v5, -v6, v9, v8
	v_fma_f32 v4, -v10, v4, v5
	ds_write_b32 v3, v4 offset:1284
.LBB46_18:
	s_or_b64 exec, exec, s[2:3]
	v_cmp_gt_u32_e64 s[0:1], 4, v0
	s_waitcnt lgkmcnt(0)
	s_barrier
	s_and_saveexec_b64 s[2:3], s[0:1]
	s_cbranch_execz .LBB46_20
; %bb.19:
	v_lshlrev_b32_e32 v3, 8, v0
	v_add_u32_e32 v6, 0x890, v3
	v_add_u32_e32 v8, 0x400, v3
	ds_read2_b32 v[4:5], v3 offset1:32
	ds_read2_b32 v[6:7], v6 offset1:255
	ds_read2_b32 v[8:9], v8 offset0:33 offset1:65
	v_add_u32_e32 v10, 0x1090, v3
	ds_read2_b32 v[10:11], v10 offset1:255
	s_waitcnt lgkmcnt(1)
	v_fma_f32 v5, -v7, v9, v5
	s_waitcnt lgkmcnt(0)
	v_fma_f32 v5, -v11, v4, v5
	ds_write_b32 v3, v5 offset:128
	v_fma_f32 v5, -v6, v9, v8
	v_fma_f32 v4, -v10, v4, v5
	ds_write_b32 v3, v4 offset:1156
.LBB46_20:
	s_or_b64 exec, exec, s[2:3]
	v_cmp_gt_u32_e64 s[0:1], 8, v0
	s_waitcnt lgkmcnt(0)
	s_barrier
	s_and_saveexec_b64 s[2:3], s[0:1]
	s_cbranch_execz .LBB46_22
; %bb.21:
	v_lshlrev_b32_e32 v3, 7, v0
	v_add_u32_e32 v6, 0x850, v3
	v_add_u32_e32 v8, 0x400, v3
	ds_read2_b32 v[4:5], v3 offset1:16
	ds_read2_b32 v[6:7], v6 offset1:255
	ds_read2_b32 v[8:9], v8 offset0:17 offset1:33
	v_add_u32_e32 v10, 0x1050, v3
	ds_read2_b32 v[10:11], v10 offset1:255
	s_waitcnt lgkmcnt(1)
	v_fma_f32 v5, -v7, v9, v5
	s_waitcnt lgkmcnt(0)
	v_fma_f32 v5, -v11, v4, v5
	ds_write_b32 v3, v5 offset:64
	v_fma_f32 v5, -v6, v9, v8
	v_fma_f32 v4, -v10, v4, v5
	ds_write_b32 v3, v4 offset:1092
.LBB46_22:
	;; [unrolled: 24-line block ×5, first 2 shown]
	s_or_b64 exec, exec, s[2:3]
	s_movk_i32 s0, 0x80
	v_cmp_gt_u32_e64 s[0:1], s0, v0
	s_waitcnt lgkmcnt(0)
	s_barrier
	s_and_saveexec_b64 s[2:3], s[0:1]
	s_cbranch_execz .LBB46_30
; %bb.29:
	v_lshlrev_b32_e32 v0, 3, v0
	v_add_u32_e32 v3, 0x814, v0
	ds_read2_b64 v[4:7], v0 offset1:129
	ds_read2_b32 v[8:9], v3 offset1:255
	v_add_u32_e32 v3, 0x1014, v0
	ds_read2_b32 v[10:11], v3 offset1:255
	s_waitcnt lgkmcnt(1)
	v_fma_f32 v3, -v9, v7, v5
	v_fma_f32 v5, -v8, v7, v6
	s_waitcnt lgkmcnt(0)
	v_fma_f32 v3, -v11, v4, v3
	ds_write_b32 v0, v3 offset:4
	v_fma_f32 v3, -v10, v4, v5
	ds_write_b32 v0, v3 offset:1032
.LBB46_30:
	s_or_b64 exec, exec, s[2:3]
	s_waitcnt lgkmcnt(0)
	s_barrier
	s_and_saveexec_b64 s[0:1], vcc
	s_cbranch_execz .LBB46_32
; %bb.31:
	v_add_u32_e32 v0, 4, v1
	ds_read2st64_b32 v[0:1], v0 offset1:4
	v_ashrrev_i32_e32 v3, 31, v2
	v_lshl_add_u64 v[4:5], v[2:3], 2, s[6:7]
	v_mad_u64_u32 v[2:3], s[0:1], s12, 15, v[2:3]
	v_mov_b32_e32 v3, 0
	v_lshl_add_u64 v[2:3], v[2:3], 2, s[6:7]
	s_waitcnt lgkmcnt(0)
	global_store_dword v[4:5], v1, off
	global_store_dword v[2:3], v0, off
.LBB46_32:
	s_endpgm
	.section	.rodata,"a",@progbits
	.p2align	6, 0x0
	.amdhsa_kernel _ZN9rocsparseL33gtsv_solve_spike_propagate_kernelILj256ELj16EfEEviiiPT1_PKS1_S4_S4_
		.amdhsa_group_segment_fixed_size 6160
		.amdhsa_private_segment_fixed_size 0
		.amdhsa_kernarg_size 304
		.amdhsa_user_sgpr_count 2
		.amdhsa_user_sgpr_dispatch_ptr 0
		.amdhsa_user_sgpr_queue_ptr 0
		.amdhsa_user_sgpr_kernarg_segment_ptr 1
		.amdhsa_user_sgpr_dispatch_id 0
		.amdhsa_user_sgpr_kernarg_preload_length 0
		.amdhsa_user_sgpr_kernarg_preload_offset 0
		.amdhsa_user_sgpr_private_segment_size 0
		.amdhsa_uses_dynamic_stack 0
		.amdhsa_enable_private_segment 0
		.amdhsa_system_sgpr_workgroup_id_x 1
		.amdhsa_system_sgpr_workgroup_id_y 1
		.amdhsa_system_sgpr_workgroup_id_z 0
		.amdhsa_system_sgpr_workgroup_info 0
		.amdhsa_system_vgpr_workitem_id 0
		.amdhsa_next_free_vgpr 13
		.amdhsa_next_free_sgpr 16
		.amdhsa_accum_offset 16
		.amdhsa_reserve_vcc 1
		.amdhsa_float_round_mode_32 0
		.amdhsa_float_round_mode_16_64 0
		.amdhsa_float_denorm_mode_32 3
		.amdhsa_float_denorm_mode_16_64 3
		.amdhsa_dx10_clamp 1
		.amdhsa_ieee_mode 1
		.amdhsa_fp16_overflow 0
		.amdhsa_tg_split 0
		.amdhsa_exception_fp_ieee_invalid_op 0
		.amdhsa_exception_fp_denorm_src 0
		.amdhsa_exception_fp_ieee_div_zero 0
		.amdhsa_exception_fp_ieee_overflow 0
		.amdhsa_exception_fp_ieee_underflow 0
		.amdhsa_exception_fp_ieee_inexact 0
		.amdhsa_exception_int_div_zero 0
	.end_amdhsa_kernel
	.section	.text._ZN9rocsparseL33gtsv_solve_spike_propagate_kernelILj256ELj16EfEEviiiPT1_PKS1_S4_S4_,"axG",@progbits,_ZN9rocsparseL33gtsv_solve_spike_propagate_kernelILj256ELj16EfEEviiiPT1_PKS1_S4_S4_,comdat
.Lfunc_end46:
	.size	_ZN9rocsparseL33gtsv_solve_spike_propagate_kernelILj256ELj16EfEEviiiPT1_PKS1_S4_S4_, .Lfunc_end46-_ZN9rocsparseL33gtsv_solve_spike_propagate_kernelILj256ELj16EfEEviiiPT1_PKS1_S4_S4_
                                        ; -- End function
	.set _ZN9rocsparseL33gtsv_solve_spike_propagate_kernelILj256ELj16EfEEviiiPT1_PKS1_S4_S4_.num_vgpr, 13
	.set _ZN9rocsparseL33gtsv_solve_spike_propagate_kernelILj256ELj16EfEEviiiPT1_PKS1_S4_S4_.num_agpr, 0
	.set _ZN9rocsparseL33gtsv_solve_spike_propagate_kernelILj256ELj16EfEEviiiPT1_PKS1_S4_S4_.numbered_sgpr, 16
	.set _ZN9rocsparseL33gtsv_solve_spike_propagate_kernelILj256ELj16EfEEviiiPT1_PKS1_S4_S4_.num_named_barrier, 0
	.set _ZN9rocsparseL33gtsv_solve_spike_propagate_kernelILj256ELj16EfEEviiiPT1_PKS1_S4_S4_.private_seg_size, 0
	.set _ZN9rocsparseL33gtsv_solve_spike_propagate_kernelILj256ELj16EfEEviiiPT1_PKS1_S4_S4_.uses_vcc, 1
	.set _ZN9rocsparseL33gtsv_solve_spike_propagate_kernelILj256ELj16EfEEviiiPT1_PKS1_S4_S4_.uses_flat_scratch, 0
	.set _ZN9rocsparseL33gtsv_solve_spike_propagate_kernelILj256ELj16EfEEviiiPT1_PKS1_S4_S4_.has_dyn_sized_stack, 0
	.set _ZN9rocsparseL33gtsv_solve_spike_propagate_kernelILj256ELj16EfEEviiiPT1_PKS1_S4_S4_.has_recursion, 0
	.set _ZN9rocsparseL33gtsv_solve_spike_propagate_kernelILj256ELj16EfEEviiiPT1_PKS1_S4_S4_.has_indirect_call, 0
	.section	.AMDGPU.csdata,"",@progbits
; Kernel info:
; codeLenInByte = 1844
; TotalNumSgprs: 22
; NumVgprs: 13
; NumAgprs: 0
; TotalNumVgprs: 13
; ScratchSize: 0
; MemoryBound: 0
; FloatMode: 240
; IeeeMode: 1
; LDSByteSize: 6160 bytes/workgroup (compile time only)
; SGPRBlocks: 2
; VGPRBlocks: 1
; NumSGPRsForWavesPerEU: 22
; NumVGPRsForWavesPerEU: 13
; AccumOffset: 16
; Occupancy: 8
; WaveLimiterHint : 0
; COMPUTE_PGM_RSRC2:SCRATCH_EN: 0
; COMPUTE_PGM_RSRC2:USER_SGPR: 2
; COMPUTE_PGM_RSRC2:TRAP_HANDLER: 0
; COMPUTE_PGM_RSRC2:TGID_X_EN: 1
; COMPUTE_PGM_RSRC2:TGID_Y_EN: 1
; COMPUTE_PGM_RSRC2:TGID_Z_EN: 0
; COMPUTE_PGM_RSRC2:TIDIG_COMP_CNT: 0
; COMPUTE_PGM_RSRC3_GFX90A:ACCUM_OFFSET: 3
; COMPUTE_PGM_RSRC3_GFX90A:TG_SPLIT: 0
	.section	.text._ZN9rocsparseL39gtsv_spike_backward_substitution_kernelILj256ELj16EfEEviiiPT1_PKS1_S4_,"axG",@progbits,_ZN9rocsparseL39gtsv_spike_backward_substitution_kernelILj256ELj16EfEEviiiPT1_PKS1_S4_,comdat
	.globl	_ZN9rocsparseL39gtsv_spike_backward_substitution_kernelILj256ELj16EfEEviiiPT1_PKS1_S4_ ; -- Begin function _ZN9rocsparseL39gtsv_spike_backward_substitution_kernelILj256ELj16EfEEviiiPT1_PKS1_S4_
	.p2align	8
	.type	_ZN9rocsparseL39gtsv_spike_backward_substitution_kernelILj256ELj16EfEEviiiPT1_PKS1_S4_,@function
_ZN9rocsparseL39gtsv_spike_backward_substitution_kernelILj256ELj16EfEEviiiPT1_PKS1_S4_: ; @_ZN9rocsparseL39gtsv_spike_backward_substitution_kernelILj256ELj16EfEEviiiPT1_PKS1_S4_
; %bb.0:
	s_load_dword s6, s[0:1], 0x0
	v_lshl_or_b32 v0, s2, 8, v0
	s_waitcnt lgkmcnt(0)
	s_lshr_b32 s12, s6, 4
	v_cmp_gt_i32_e32 vcc, s12, v0
	s_and_saveexec_b64 s[4:5], vcc
	s_cbranch_execz .LBB47_6
; %bb.1:
	s_load_dwordx2 s[8:9], s[0:1], 0x10
	v_cmp_lt_i32_e32 vcc, 0, v0
	v_mov_b32_e32 v2, 0
	s_mul_i32 s2, s6, s3
	s_and_saveexec_b64 s[4:5], vcc
	s_cbranch_execz .LBB47_3
; %bb.2:
	s_mul_i32 s7, s12, 15
	s_mul_i32 s3, s6, s3
	s_add_i32 s7, s7, s3
	v_add3_u32 v2, v0, s7, -1
	v_mov_b32_e32 v3, 0
	s_waitcnt lgkmcnt(0)
	v_lshl_add_u64 v[2:3], v[2:3], 2, s[8:9]
	global_load_dword v2, v[2:3], off
.LBB47_3:
	s_or_b64 exec, exec, s[4:5]
	v_add_u32_e32 v1, 16, v0
	v_cmp_le_u32_e32 vcc, s6, v1
	s_and_saveexec_b64 s[4:5], vcc
	s_xor_b64 s[4:5], exec, s[4:5]
	s_or_saveexec_b64 s[10:11], s[4:5]
	s_load_dwordx4 s[4:7], s[0:1], 0x18
	v_mov_b32_e32 v1, 0
	v_mov_b32_e32 v3, s2
	s_xor_b64 exec, exec, s[10:11]
	s_cbranch_execz .LBB47_5
; %bb.4:
	s_ashr_i32 s3, s2, 31
	v_ashrrev_i32_e32 v1, 31, v0
	v_lshl_add_u64 v[4:5], v[0:1], 0, s[2:3]
	s_waitcnt lgkmcnt(0)
	v_lshl_add_u64 v[4:5], v[4:5], 2, s[8:9]
	global_load_dword v1, v[4:5], off offset:4
	v_mov_b32_e32 v3, s2
.LBB47_5:
	s_or_b64 exec, exec, s[10:11]
	v_add_u32_e32 v4, s12, v0
	v_add_u32_e32 v6, v4, v3
	v_ashrrev_i32_e32 v5, 31, v4
	v_ashrrev_i32_e32 v7, 31, v6
	v_lshlrev_b64 v[8:9], 2, v[4:5]
	s_waitcnt lgkmcnt(0)
	v_lshl_add_u64 v[6:7], v[6:7], 2, s[8:9]
	v_lshl_add_u64 v[10:11], s[4:5], 0, v[8:9]
	global_load_dword v0, v[6:7], off
	global_load_dword v14, v[10:11], off
	v_lshl_add_u64 v[8:9], s[6:7], 0, v[8:9]
	global_load_dword v15, v[8:9], off
	v_add_u32_e32 v4, s12, v4
	v_ashrrev_i32_e32 v5, 31, v4
	v_add_u32_e32 v8, v4, v3
	v_lshlrev_b64 v[10:11], 2, v[4:5]
	v_ashrrev_i32_e32 v9, 31, v8
	v_lshl_add_u64 v[12:13], s[4:5], 0, v[10:11]
	v_lshl_add_u64 v[8:9], v[8:9], 2, s[8:9]
	global_load_dword v16, v[12:13], off
	v_lshl_add_u64 v[10:11], s[6:7], 0, v[10:11]
	v_add_u32_e32 v4, s12, v4
	v_ashrrev_i32_e32 v5, 31, v4
	s_waitcnt vmcnt(2)
	v_fma_f32 v0, -v2, v14, v0
	s_waitcnt vmcnt(1)
	v_fma_f32 v0, -v1, v15, v0
	global_store_dword v[6:7], v0, off
	global_load_dword v0, v[8:9], off
	s_nop 0
	global_load_dword v14, v[10:11], off
	v_add_u32_e32 v6, v4, v3
	v_lshlrev_b64 v[10:11], 2, v[4:5]
	v_ashrrev_i32_e32 v7, 31, v6
	v_lshl_add_u64 v[12:13], s[4:5], 0, v[10:11]
	v_lshl_add_u64 v[6:7], v[6:7], 2, s[8:9]
	global_load_dword v15, v[12:13], off
	v_lshl_add_u64 v[10:11], s[6:7], 0, v[10:11]
	v_add_u32_e32 v4, s12, v4
	v_ashrrev_i32_e32 v5, 31, v4
	s_waitcnt vmcnt(2)
	v_fma_f32 v0, -v2, v16, v0
	s_waitcnt vmcnt(1)
	v_fma_f32 v0, -v1, v14, v0
	global_store_dword v[8:9], v0, off
	global_load_dword v0, v[6:7], off
	s_nop 0
	global_load_dword v14, v[10:11], off
	;; [unrolled: 17-line block ×12, first 2 shown]
	v_add_u32_e32 v8, v4, v3
	v_ashrrev_i32_e32 v9, 31, v8
	v_lshlrev_b64 v[4:5], 2, v[4:5]
	v_lshl_add_u64 v[8:9], v[8:9], 2, s[8:9]
	v_lshl_add_u64 v[10:11], s[4:5], 0, v[4:5]
	global_load_dword v3, v[10:11], off
	v_lshl_add_u64 v[4:5], s[6:7], 0, v[4:5]
	global_load_dword v4, v[4:5], off
	s_waitcnt vmcnt(3)
	v_fma_f32 v0, -v2, v12, v0
	s_waitcnt vmcnt(2)
	v_fma_f32 v0, -v1, v13, v0
	global_store_dword v[6:7], v0, off
	global_load_dword v0, v[8:9], off
	s_waitcnt vmcnt(0)
	v_fma_f32 v0, -v2, v3, v0
	v_fma_f32 v0, -v1, v4, v0
	global_store_dword v[8:9], v0, off
.LBB47_6:
	s_endpgm
	.section	.rodata,"a",@progbits
	.p2align	6, 0x0
	.amdhsa_kernel _ZN9rocsparseL39gtsv_spike_backward_substitution_kernelILj256ELj16EfEEviiiPT1_PKS1_S4_
		.amdhsa_group_segment_fixed_size 0
		.amdhsa_private_segment_fixed_size 0
		.amdhsa_kernarg_size 40
		.amdhsa_user_sgpr_count 2
		.amdhsa_user_sgpr_dispatch_ptr 0
		.amdhsa_user_sgpr_queue_ptr 0
		.amdhsa_user_sgpr_kernarg_segment_ptr 1
		.amdhsa_user_sgpr_dispatch_id 0
		.amdhsa_user_sgpr_kernarg_preload_length 0
		.amdhsa_user_sgpr_kernarg_preload_offset 0
		.amdhsa_user_sgpr_private_segment_size 0
		.amdhsa_uses_dynamic_stack 0
		.amdhsa_enable_private_segment 0
		.amdhsa_system_sgpr_workgroup_id_x 1
		.amdhsa_system_sgpr_workgroup_id_y 1
		.amdhsa_system_sgpr_workgroup_id_z 0
		.amdhsa_system_sgpr_workgroup_info 0
		.amdhsa_system_vgpr_workitem_id 0
		.amdhsa_next_free_vgpr 17
		.amdhsa_next_free_sgpr 13
		.amdhsa_accum_offset 20
		.amdhsa_reserve_vcc 1
		.amdhsa_float_round_mode_32 0
		.amdhsa_float_round_mode_16_64 0
		.amdhsa_float_denorm_mode_32 3
		.amdhsa_float_denorm_mode_16_64 3
		.amdhsa_dx10_clamp 1
		.amdhsa_ieee_mode 1
		.amdhsa_fp16_overflow 0
		.amdhsa_tg_split 0
		.amdhsa_exception_fp_ieee_invalid_op 0
		.amdhsa_exception_fp_denorm_src 0
		.amdhsa_exception_fp_ieee_div_zero 0
		.amdhsa_exception_fp_ieee_overflow 0
		.amdhsa_exception_fp_ieee_underflow 0
		.amdhsa_exception_fp_ieee_inexact 0
		.amdhsa_exception_int_div_zero 0
	.end_amdhsa_kernel
	.section	.text._ZN9rocsparseL39gtsv_spike_backward_substitution_kernelILj256ELj16EfEEviiiPT1_PKS1_S4_,"axG",@progbits,_ZN9rocsparseL39gtsv_spike_backward_substitution_kernelILj256ELj16EfEEviiiPT1_PKS1_S4_,comdat
.Lfunc_end47:
	.size	_ZN9rocsparseL39gtsv_spike_backward_substitution_kernelILj256ELj16EfEEviiiPT1_PKS1_S4_, .Lfunc_end47-_ZN9rocsparseL39gtsv_spike_backward_substitution_kernelILj256ELj16EfEEviiiPT1_PKS1_S4_
                                        ; -- End function
	.set _ZN9rocsparseL39gtsv_spike_backward_substitution_kernelILj256ELj16EfEEviiiPT1_PKS1_S4_.num_vgpr, 17
	.set _ZN9rocsparseL39gtsv_spike_backward_substitution_kernelILj256ELj16EfEEviiiPT1_PKS1_S4_.num_agpr, 0
	.set _ZN9rocsparseL39gtsv_spike_backward_substitution_kernelILj256ELj16EfEEviiiPT1_PKS1_S4_.numbered_sgpr, 13
	.set _ZN9rocsparseL39gtsv_spike_backward_substitution_kernelILj256ELj16EfEEviiiPT1_PKS1_S4_.num_named_barrier, 0
	.set _ZN9rocsparseL39gtsv_spike_backward_substitution_kernelILj256ELj16EfEEviiiPT1_PKS1_S4_.private_seg_size, 0
	.set _ZN9rocsparseL39gtsv_spike_backward_substitution_kernelILj256ELj16EfEEviiiPT1_PKS1_S4_.uses_vcc, 1
	.set _ZN9rocsparseL39gtsv_spike_backward_substitution_kernelILj256ELj16EfEEviiiPT1_PKS1_S4_.uses_flat_scratch, 0
	.set _ZN9rocsparseL39gtsv_spike_backward_substitution_kernelILj256ELj16EfEEviiiPT1_PKS1_S4_.has_dyn_sized_stack, 0
	.set _ZN9rocsparseL39gtsv_spike_backward_substitution_kernelILj256ELj16EfEEviiiPT1_PKS1_S4_.has_recursion, 0
	.set _ZN9rocsparseL39gtsv_spike_backward_substitution_kernelILj256ELj16EfEEviiiPT1_PKS1_S4_.has_indirect_call, 0
	.section	.AMDGPU.csdata,"",@progbits
; Kernel info:
; codeLenInByte = 1708
; TotalNumSgprs: 19
; NumVgprs: 17
; NumAgprs: 0
; TotalNumVgprs: 17
; ScratchSize: 0
; MemoryBound: 0
; FloatMode: 240
; IeeeMode: 1
; LDSByteSize: 0 bytes/workgroup (compile time only)
; SGPRBlocks: 2
; VGPRBlocks: 2
; NumSGPRsForWavesPerEU: 19
; NumVGPRsForWavesPerEU: 17
; AccumOffset: 20
; Occupancy: 8
; WaveLimiterHint : 0
; COMPUTE_PGM_RSRC2:SCRATCH_EN: 0
; COMPUTE_PGM_RSRC2:USER_SGPR: 2
; COMPUTE_PGM_RSRC2:TRAP_HANDLER: 0
; COMPUTE_PGM_RSRC2:TGID_X_EN: 1
; COMPUTE_PGM_RSRC2:TGID_Y_EN: 1
; COMPUTE_PGM_RSRC2:TGID_Z_EN: 0
; COMPUTE_PGM_RSRC2:TIDIG_COMP_CNT: 0
; COMPUTE_PGM_RSRC3_GFX90A:ACCUM_OFFSET: 4
; COMPUTE_PGM_RSRC3_GFX90A:TG_SPLIT: 0
	.section	.text._ZN9rocsparseL32gtsv_transpose_back_array_kernelILj256ELj16EfEEviiiPKT1_PS1_,"axG",@progbits,_ZN9rocsparseL32gtsv_transpose_back_array_kernelILj256ELj16EfEEviiiPKT1_PS1_,comdat
	.globl	_ZN9rocsparseL32gtsv_transpose_back_array_kernelILj256ELj16EfEEviiiPKT1_PS1_ ; -- Begin function _ZN9rocsparseL32gtsv_transpose_back_array_kernelILj256ELj16EfEEviiiPKT1_PS1_
	.p2align	8
	.type	_ZN9rocsparseL32gtsv_transpose_back_array_kernelILj256ELj16EfEEviiiPKT1_PS1_,@function
_ZN9rocsparseL32gtsv_transpose_back_array_kernelILj256ELj16EfEEviiiPKT1_PS1_: ; @_ZN9rocsparseL32gtsv_transpose_back_array_kernelILj256ELj16EfEEviiiPKT1_PS1_
; %bb.0:
	s_load_dwordx4 s[4:7], s[0:1], 0x0
	v_lshl_or_b32 v0, s2, 8, v0
	v_lshlrev_b32_e32 v2, 4, v0
	s_waitcnt lgkmcnt(0)
	v_cvt_f32_u32_e32 v1, s5
	s_sub_i32 s2, 0, s5
	v_rcp_iflag_f32_e32 v1, v1
	s_nop 0
	v_mul_f32_e32 v1, 0x4f7ffffe, v1
	v_cvt_u32_f32_e32 v1, v1
	v_mul_lo_u32 v3, s2, v1
	v_mul_hi_u32 v3, v1, v3
	v_add_u32_e32 v1, v1, v3
	v_mul_hi_u32 v1, v2, v1
	v_mul_lo_u32 v3, v1, s5
	v_sub_u32_e32 v3, v2, v3
	v_add_u32_e32 v4, 1, v1
	v_cmp_le_u32_e32 vcc, s5, v3
	s_nop 1
	v_cndmask_b32_e32 v1, v1, v4, vcc
	v_subrev_u32_e32 v4, s5, v3
	v_cndmask_b32_e32 v3, v3, v4, vcc
	v_add_u32_e32 v4, 1, v1
	v_cmp_le_u32_e32 vcc, s5, v3
	s_nop 1
	v_cndmask_b32_e32 v1, v1, v4, vcc
	v_mul_lo_u32 v3, v1, s5
	v_sub_u32_e32 v2, v2, v3
	v_add_u32_e32 v1, v1, v2
	v_cmp_gt_i32_e32 vcc, s4, v1
	s_and_saveexec_b64 s[8:9], vcc
	s_cbranch_execz .LBB48_2
; %bb.1:
	s_load_dwordx4 s[8:11], s[0:1], 0x10
	s_mul_i32 s0, s5, s3
	v_add_u32_e32 v2, s0, v0
	v_ashrrev_i32_e32 v3, 31, v2
	s_mul_i32 s0, s6, s3
	s_waitcnt lgkmcnt(0)
	v_lshl_add_u64 v[2:3], v[2:3], 2, s[8:9]
	global_load_dword v2, v[2:3], off
	v_add_u32_e32 v0, s0, v1
	v_ashrrev_i32_e32 v1, 31, v0
	v_lshl_add_u64 v[0:1], v[0:1], 2, s[10:11]
	s_waitcnt vmcnt(0)
	global_store_dword v[0:1], v2, off
.LBB48_2:
	s_endpgm
	.section	.rodata,"a",@progbits
	.p2align	6, 0x0
	.amdhsa_kernel _ZN9rocsparseL32gtsv_transpose_back_array_kernelILj256ELj16EfEEviiiPKT1_PS1_
		.amdhsa_group_segment_fixed_size 0
		.amdhsa_private_segment_fixed_size 0
		.amdhsa_kernarg_size 32
		.amdhsa_user_sgpr_count 2
		.amdhsa_user_sgpr_dispatch_ptr 0
		.amdhsa_user_sgpr_queue_ptr 0
		.amdhsa_user_sgpr_kernarg_segment_ptr 1
		.amdhsa_user_sgpr_dispatch_id 0
		.amdhsa_user_sgpr_kernarg_preload_length 0
		.amdhsa_user_sgpr_kernarg_preload_offset 0
		.amdhsa_user_sgpr_private_segment_size 0
		.amdhsa_uses_dynamic_stack 0
		.amdhsa_enable_private_segment 0
		.amdhsa_system_sgpr_workgroup_id_x 1
		.amdhsa_system_sgpr_workgroup_id_y 1
		.amdhsa_system_sgpr_workgroup_id_z 0
		.amdhsa_system_sgpr_workgroup_info 0
		.amdhsa_system_vgpr_workitem_id 0
		.amdhsa_next_free_vgpr 5
		.amdhsa_next_free_sgpr 12
		.amdhsa_accum_offset 8
		.amdhsa_reserve_vcc 1
		.amdhsa_float_round_mode_32 0
		.amdhsa_float_round_mode_16_64 0
		.amdhsa_float_denorm_mode_32 3
		.amdhsa_float_denorm_mode_16_64 3
		.amdhsa_dx10_clamp 1
		.amdhsa_ieee_mode 1
		.amdhsa_fp16_overflow 0
		.amdhsa_tg_split 0
		.amdhsa_exception_fp_ieee_invalid_op 0
		.amdhsa_exception_fp_denorm_src 0
		.amdhsa_exception_fp_ieee_div_zero 0
		.amdhsa_exception_fp_ieee_overflow 0
		.amdhsa_exception_fp_ieee_underflow 0
		.amdhsa_exception_fp_ieee_inexact 0
		.amdhsa_exception_int_div_zero 0
	.end_amdhsa_kernel
	.section	.text._ZN9rocsparseL32gtsv_transpose_back_array_kernelILj256ELj16EfEEviiiPKT1_PS1_,"axG",@progbits,_ZN9rocsparseL32gtsv_transpose_back_array_kernelILj256ELj16EfEEviiiPKT1_PS1_,comdat
.Lfunc_end48:
	.size	_ZN9rocsparseL32gtsv_transpose_back_array_kernelILj256ELj16EfEEviiiPKT1_PS1_, .Lfunc_end48-_ZN9rocsparseL32gtsv_transpose_back_array_kernelILj256ELj16EfEEviiiPKT1_PS1_
                                        ; -- End function
	.set _ZN9rocsparseL32gtsv_transpose_back_array_kernelILj256ELj16EfEEviiiPKT1_PS1_.num_vgpr, 5
	.set _ZN9rocsparseL32gtsv_transpose_back_array_kernelILj256ELj16EfEEviiiPKT1_PS1_.num_agpr, 0
	.set _ZN9rocsparseL32gtsv_transpose_back_array_kernelILj256ELj16EfEEviiiPKT1_PS1_.numbered_sgpr, 12
	.set _ZN9rocsparseL32gtsv_transpose_back_array_kernelILj256ELj16EfEEviiiPKT1_PS1_.num_named_barrier, 0
	.set _ZN9rocsparseL32gtsv_transpose_back_array_kernelILj256ELj16EfEEviiiPKT1_PS1_.private_seg_size, 0
	.set _ZN9rocsparseL32gtsv_transpose_back_array_kernelILj256ELj16EfEEviiiPKT1_PS1_.uses_vcc, 1
	.set _ZN9rocsparseL32gtsv_transpose_back_array_kernelILj256ELj16EfEEviiiPKT1_PS1_.uses_flat_scratch, 0
	.set _ZN9rocsparseL32gtsv_transpose_back_array_kernelILj256ELj16EfEEviiiPKT1_PS1_.has_dyn_sized_stack, 0
	.set _ZN9rocsparseL32gtsv_transpose_back_array_kernelILj256ELj16EfEEviiiPKT1_PS1_.has_recursion, 0
	.set _ZN9rocsparseL32gtsv_transpose_back_array_kernelILj256ELj16EfEEviiiPKT1_PS1_.has_indirect_call, 0
	.section	.AMDGPU.csdata,"",@progbits
; Kernel info:
; codeLenInByte = 236
; TotalNumSgprs: 18
; NumVgprs: 5
; NumAgprs: 0
; TotalNumVgprs: 5
; ScratchSize: 0
; MemoryBound: 0
; FloatMode: 240
; IeeeMode: 1
; LDSByteSize: 0 bytes/workgroup (compile time only)
; SGPRBlocks: 2
; VGPRBlocks: 0
; NumSGPRsForWavesPerEU: 18
; NumVGPRsForWavesPerEU: 5
; AccumOffset: 8
; Occupancy: 8
; WaveLimiterHint : 0
; COMPUTE_PGM_RSRC2:SCRATCH_EN: 0
; COMPUTE_PGM_RSRC2:USER_SGPR: 2
; COMPUTE_PGM_RSRC2:TRAP_HANDLER: 0
; COMPUTE_PGM_RSRC2:TGID_X_EN: 1
; COMPUTE_PGM_RSRC2:TGID_Y_EN: 1
; COMPUTE_PGM_RSRC2:TGID_Z_EN: 0
; COMPUTE_PGM_RSRC2:TIDIG_COMP_CNT: 0
; COMPUTE_PGM_RSRC3_GFX90A:ACCUM_OFFSET: 1
; COMPUTE_PGM_RSRC3_GFX90A:TG_SPLIT: 0
	.section	.text._ZN9rocsparseL42gtsv_transpose_and_pad_array_shared_kernelILj256ELj32EfEEviiiPKT1_PS1_S1_,"axG",@progbits,_ZN9rocsparseL42gtsv_transpose_and_pad_array_shared_kernelILj256ELj32EfEEviiiPKT1_PS1_S1_,comdat
	.globl	_ZN9rocsparseL42gtsv_transpose_and_pad_array_shared_kernelILj256ELj32EfEEviiiPKT1_PS1_S1_ ; -- Begin function _ZN9rocsparseL42gtsv_transpose_and_pad_array_shared_kernelILj256ELj32EfEEviiiPKT1_PS1_S1_
	.p2align	8
	.type	_ZN9rocsparseL42gtsv_transpose_and_pad_array_shared_kernelILj256ELj32EfEEviiiPKT1_PS1_S1_,@function
_ZN9rocsparseL42gtsv_transpose_and_pad_array_shared_kernelILj256ELj32EfEEviiiPKT1_PS1_S1_: ; @_ZN9rocsparseL42gtsv_transpose_and_pad_array_shared_kernelILj256ELj32EfEEviiiPKT1_PS1_S1_
; %bb.0:
	s_load_dwordx4 s[4:7], s[0:1], 0x0
	s_waitcnt lgkmcnt(0)
	s_load_dword s7, s[0:1], 0x20
	v_lshl_or_b32 v1, s2, 8, v0
	v_cmp_gt_i32_e32 vcc, s4, v1
	s_waitcnt lgkmcnt(0)
	v_mov_b32_e32 v4, s7
	s_and_saveexec_b64 s[8:9], vcc
	s_cbranch_execz .LBB49_2
; %bb.1:
	s_load_dwordx2 s[10:11], s[0:1], 0x10
	s_mul_i32 s4, s6, s3
	v_add_u32_e32 v2, s4, v1
	v_ashrrev_i32_e32 v3, 31, v2
	s_waitcnt lgkmcnt(0)
	v_lshl_add_u64 v[2:3], v[2:3], 2, s[10:11]
	global_load_dword v4, v[2:3], off
.LBB49_2:
	s_or_b64 exec, exec, s[8:9]
	v_lshrrev_b32_e32 v2, 3, v0
	v_and_b32_e32 v3, 7, v0
	v_lshlrev_b32_e32 v0, 2, v0
	s_waitcnt vmcnt(0)
	ds_write_b32 v0, v4
	s_lshr_b32 s4, s5, 5
	v_lshl_or_b32 v0, s2, 3, v3
	v_mad_u64_u32 v[0:1], s[6:7], s4, v2, v[0:1]
	v_cmp_gt_i32_e32 vcc, s5, v0
	s_waitcnt lgkmcnt(0)
	s_barrier
	s_and_saveexec_b64 s[6:7], vcc
	s_cbranch_execz .LBB49_4
; %bb.3:
	v_lshlrev_b32_e32 v1, 2, v2
	s_load_dwordx2 s[0:1], s[0:1], 0x18
	v_lshl_or_b32 v1, v3, 7, v1
	ds_read_b32 v2, v1
	s_mul_i32 s2, s5, s3
	v_add_u32_e32 v0, s2, v0
	v_ashrrev_i32_e32 v1, 31, v0
	s_waitcnt lgkmcnt(0)
	v_lshl_add_u64 v[0:1], v[0:1], 2, s[0:1]
	global_store_dword v[0:1], v2, off
.LBB49_4:
	s_endpgm
	.section	.rodata,"a",@progbits
	.p2align	6, 0x0
	.amdhsa_kernel _ZN9rocsparseL42gtsv_transpose_and_pad_array_shared_kernelILj256ELj32EfEEviiiPKT1_PS1_S1_
		.amdhsa_group_segment_fixed_size 1024
		.amdhsa_private_segment_fixed_size 0
		.amdhsa_kernarg_size 36
		.amdhsa_user_sgpr_count 2
		.amdhsa_user_sgpr_dispatch_ptr 0
		.amdhsa_user_sgpr_queue_ptr 0
		.amdhsa_user_sgpr_kernarg_segment_ptr 1
		.amdhsa_user_sgpr_dispatch_id 0
		.amdhsa_user_sgpr_kernarg_preload_length 0
		.amdhsa_user_sgpr_kernarg_preload_offset 0
		.amdhsa_user_sgpr_private_segment_size 0
		.amdhsa_uses_dynamic_stack 0
		.amdhsa_enable_private_segment 0
		.amdhsa_system_sgpr_workgroup_id_x 1
		.amdhsa_system_sgpr_workgroup_id_y 1
		.amdhsa_system_sgpr_workgroup_id_z 0
		.amdhsa_system_sgpr_workgroup_info 0
		.amdhsa_system_vgpr_workitem_id 0
		.amdhsa_next_free_vgpr 5
		.amdhsa_next_free_sgpr 12
		.amdhsa_accum_offset 8
		.amdhsa_reserve_vcc 1
		.amdhsa_float_round_mode_32 0
		.amdhsa_float_round_mode_16_64 0
		.amdhsa_float_denorm_mode_32 3
		.amdhsa_float_denorm_mode_16_64 3
		.amdhsa_dx10_clamp 1
		.amdhsa_ieee_mode 1
		.amdhsa_fp16_overflow 0
		.amdhsa_tg_split 0
		.amdhsa_exception_fp_ieee_invalid_op 0
		.amdhsa_exception_fp_denorm_src 0
		.amdhsa_exception_fp_ieee_div_zero 0
		.amdhsa_exception_fp_ieee_overflow 0
		.amdhsa_exception_fp_ieee_underflow 0
		.amdhsa_exception_fp_ieee_inexact 0
		.amdhsa_exception_int_div_zero 0
	.end_amdhsa_kernel
	.section	.text._ZN9rocsparseL42gtsv_transpose_and_pad_array_shared_kernelILj256ELj32EfEEviiiPKT1_PS1_S1_,"axG",@progbits,_ZN9rocsparseL42gtsv_transpose_and_pad_array_shared_kernelILj256ELj32EfEEviiiPKT1_PS1_S1_,comdat
.Lfunc_end49:
	.size	_ZN9rocsparseL42gtsv_transpose_and_pad_array_shared_kernelILj256ELj32EfEEviiiPKT1_PS1_S1_, .Lfunc_end49-_ZN9rocsparseL42gtsv_transpose_and_pad_array_shared_kernelILj256ELj32EfEEviiiPKT1_PS1_S1_
                                        ; -- End function
	.set _ZN9rocsparseL42gtsv_transpose_and_pad_array_shared_kernelILj256ELj32EfEEviiiPKT1_PS1_S1_.num_vgpr, 5
	.set _ZN9rocsparseL42gtsv_transpose_and_pad_array_shared_kernelILj256ELj32EfEEviiiPKT1_PS1_S1_.num_agpr, 0
	.set _ZN9rocsparseL42gtsv_transpose_and_pad_array_shared_kernelILj256ELj32EfEEviiiPKT1_PS1_S1_.numbered_sgpr, 12
	.set _ZN9rocsparseL42gtsv_transpose_and_pad_array_shared_kernelILj256ELj32EfEEviiiPKT1_PS1_S1_.num_named_barrier, 0
	.set _ZN9rocsparseL42gtsv_transpose_and_pad_array_shared_kernelILj256ELj32EfEEviiiPKT1_PS1_S1_.private_seg_size, 0
	.set _ZN9rocsparseL42gtsv_transpose_and_pad_array_shared_kernelILj256ELj32EfEEviiiPKT1_PS1_S1_.uses_vcc, 1
	.set _ZN9rocsparseL42gtsv_transpose_and_pad_array_shared_kernelILj256ELj32EfEEviiiPKT1_PS1_S1_.uses_flat_scratch, 0
	.set _ZN9rocsparseL42gtsv_transpose_and_pad_array_shared_kernelILj256ELj32EfEEviiiPKT1_PS1_S1_.has_dyn_sized_stack, 0
	.set _ZN9rocsparseL42gtsv_transpose_and_pad_array_shared_kernelILj256ELj32EfEEviiiPKT1_PS1_S1_.has_recursion, 0
	.set _ZN9rocsparseL42gtsv_transpose_and_pad_array_shared_kernelILj256ELj32EfEEviiiPKT1_PS1_S1_.has_indirect_call, 0
	.section	.AMDGPU.csdata,"",@progbits
; Kernel info:
; codeLenInByte = 220
; TotalNumSgprs: 18
; NumVgprs: 5
; NumAgprs: 0
; TotalNumVgprs: 5
; ScratchSize: 0
; MemoryBound: 0
; FloatMode: 240
; IeeeMode: 1
; LDSByteSize: 1024 bytes/workgroup (compile time only)
; SGPRBlocks: 2
; VGPRBlocks: 0
; NumSGPRsForWavesPerEU: 18
; NumVGPRsForWavesPerEU: 5
; AccumOffset: 8
; Occupancy: 8
; WaveLimiterHint : 0
; COMPUTE_PGM_RSRC2:SCRATCH_EN: 0
; COMPUTE_PGM_RSRC2:USER_SGPR: 2
; COMPUTE_PGM_RSRC2:TRAP_HANDLER: 0
; COMPUTE_PGM_RSRC2:TGID_X_EN: 1
; COMPUTE_PGM_RSRC2:TGID_Y_EN: 1
; COMPUTE_PGM_RSRC2:TGID_Z_EN: 0
; COMPUTE_PGM_RSRC2:TIDIG_COMP_CNT: 0
; COMPUTE_PGM_RSRC3_GFX90A:ACCUM_OFFSET: 1
; COMPUTE_PGM_RSRC3_GFX90A:TG_SPLIT: 0
	.section	.text._ZN9rocsparseL18gtsv_LBM_wv_kernelILj256ELj32EfEEviiiPKT1_S3_S3_PS1_S4_S4_Pi,"axG",@progbits,_ZN9rocsparseL18gtsv_LBM_wv_kernelILj256ELj32EfEEviiiPKT1_S3_S3_PS1_S4_S4_Pi,comdat
	.globl	_ZN9rocsparseL18gtsv_LBM_wv_kernelILj256ELj32EfEEviiiPKT1_S3_S3_PS1_S4_S4_Pi ; -- Begin function _ZN9rocsparseL18gtsv_LBM_wv_kernelILj256ELj32EfEEviiiPKT1_S3_S3_PS1_S4_S4_Pi
	.p2align	8
	.type	_ZN9rocsparseL18gtsv_LBM_wv_kernelILj256ELj32EfEEviiiPKT1_S3_S3_PS1_S4_S4_Pi,@function
_ZN9rocsparseL18gtsv_LBM_wv_kernelILj256ELj32EfEEviiiPKT1_S3_S3_PS1_S4_S4_Pi: ; @_ZN9rocsparseL18gtsv_LBM_wv_kernelILj256ELj32EfEEviiiPKT1_S3_S3_PS1_S4_S4_Pi
; %bb.0:
	s_load_dword s27, s[0:1], 0x0
	v_lshl_or_b32 v0, s2, 8, v0
	s_waitcnt lgkmcnt(0)
	s_lshr_b32 s26, s27, 5
	v_cmp_gt_i32_e32 vcc, s26, v0
	s_and_saveexec_b64 s[2:3], vcc
	s_cbranch_execz .LBB50_30
; %bb.1:
	s_load_dwordx2 s[16:17], s[0:1], 0x10
	s_load_dwordx8 s[8:15], s[0:1], 0x20
	v_ashrrev_i32_e32 v1, 31, v0
	v_lshlrev_b64 v[2:3], 2, v[0:1]
	s_mul_i32 s28, s26, 31
	s_waitcnt lgkmcnt(0)
	v_lshl_add_u64 v[4:5], s[16:17], 0, v[2:3]
	global_load_dword v10, v[4:5], off
	v_add_u32_e32 v4, s28, v0
	v_mov_b32_e32 v5, 0
	v_lshlrev_b64 v[6:7], 2, v[4:5]
	v_lshl_add_u64 v[8:9], s[8:9], 0, v[6:7]
	global_load_dword v4, v[8:9], off
	s_load_dwordx2 s[6:7], s[0:1], 0x40
	v_lshl_add_u64 v[2:3], s[10:11], 0, v[2:3]
	s_cmp_lt_i32 s27, 1
	v_add_u32_e32 v13, s26, v0
	v_lshl_add_u64 v[6:7], s[12:13], 0, v[6:7]
	s_waitcnt vmcnt(1)
	global_store_dword v[2:3], v10, off
	s_waitcnt vmcnt(1)
	global_store_dword v[6:7], v4, off
	v_mov_b32_e32 v4, v5
	s_cbranch_scc1 .LBB50_23
; %bb.2:
	s_load_dwordx2 s[18:19], s[0:1], 0x18
	s_mov_b32 s22, 0x372fe950
	s_mul_i32 s29, s26, 30
	s_lshl_b32 s30, s26, 1
	s_mov_b64 s[20:21], 0
	s_waitcnt lgkmcnt(0)
	v_lshl_add_u64 v[4:5], v[0:1], 2, s[18:19]
	global_load_dword v6, v[4:5], off
	v_add_u32_e32 v1, s26, v13
	v_mov_b32_e32 v4, 0
	s_mov_b32 s23, 0x3fe3c6ef
	v_mov_b32_e32 v24, 2
	v_mov_b32_e32 v25, 1
	s_branch .LBB50_5
.LBB50_3:                               ;   in Loop: Header=BB50_5 Depth=1
	s_or_b64 exec, exec, s[4:5]
	v_fma_f32 v6, -v6, v27, v8
	v_mov_b32_e32 v5, s26
.LBB50_4:                               ;   in Loop: Header=BB50_5 Depth=1
	s_or_b64 exec, exec, s[2:3]
	v_add_u32_e32 v4, v5, v4
	v_cmp_le_i32_e32 vcc, s27, v4
	s_or_b64 s[20:21], vcc, s[20:21]
	s_andn2_b64 exec, exec, s[20:21]
	s_cbranch_execz .LBB50_22
.LBB50_5:                               ; =>This Inner Loop Header: Depth=1
	v_add_u32_e32 v10, v4, v0
	v_ashrrev_i32_e32 v11, 31, v10
	v_lshl_add_u64 v[8:9], v[10:11], 2, s[8:9]
	global_load_dword v9, v[8:9], off
	v_cmp_gt_u32_e64 s[0:1], s28, v4
	v_mov_b32_e32 v7, 0
	s_and_saveexec_b64 s[2:3], s[0:1]
	s_cbranch_execz .LBB50_7
; %bb.6:                                ;   in Loop: Header=BB50_5 Depth=1
	v_add_u32_e32 v14, v13, v4
	v_ashrrev_i32_e32 v15, 31, v14
	v_lshl_add_u64 v[14:15], v[14:15], 2, s[16:17]
	global_load_dword v7, v[14:15], off
.LBB50_7:                               ;   in Loop: Header=BB50_5 Depth=1
	s_or_b64 exec, exec, s[2:3]
	v_mov_b32_e32 v26, 0
	v_mov_b32_e32 v8, 0
	s_and_saveexec_b64 s[2:3], s[0:1]
	s_cbranch_execz .LBB50_9
; %bb.8:                                ;   in Loop: Header=BB50_5 Depth=1
	v_add_u32_e32 v14, v13, v4
	v_ashrrev_i32_e32 v15, 31, v14
	v_lshl_add_u64 v[14:15], v[14:15], 2, s[18:19]
	global_load_dword v8, v[14:15], off
.LBB50_9:                               ;   in Loop: Header=BB50_5 Depth=1
	s_or_b64 exec, exec, s[2:3]
	s_and_saveexec_b64 s[2:3], s[0:1]
	s_cbranch_execz .LBB50_11
; %bb.10:                               ;   in Loop: Header=BB50_5 Depth=1
	v_add_u32_e32 v14, v13, v4
	v_ashrrev_i32_e32 v15, 31, v14
	v_lshl_add_u64 v[14:15], v[14:15], 2, s[8:9]
	global_load_dword v26, v[14:15], off
.LBB50_11:                              ;   in Loop: Header=BB50_5 Depth=1
	s_or_b64 exec, exec, s[2:3]
	v_cmp_gt_u32_e64 s[2:3], s29, v4
	v_mov_b32_e32 v12, 0
	s_and_saveexec_b64 s[4:5], s[2:3]
	s_cbranch_execz .LBB50_13
; %bb.12:                               ;   in Loop: Header=BB50_5 Depth=1
	v_add_u32_e32 v14, v1, v4
	v_ashrrev_i32_e32 v15, 31, v14
	v_lshl_add_u64 v[14:15], v[14:15], 2, s[16:17]
	global_load_dword v12, v[14:15], off
.LBB50_13:                              ;   in Loop: Header=BB50_5 Depth=1
	s_or_b64 exec, exec, s[4:5]
	s_waitcnt vmcnt(0)
	v_cmp_gt_f32_e32 vcc, 0, v7
	v_mul_f32_e32 v27, v9, v7
	v_cmp_ne_u32_e64 s[4:5], s28, v4
	v_cndmask_b32_e64 v5, v7, -v7, vcc
	v_cmp_gt_f32_e32 vcc, 0, v12
	s_nop 1
	v_cndmask_b32_e64 v14, v12, -v12, vcc
	v_cmp_lt_f32_e32 vcc, v5, v14
	s_nop 1
	v_cndmask_b32_e32 v5, v5, v14, vcc
	v_cmp_gt_f32_e32 vcc, 0, v8
	s_nop 1
	v_cndmask_b32_e64 v14, v8, -v8, vcc
	v_cmp_lt_f32_e32 vcc, v14, v5
	s_nop 1
	v_cndmask_b32_e32 v5, v14, v5, vcc
	;; [unrolled: 6-line block ×4, first 2 shown]
	v_cmp_gt_f32_e32 vcc, 0, v6
	v_cvt_f64_f32_e32 v[14:15], v5
	s_nop 0
	v_cndmask_b32_e64 v5, v6, -v6, vcc
	v_cmp_gt_f32_e32 vcc, 0, v27
	v_cvt_f64_f32_e32 v[16:17], v5
	v_mul_f64 v[14:15], v[16:17], v[14:15]
	v_cndmask_b32_e64 v5, v27, -v27, vcc
	v_cvt_f64_f32_e32 v[16:17], v5
	v_mul_f64 v[16:17], v[16:17], s[22:23]
	v_cmp_nge_f64_e32 vcc, v[14:15], v[16:17]
	s_and_b64 s[4:5], s[4:5], vcc
	s_and_saveexec_b64 s[24:25], s[4:5]
	s_xor_b64 s[4:5], exec, s[24:25]
	s_cbranch_execz .LBB50_19
; %bb.14:                               ;   in Loop: Header=BB50_5 Depth=1
	v_add_u32_e32 v16, v13, v4
	v_ashrrev_i32_e32 v17, 31, v16
	v_ashrrev_i32_e32 v5, 31, v4
	v_lshlrev_b64 v[16:17], 2, v[16:17]
	v_lshl_add_u64 v[28:29], v[4:5], 2, v[2:3]
	v_lshl_add_u64 v[20:21], s[10:11], 0, v[16:17]
	v_lshlrev_b64 v[10:11], 2, v[10:11]
	global_load_dword v14, v[28:29], off
	global_load_dword v15, v[20:21], off
	v_lshl_add_u64 v[30:31], s[12:13], 0, v[10:11]
	v_lshl_add_u64 v[18:19], s[12:13], 0, v[16:17]
	global_load_dword v22, v[30:31], off
	global_load_dword v23, v[18:19], off
	v_fma_f32 v5, v6, v8, -v27
	v_div_scale_f32 v36, s[24:25], v5, v5, 1.0
	v_rcp_f32_e32 v37, v36
	v_lshl_add_u64 v[32:33], s[14:15], 0, v[10:11]
	v_lshl_add_u64 v[34:35], s[6:7], 0, v[10:11]
	v_div_scale_f32 v38, vcc, 1.0, v5, 1.0
	v_fma_f32 v10, -v36, v37, 1.0
	v_fmac_f32_e32 v37, v10, v37
	v_mul_f32_e32 v10, v38, v37
	v_fma_f32 v11, -v36, v10, v38
	v_fmac_f32_e32 v10, v11, v37
	v_fma_f32 v11, -v36, v10, v38
	v_div_fmas_f32 v10, v11, v37, v10
	v_mul_f32_e64 v27, v26, -v9
	v_div_fixup_f32 v10, v10, v5, 1.0
	v_mul_f32_e32 v5, v10, v27
	global_store_dword v[32:33], v5, off
	s_waitcnt vmcnt(3)
	v_pk_mul_f32 v[32:33], v[8:9], v[14:15]
	s_nop 0
	v_sub_f32_e32 v5, v32, v33
	v_mul_f32_e32 v5, v10, v5
	s_waitcnt vmcnt(1)
	v_pk_mul_f32 v[8:9], v[8:9], v[22:23]
	s_nop 0
	v_sub_f32_e32 v8, v8, v9
	v_mul_f32_e32 v8, v10, v8
	global_store_dword v[28:29], v5, off
	global_store_dword v[30:31], v8, off
	;; [unrolled: 1-line block ×3, first 2 shown]
	s_and_saveexec_b64 s[24:25], s[0:1]
	s_cbranch_execz .LBB50_16
; %bb.15:                               ;   in Loop: Header=BB50_5 Depth=1
	v_mov_b32_e32 v8, v15
	v_mov_b32_e32 v9, v14
	v_pk_mul_f32 v[8:9], v[6:7], v[8:9]
	s_nop 0
	v_sub_f32_e32 v5, v8, v9
	v_mov_b32_e32 v8, v23
	v_mov_b32_e32 v9, v22
	v_mul_f32_e32 v5, v10, v5
	v_pk_mul_f32 v[8:9], v[6:7], v[8:9]
	global_store_dword v[20:21], v5, off
	v_sub_f32_e32 v5, v8, v9
	v_mul_f32_e32 v5, v10, v5
	global_store_dword v[18:19], v5, off
	v_mul_f32_e32 v5, v6, v26
	v_mul_f32_e32 v5, v10, v5
	v_lshl_add_u64 v[8:9], s[14:15], 0, v[16:17]
	global_store_dword v[8:9], v5, off
	v_lshl_add_u64 v[8:9], s[6:7], 0, v[16:17]
	global_store_dword v[8:9], v24, off
.LBB50_16:                              ;   in Loop: Header=BB50_5 Depth=1
	s_or_b64 exec, exec, s[24:25]
	v_mov_b32_e32 v5, 0
	s_and_saveexec_b64 s[24:25], s[2:3]
	s_cbranch_execz .LBB50_18
; %bb.17:                               ;   in Loop: Header=BB50_5 Depth=1
	v_add_u32_e32 v8, v1, v4
	v_ashrrev_i32_e32 v9, 31, v8
	v_lshlrev_b64 v[8:9], 2, v[8:9]
	v_lshl_add_u64 v[16:17], s[10:11], 0, v[8:9]
	v_lshl_add_u64 v[8:9], s[18:19], 0, v[8:9]
	global_load_dword v11, v[8:9], off
	global_load_dword v5, v[16:17], off
	v_xor_b32_e32 v8, 0x80000000, v7
	v_mov_b32_e32 v9, v6
	v_pk_mul_f32 v[6:7], v[12:13], v[8:9] op_sel_hi:[0,1]
	v_mul_f32_e32 v12, v26, v7
	s_waitcnt vmcnt(1)
	v_pk_mul_f32 v[8:9], v[6:7], v[10:11] op_sel_hi:[1,0] neg_lo:[0,1]
	s_nop 0
	v_pk_mul_f32 v[6:7], v[8:9], v[14:15]
	s_nop 0
	v_sub_f32_e32 v6, v6, v7
	s_waitcnt vmcnt(0)
	v_add_f32_e32 v5, v6, v5
	global_store_dword v[16:17], v5, off
	v_fma_f32 v5, -v10, v12, v11
.LBB50_18:                              ;   in Loop: Header=BB50_5 Depth=1
	s_or_b64 exec, exec, s[24:25]
	v_mov_b32_e32 v6, v5
                                        ; implicit-def: $vgpr27
                                        ; implicit-def: $vgpr8
                                        ; implicit-def: $vgpr10_vgpr11
.LBB50_19:                              ;   in Loop: Header=BB50_5 Depth=1
	s_or_saveexec_b64 s[2:3], s[4:5]
	v_mov_b32_e32 v5, s30
	s_xor_b64 exec, exec, s[2:3]
	s_cbranch_execz .LBB50_4
; %bb.20:                               ;   in Loop: Header=BB50_5 Depth=1
	v_ashrrev_i32_e32 v5, 31, v4
	v_lshl_add_u64 v[14:15], v[4:5], 2, v[2:3]
	v_lshlrev_b64 v[10:11], 2, v[10:11]
	global_load_dword v5, v[14:15], off
	v_lshl_add_u64 v[16:17], s[12:13], 0, v[10:11]
	global_load_dword v12, v[16:17], off
	v_div_scale_f32 v20, s[4:5], v6, v6, 1.0
	v_rcp_f32_e32 v21, v20
	v_div_scale_f32 v22, vcc, 1.0, v6, 1.0
	v_lshl_add_u64 v[18:19], s[14:15], 0, v[10:11]
	v_fma_f32 v23, -v20, v21, 1.0
	v_fmac_f32_e32 v21, v23, v21
	v_mul_f32_e32 v23, v22, v21
	v_fma_f32 v26, -v20, v23, v22
	v_fmac_f32_e32 v23, v26, v21
	v_fma_f32 v20, -v20, v23, v22
	v_div_fmas_f32 v20, v20, v21, v23
	v_div_fixup_f32 v6, v20, v6, 1.0
	v_mul_f32_e32 v9, v6, v9
	global_store_dword v[18:19], v9, off
	v_lshl_add_u64 v[10:11], s[6:7], 0, v[10:11]
	s_waitcnt vmcnt(2)
	v_mul_f32_e32 v9, v6, v5
	s_waitcnt vmcnt(1)
	v_mul_f32_e32 v12, v6, v12
	global_store_dword v[14:15], v9, off
	global_store_dword v[16:17], v12, off
	;; [unrolled: 1-line block ×3, first 2 shown]
	s_and_saveexec_b64 s[4:5], s[0:1]
	s_cbranch_execz .LBB50_3
; %bb.21:                               ;   in Loop: Header=BB50_5 Depth=1
	v_add_u32_e32 v10, v13, v4
	v_ashrrev_i32_e32 v11, 31, v10
	v_lshl_add_u64 v[10:11], v[10:11], 2, s[10:11]
	global_load_dword v9, v[10:11], off
	v_mul_f32_e32 v7, v7, v6
	s_waitcnt vmcnt(0)
	v_fma_f32 v5, -v7, v5, v9
	global_store_dword v[10:11], v5, off
	s_branch .LBB50_3
.LBB50_22:
	s_or_b64 exec, exec, s[20:21]
.LBB50_23:
	v_subrev_u32_e32 v1, s26, v4
	v_add_u32_e32 v4, v1, v0
	v_ashrrev_i32_e32 v5, 31, v4
	s_waitcnt lgkmcnt(0)
	v_lshl_add_u64 v[4:5], v[4:5], 2, s[6:7]
	buffer_wbl2 sc1
	s_waitcnt vmcnt(0)
	buffer_inv sc1
	global_load_dword v4, v[4:5], off
	s_waitcnt vmcnt(0)
	v_mul_lo_u32 v4, v4, s26
	v_sub_u32_e32 v4, v1, v4
	v_cmp_lt_i32_e32 vcc, -1, v4
	s_and_b64 exec, exec, vcc
	s_cbranch_execz .LBB50_30
; %bb.24:
	v_subrev_u32_e32 v1, s26, v0
	s_lshl_b32 s4, s26, 1
	s_mov_b64 s[0:1], 0
	s_branch .LBB50_26
.LBB50_25:                              ;   in Loop: Header=BB50_26 Depth=1
	s_or_b64 exec, exec, s[2:3]
	v_sub_u32_e32 v4, v4, v5
	v_cmp_gt_i32_e32 vcc, 0, v4
	s_or_b64 s[0:1], vcc, s[0:1]
	s_andn2_b64 exec, exec, s[0:1]
	s_cbranch_execz .LBB50_30
.LBB50_26:                              ; =>This Inner Loop Header: Depth=1
	v_add_u32_e32 v6, v4, v0
	v_ashrrev_i32_e32 v7, 31, v6
	s_waitcnt vmcnt(0)
	v_lshlrev_b64 v[8:9], 2, v[6:7]
	v_lshl_add_u64 v[10:11], s[6:7], 0, v[8:9]
	global_load_dword v5, v[10:11], off
	v_lshl_add_u64 v[8:9], s[14:15], 0, v[8:9]
	global_load_dword v8, v[8:9], off
	s_waitcnt vmcnt(1)
	v_cmp_ne_u32_e32 vcc, 1, v5
	s_and_saveexec_b64 s[2:3], vcc
	s_xor_b64 s[2:3], exec, s[2:3]
	s_cbranch_execz .LBB50_28
; %bb.27:                               ;   in Loop: Header=BB50_26 Depth=1
	v_add_u32_e32 v10, v13, v4
	v_ashrrev_i32_e32 v11, 31, v10
	v_lshlrev_b64 v[10:11], 2, v[10:11]
	v_lshl_add_u64 v[14:15], s[10:11], 0, v[10:11]
	v_ashrrev_i32_e32 v5, 31, v4
	v_lshl_add_u64 v[16:17], v[4:5], 2, v[2:3]
	global_load_dword v5, v[14:15], off
	global_load_dword v9, v[16:17], off
	v_lshl_add_u64 v[10:11], s[12:13], 0, v[10:11]
	v_lshl_add_u64 v[6:7], v[6:7], 2, s[12:13]
	global_load_dword v12, v[10:11], off
	global_load_dword v24, v[6:7], off
	v_add_u32_e32 v18, v1, v4
	v_ashrrev_i32_e32 v19, 31, v18
	v_lshlrev_b64 v[18:19], 2, v[18:19]
	v_lshl_add_u64 v[20:21], s[14:15], 0, v[18:19]
	global_load_dword v20, v[20:21], off
	v_lshl_add_u64 v[22:23], s[10:11], 0, v[18:19]
	v_lshl_add_u64 v[18:19], s[12:13], 0, v[18:19]
	s_waitcnt vmcnt(3)
	v_fma_f32 v5, -v8, v5, v9
	s_waitcnt vmcnt(1)
	v_fma_f32 v8, -v8, v12, v24
	global_store_dword v[16:17], v5, off
	global_store_dword v[6:7], v8, off
	global_load_dword v5, v[14:15], off
	s_nop 0
	global_load_dword v6, v[22:23], off
	global_load_dword v7, v[10:11], off
	;; [unrolled: 1-line block ×3, first 2 shown]
	s_waitcnt vmcnt(2)
	v_fma_f32 v5, -v20, v5, v6
	s_waitcnt vmcnt(0)
	v_fma_f32 v6, -v20, v7, v8
	global_store_dword v[22:23], v5, off
	global_store_dword v[18:19], v6, off
                                        ; implicit-def: $vgpr8
                                        ; implicit-def: $vgpr6_vgpr7
.LBB50_28:                              ;   in Loop: Header=BB50_26 Depth=1
	s_or_saveexec_b64 s[2:3], s[2:3]
	v_mov_b32_e32 v5, s4
	s_xor_b64 exec, exec, s[2:3]
	s_cbranch_execz .LBB50_25
; %bb.29:                               ;   in Loop: Header=BB50_26 Depth=1
	v_add_u32_e32 v10, v13, v4
	v_ashrrev_i32_e32 v11, 31, v10
	v_lshlrev_b64 v[10:11], 2, v[10:11]
	v_lshl_add_u64 v[14:15], s[10:11], 0, v[10:11]
	v_ashrrev_i32_e32 v5, 31, v4
	v_lshl_add_u64 v[16:17], v[4:5], 2, v[2:3]
	global_load_dword v5, v[14:15], off
	global_load_dword v9, v[16:17], off
	v_lshl_add_u64 v[10:11], s[12:13], 0, v[10:11]
	v_lshl_add_u64 v[6:7], v[6:7], 2, s[12:13]
	global_load_dword v12, v[10:11], off
	global_load_dword v14, v[6:7], off
	s_waitcnt vmcnt(2)
	v_fma_f32 v5, -v8, v5, v9
	s_waitcnt vmcnt(0)
	v_fma_f32 v8, -v8, v12, v14
	global_store_dword v[16:17], v5, off
	global_store_dword v[6:7], v8, off
	v_mov_b32_e32 v5, s26
	s_branch .LBB50_25
.LBB50_30:
	s_endpgm
	.section	.rodata,"a",@progbits
	.p2align	6, 0x0
	.amdhsa_kernel _ZN9rocsparseL18gtsv_LBM_wv_kernelILj256ELj32EfEEviiiPKT1_S3_S3_PS1_S4_S4_Pi
		.amdhsa_group_segment_fixed_size 0
		.amdhsa_private_segment_fixed_size 0
		.amdhsa_kernarg_size 72
		.amdhsa_user_sgpr_count 2
		.amdhsa_user_sgpr_dispatch_ptr 0
		.amdhsa_user_sgpr_queue_ptr 0
		.amdhsa_user_sgpr_kernarg_segment_ptr 1
		.amdhsa_user_sgpr_dispatch_id 0
		.amdhsa_user_sgpr_kernarg_preload_length 0
		.amdhsa_user_sgpr_kernarg_preload_offset 0
		.amdhsa_user_sgpr_private_segment_size 0
		.amdhsa_uses_dynamic_stack 0
		.amdhsa_enable_private_segment 0
		.amdhsa_system_sgpr_workgroup_id_x 1
		.amdhsa_system_sgpr_workgroup_id_y 0
		.amdhsa_system_sgpr_workgroup_id_z 0
		.amdhsa_system_sgpr_workgroup_info 0
		.amdhsa_system_vgpr_workitem_id 0
		.amdhsa_next_free_vgpr 39
		.amdhsa_next_free_sgpr 31
		.amdhsa_accum_offset 40
		.amdhsa_reserve_vcc 1
		.amdhsa_float_round_mode_32 0
		.amdhsa_float_round_mode_16_64 0
		.amdhsa_float_denorm_mode_32 3
		.amdhsa_float_denorm_mode_16_64 3
		.amdhsa_dx10_clamp 1
		.amdhsa_ieee_mode 1
		.amdhsa_fp16_overflow 0
		.amdhsa_tg_split 0
		.amdhsa_exception_fp_ieee_invalid_op 0
		.amdhsa_exception_fp_denorm_src 0
		.amdhsa_exception_fp_ieee_div_zero 0
		.amdhsa_exception_fp_ieee_overflow 0
		.amdhsa_exception_fp_ieee_underflow 0
		.amdhsa_exception_fp_ieee_inexact 0
		.amdhsa_exception_int_div_zero 0
	.end_amdhsa_kernel
	.section	.text._ZN9rocsparseL18gtsv_LBM_wv_kernelILj256ELj32EfEEviiiPKT1_S3_S3_PS1_S4_S4_Pi,"axG",@progbits,_ZN9rocsparseL18gtsv_LBM_wv_kernelILj256ELj32EfEEviiiPKT1_S3_S3_PS1_S4_S4_Pi,comdat
.Lfunc_end50:
	.size	_ZN9rocsparseL18gtsv_LBM_wv_kernelILj256ELj32EfEEviiiPKT1_S3_S3_PS1_S4_S4_Pi, .Lfunc_end50-_ZN9rocsparseL18gtsv_LBM_wv_kernelILj256ELj32EfEEviiiPKT1_S3_S3_PS1_S4_S4_Pi
                                        ; -- End function
	.set _ZN9rocsparseL18gtsv_LBM_wv_kernelILj256ELj32EfEEviiiPKT1_S3_S3_PS1_S4_S4_Pi.num_vgpr, 39
	.set _ZN9rocsparseL18gtsv_LBM_wv_kernelILj256ELj32EfEEviiiPKT1_S3_S3_PS1_S4_S4_Pi.num_agpr, 0
	.set _ZN9rocsparseL18gtsv_LBM_wv_kernelILj256ELj32EfEEviiiPKT1_S3_S3_PS1_S4_S4_Pi.numbered_sgpr, 31
	.set _ZN9rocsparseL18gtsv_LBM_wv_kernelILj256ELj32EfEEviiiPKT1_S3_S3_PS1_S4_S4_Pi.num_named_barrier, 0
	.set _ZN9rocsparseL18gtsv_LBM_wv_kernelILj256ELj32EfEEviiiPKT1_S3_S3_PS1_S4_S4_Pi.private_seg_size, 0
	.set _ZN9rocsparseL18gtsv_LBM_wv_kernelILj256ELj32EfEEviiiPKT1_S3_S3_PS1_S4_S4_Pi.uses_vcc, 1
	.set _ZN9rocsparseL18gtsv_LBM_wv_kernelILj256ELj32EfEEviiiPKT1_S3_S3_PS1_S4_S4_Pi.uses_flat_scratch, 0
	.set _ZN9rocsparseL18gtsv_LBM_wv_kernelILj256ELj32EfEEviiiPKT1_S3_S3_PS1_S4_S4_Pi.has_dyn_sized_stack, 0
	.set _ZN9rocsparseL18gtsv_LBM_wv_kernelILj256ELj32EfEEviiiPKT1_S3_S3_PS1_S4_S4_Pi.has_recursion, 0
	.set _ZN9rocsparseL18gtsv_LBM_wv_kernelILj256ELj32EfEEviiiPKT1_S3_S3_PS1_S4_S4_Pi.has_indirect_call, 0
	.section	.AMDGPU.csdata,"",@progbits
; Kernel info:
; codeLenInByte = 2120
; TotalNumSgprs: 37
; NumVgprs: 39
; NumAgprs: 0
; TotalNumVgprs: 39
; ScratchSize: 0
; MemoryBound: 0
; FloatMode: 240
; IeeeMode: 1
; LDSByteSize: 0 bytes/workgroup (compile time only)
; SGPRBlocks: 4
; VGPRBlocks: 4
; NumSGPRsForWavesPerEU: 37
; NumVGPRsForWavesPerEU: 39
; AccumOffset: 40
; Occupancy: 8
; WaveLimiterHint : 0
; COMPUTE_PGM_RSRC2:SCRATCH_EN: 0
; COMPUTE_PGM_RSRC2:USER_SGPR: 2
; COMPUTE_PGM_RSRC2:TRAP_HANDLER: 0
; COMPUTE_PGM_RSRC2:TGID_X_EN: 1
; COMPUTE_PGM_RSRC2:TGID_Y_EN: 0
; COMPUTE_PGM_RSRC2:TGID_Z_EN: 0
; COMPUTE_PGM_RSRC2:TIDIG_COMP_CNT: 0
; COMPUTE_PGM_RSRC3_GFX90A:ACCUM_OFFSET: 9
; COMPUTE_PGM_RSRC3_GFX90A:TG_SPLIT: 0
	.section	.text._ZN9rocsparseL19gtsv_LBM_rhs_kernelILj256ELj32ELj8EfEEviiiPKT2_S3_S3_PS1_S3_PKi,"axG",@progbits,_ZN9rocsparseL19gtsv_LBM_rhs_kernelILj256ELj32ELj8EfEEviiiPKT2_S3_S3_PS1_S3_PKi,comdat
	.globl	_ZN9rocsparseL19gtsv_LBM_rhs_kernelILj256ELj32ELj8EfEEviiiPKT2_S3_S3_PS1_S3_PKi ; -- Begin function _ZN9rocsparseL19gtsv_LBM_rhs_kernelILj256ELj32ELj8EfEEviiiPKT2_S3_S3_PS1_S3_PKi
	.p2align	8
	.type	_ZN9rocsparseL19gtsv_LBM_rhs_kernelILj256ELj32ELj8EfEEviiiPKT2_S3_S3_PS1_S3_PKi,@function
_ZN9rocsparseL19gtsv_LBM_rhs_kernelILj256ELj32ELj8EfEEviiiPKT2_S3_S3_PS1_S3_PKi: ; @_ZN9rocsparseL19gtsv_LBM_rhs_kernelILj256ELj32ELj8EfEEviiiPKT2_S3_S3_PS1_S3_PKi
; %bb.0:
	s_load_dword s23, s[0:1], 0x0
	v_lshl_or_b32 v0, s2, 8, v0
	s_waitcnt lgkmcnt(0)
	s_lshr_b32 s22, s23, 5
	v_cmp_gt_i32_e32 vcc, s22, v0
	s_and_saveexec_b64 s[4:5], vcc
	s_cbranch_execz .LBB51_29
; %bb.1:
	s_load_dwordx4 s[8:11], s[0:1], 0x28
	s_load_dwordx2 s[6:7], s[0:1], 0x38
	s_cmp_lt_i32 s23, 1
	v_add_u32_e32 v20, s22, v0
	s_mul_i32 s24, s3, s23
	s_cbranch_scc1 .LBB51_21
; %bb.2:
	s_load_dwordx4 s[12:15], s[0:1], 0x10
	s_load_dwordx2 s[16:17], s[0:1], 0x20
	v_ashrrev_i32_e32 v1, 31, v0
	s_lshl_b32 s28, s24, 3
	s_add_i32 s29, s28, s23
	s_waitcnt lgkmcnt(0)
	v_lshl_add_u64 v[2:3], v[0:1], 2, s[14:15]
	global_load_dword v23, v[2:3], off
	s_add_i32 s30, s29, s23
	s_add_i32 s31, s30, s23
	;; [unrolled: 1-line block ×5, first 2 shown]
	s_mul_i32 s25, s22, 31
	s_mul_i32 s26, s22, 30
	s_lshl_b32 s27, s22, 1
	v_add_u32_e32 v1, s22, v20
	s_add_i32 s36, s35, s23
	v_mov_b32_e32 v3, 0
	s_mov_b64 s[18:19], 0
	v_mov_b32_e32 v21, 0
	s_branch .LBB51_5
.LBB51_3:                               ;   in Loop: Header=BB51_5 Depth=1
	s_or_b64 exec, exec, s[4:5]
	v_fma_f32 v23, -v23, v28, v24
	v_mov_b32_e32 v2, s22
.LBB51_4:                               ;   in Loop: Header=BB51_5 Depth=1
	s_or_b64 exec, exec, s[2:3]
	v_add_u32_e32 v21, v2, v21
	v_cmp_le_i32_e32 vcc, s23, v21
	s_or_b64 s[18:19], vcc, s[18:19]
	s_andn2_b64 exec, exec, s[18:19]
	s_cbranch_execz .LBB51_20
.LBB51_5:                               ; =>This Inner Loop Header: Depth=1
	v_add_u32_e32 v18, v21, v0
	v_ashrrev_i32_e32 v19, 31, v18
	v_lshl_add_u64 v[4:5], v[18:19], 2, s[16:17]
	global_load_dword v26, v[4:5], off
	v_cmp_gt_u32_e64 s[0:1], s25, v21
	v_mov_b32_e32 v22, 0
	s_and_saveexec_b64 s[2:3], s[0:1]
	s_cbranch_execz .LBB51_7
; %bb.6:                                ;   in Loop: Header=BB51_5 Depth=1
	v_add_u32_e32 v4, v20, v21
	v_ashrrev_i32_e32 v5, 31, v4
	v_lshl_add_u64 v[4:5], v[4:5], 2, s[12:13]
	global_load_dword v22, v[4:5], off
.LBB51_7:                               ;   in Loop: Header=BB51_5 Depth=1
	s_or_b64 exec, exec, s[2:3]
	v_mov_b32_e32 v25, 0
	v_mov_b32_e32 v24, 0
	s_and_saveexec_b64 s[2:3], s[0:1]
	s_cbranch_execz .LBB51_9
; %bb.8:                                ;   in Loop: Header=BB51_5 Depth=1
	v_add_u32_e32 v4, v20, v21
	v_ashrrev_i32_e32 v5, 31, v4
	v_lshl_add_u64 v[4:5], v[4:5], 2, s[14:15]
	global_load_dword v24, v[4:5], off
.LBB51_9:                               ;   in Loop: Header=BB51_5 Depth=1
	s_or_b64 exec, exec, s[2:3]
	s_and_saveexec_b64 s[2:3], s[0:1]
	s_cbranch_execz .LBB51_11
; %bb.10:                               ;   in Loop: Header=BB51_5 Depth=1
	v_add_u32_e32 v4, v20, v21
	v_ashrrev_i32_e32 v5, 31, v4
	v_lshl_add_u64 v[4:5], v[4:5], 2, s[16:17]
	global_load_dword v25, v[4:5], off
.LBB51_11:                              ;   in Loop: Header=BB51_5 Depth=1
	s_or_b64 exec, exec, s[2:3]
	v_cmp_gt_u32_e64 s[2:3], s26, v21
	v_mov_b32_e32 v27, 0
	s_and_saveexec_b64 s[4:5], s[2:3]
	s_cbranch_execz .LBB51_13
; %bb.12:                               ;   in Loop: Header=BB51_5 Depth=1
	v_add_u32_e32 v4, v1, v21
	v_ashrrev_i32_e32 v5, 31, v4
	v_lshl_add_u64 v[4:5], v[4:5], 2, s[12:13]
	global_load_dword v27, v[4:5], off
.LBB51_13:                              ;   in Loop: Header=BB51_5 Depth=1
	s_or_b64 exec, exec, s[4:5]
	v_add_u32_e32 v2, s28, v18
	v_lshl_add_u64 v[16:17], v[2:3], 2, s[8:9]
	v_add_u32_e32 v2, s29, v18
	v_lshl_add_u64 v[4:5], v[18:19], 2, s[6:7]
	v_lshl_add_u64 v[12:13], v[2:3], 2, s[8:9]
	v_add_u32_e32 v2, s30, v18
	global_load_dword v28, v[4:5], off
	v_lshl_add_u64 v[4:5], v[2:3], 2, s[8:9]
	v_add_u32_e32 v2, s31, v18
	v_lshl_add_u64 v[6:7], v[2:3], 2, s[8:9]
	v_add_u32_e32 v2, s33, v18
	;; [unrolled: 2-line block ×5, first 2 shown]
	v_lshl_add_u64 v[18:19], v[2:3], 2, s[8:9]
	global_load_dword v29, v[16:17], off
	global_load_dword v30, v[12:13], off
	;; [unrolled: 1-line block ×8, first 2 shown]
	v_cmp_ne_u32_e64 s[4:5], s25, v21
	s_waitcnt vmcnt(8)
	v_cmp_ne_u32_e32 vcc, 1, v28
	s_and_b64 s[4:5], s[4:5], vcc
	v_mul_f32_e32 v28, v26, v22
	s_and_saveexec_b64 s[20:21], s[4:5]
	s_xor_b64 s[4:5], exec, s[20:21]
	s_cbranch_execz .LBB51_17
; %bb.14:                               ;   in Loop: Header=BB51_5 Depth=1
	v_fma_f32 v28, v23, v24, -v28
	v_div_scale_f32 v37, s[20:21], v28, v28, 1.0
	v_rcp_f32_e32 v38, v37
	v_add_u32_e32 v39, v20, v21
	v_add_u32_e32 v2, s28, v39
	v_lshl_add_u64 v[40:41], v[2:3], 2, s[8:9]
	global_load_dword v56, v[40:41], off
	v_fma_f32 v2, -v37, v38, 1.0
	v_fmac_f32_e32 v38, v2, v38
	v_add_u32_e32 v2, s29, v39
	v_lshl_add_u64 v[42:43], v[2:3], 2, s[8:9]
	v_add_u32_e32 v2, s30, v39
	global_load_dword v57, v[42:43], off
	v_lshl_add_u64 v[44:45], v[2:3], 2, s[8:9]
	v_add_u32_e32 v2, s31, v39
	v_div_scale_f32 v54, vcc, 1.0, v28, 1.0
	v_lshl_add_u64 v[46:47], v[2:3], 2, s[8:9]
	v_add_u32_e32 v2, s33, v39
	global_load_dword v58, v[44:45], off
	global_load_dword v59, v[46:47], off
	v_lshl_add_u64 v[48:49], v[2:3], 2, s[8:9]
	v_mul_f32_e32 v61, v54, v38
	v_add_u32_e32 v2, s34, v39
	v_lshl_add_u64 v[50:51], v[2:3], 2, s[8:9]
	v_fma_f32 v2, -v37, v61, v54
	global_load_dword v60, v[48:49], off
	global_load_dword v62, v[50:51], off
	v_fmac_f32_e32 v61, v2, v38
	v_add_u32_e32 v2, s35, v39
	v_lshl_add_u64 v[52:53], v[2:3], 2, s[8:9]
	v_add_u32_e32 v2, s36, v39
	global_load_dword v63, v[52:53], off
	v_fma_f32 v37, -v37, v61, v54
	v_lshl_add_u64 v[54:55], v[2:3], 2, s[8:9]
	global_load_dword v2, v[54:55], off
	v_div_fmas_f32 v37, v37, v38, v61
	v_div_fixup_f32 v28, v37, v28, 1.0
	s_waitcnt vmcnt(14)
	v_mul_f32_e32 v37, v28, v30
	s_waitcnt vmcnt(9)
	v_mul_f32_e32 v30, v28, v35
	v_mul_f32_e32 v39, v28, v29
	v_mul_f32_e32 v38, v28, v31
	v_mul_f32_e32 v31, v28, v34
	v_mul_f32_e32 v34, v22, v39
	v_mul_f32_e32 v32, v28, v32
	v_mul_f32_e32 v33, v28, v33
	s_waitcnt vmcnt(8)
	v_mul_f32_e32 v29, v28, v36
	v_mul_f32_e32 v36, v22, v37
	s_waitcnt vmcnt(7)
	v_mul_f32_e32 v35, v28, v56
	v_mul_f32_e32 v56, v26, v35
	v_fma_f32 v56, v24, v39, -v56
	global_store_dword v[16:17], v56, off
	v_fma_f32 v61, v23, v35, -v34
	v_mul_f32_e32 v16, v22, v38
	s_waitcnt vmcnt(7)
	v_mul_f32_e32 v17, v28, v57
	v_mul_f32_e32 v57, v26, v17
	v_fma_f32 v57, v24, v37, -v57
	global_store_dword v[12:13], v57, off
	v_mul_f32_e32 v56, v22, v32
	v_mul_f32_e32 v57, v22, v33
	v_fma_f32 v36, v23, v17, -v36
	s_waitcnt vmcnt(7)
	v_mul_f32_e32 v34, v28, v58
	s_waitcnt vmcnt(6)
	v_mul_f32_e32 v13, v28, v59
	v_mul_f32_e32 v12, v26, v34
	v_fma_f32 v58, v23, v34, -v16
	v_fma_f32 v59, v24, v38, -v12
	global_store_dword v[4:5], v59, off
	v_fma_f32 v56, v23, v13, -v56
	s_waitcnt vmcnt(6)
	v_mul_f32_e32 v16, v28, v60
	v_mul_f32_e32 v60, v26, v13
	s_waitcnt vmcnt(5)
	v_mul_f32_e32 v12, v28, v62
	v_fma_f32 v4, v24, v32, -v60
	v_mul_f32_e32 v59, v26, v16
	global_store_dword v[6:7], v4, off
	s_waitcnt vmcnt(5)
	v_mul_f32_e32 v5, v28, v63
	v_fma_f32 v6, v24, v33, -v59
	v_mul_f32_e32 v7, v26, v12
	s_waitcnt vmcnt(4)
	v_mul_f32_e32 v4, v28, v2
	global_store_dword v[8:9], v6, off
	v_fma_f32 v2, v24, v31, -v7
	v_mul_f32_e32 v6, v26, v5
	global_store_dword v[10:11], v2, off
	v_fma_f32 v2, v24, v30, -v6
	;; [unrolled: 3-line block ×3, first 2 shown]
	v_fma_f32 v57, v23, v16, -v57
	global_store_dword v[18:19], v2, off
	global_store_dword v[40:41], v61, off
	;; [unrolled: 1-line block ×6, first 2 shown]
	v_mul_f32_e32 v2, v22, v31
	v_fma_f32 v2, v23, v12, -v2
	global_store_dword v[50:51], v2, off
	v_mul_f32_e32 v2, v22, v30
	v_fma_f32 v2, v23, v5, -v2
	global_store_dword v[52:53], v2, off
	;; [unrolled: 3-line block ×3, first 2 shown]
	v_mov_b32_e32 v2, 0
	s_and_saveexec_b64 s[20:21], s[2:3]
	s_cbranch_execz .LBB51_16
; %bb.15:                               ;   in Loop: Header=BB51_5 Depth=1
	v_add_u32_e32 v6, v1, v21
	v_add_u32_e32 v2, s28, v6
	v_lshl_add_u64 v[8:9], v[2:3], 2, s[8:9]
	global_load_dword v7, v[8:9], off
	v_mul_f32_e32 v23, v23, v27
	v_mul_f32_e32 v22, v22, v27
	v_mul_f32_e32 v2, v23, v35
	v_fma_f32 v18, v22, v39, -v2
	v_add_u32_e32 v2, s29, v6
	v_lshl_add_u64 v[10:11], v[2:3], 2, s[8:9]
	v_add_u32_e32 v2, s30, v6
	global_load_dword v24, v[10:11], off
	v_lshl_add_u64 v[14:15], v[2:3], 2, s[8:9]
	v_mul_f32_e32 v4, v23, v4
	v_fma_f32 v4, v22, v29, -v4
	s_waitcnt vmcnt(1)
	v_add_f32_e32 v2, v18, v7
	global_store_dword v[8:9], v2, off
	global_load_dword v7, v[14:15], off
	v_mul_f32_e32 v2, v23, v17
	v_mul_f32_e32 v8, v23, v34
	v_fma_f32 v17, v22, v37, -v2
	v_add_u32_e32 v2, s31, v6
	v_fma_f32 v26, v22, v38, -v8
	v_lshl_add_u64 v[8:9], v[2:3], 2, s[8:9]
	v_add_u32_e32 v2, s33, v6
	v_lshl_add_u64 v[18:19], v[2:3], 2, s[8:9]
	s_waitcnt vmcnt(2)
	v_add_f32_e32 v2, v17, v24
	global_store_dword v[10:11], v2, off
	global_load_dword v17, v[8:9], off
	v_mul_f32_e32 v10, v23, v16
	s_waitcnt vmcnt(2)
	v_add_f32_e32 v2, v26, v7
	global_store_dword v[14:15], v2, off
	global_load_dword v7, v[18:19], off
	v_mul_f32_e32 v2, v23, v13
	v_fma_f32 v13, v22, v32, -v2
	v_add_u32_e32 v2, s34, v6
	v_fma_f32 v14, v22, v33, -v10
	v_lshl_add_u64 v[10:11], v[2:3], 2, s[8:9]
	s_waitcnt vmcnt(2)
	v_add_f32_e32 v2, v13, v17
	global_store_dword v[8:9], v2, off
	s_waitcnt vmcnt(1)
	v_add_f32_e32 v2, v14, v7
	global_store_dword v[18:19], v2, off
	global_load_dword v7, v[10:11], off
	v_mul_f32_e32 v2, v23, v12
	v_fma_f32 v12, v22, v31, -v2
	v_add_u32_e32 v2, s35, v6
	v_lshl_add_u64 v[8:9], v[2:3], 2, s[8:9]
	s_waitcnt vmcnt(0)
	v_add_f32_e32 v2, v12, v7
	global_store_dword v[10:11], v2, off
	global_load_dword v12, v[8:9], off
	v_mul_f32_e32 v2, v23, v5
	v_fma_f32 v5, v22, v30, -v2
	v_add_u32_e32 v2, s36, v6
	v_lshl_add_u64 v[10:11], v[2:3], 2, s[8:9]
	v_ashrrev_i32_e32 v7, 31, v6
	v_lshl_add_u64 v[6:7], v[6:7], 2, s[14:15]
	s_waitcnt vmcnt(0)
	v_add_f32_e32 v2, v5, v12
	global_store_dword v[8:9], v2, off
	global_load_dword v2, v[10:11], off
	s_waitcnt vmcnt(0)
	v_add_f32_e32 v2, v4, v2
	global_load_dword v5, v[6:7], off
	v_mul_f32_e32 v6, v25, v23
	global_store_dword v[10:11], v2, off
	s_waitcnt vmcnt(1)
	v_fma_f32 v2, -v28, v6, v5
.LBB51_16:                              ;   in Loop: Header=BB51_5 Depth=1
	s_or_b64 exec, exec, s[20:21]
	v_mov_b32_e32 v23, v2
                                        ; implicit-def: $vgpr22
                                        ; implicit-def: $vgpr24
                                        ; implicit-def: $vgpr28
                                        ; implicit-def: $vgpr16_vgpr17
                                        ; implicit-def: $vgpr29
                                        ; implicit-def: $vgpr12_vgpr13
                                        ; implicit-def: $vgpr30
                                        ; implicit-def: $vgpr4_vgpr5
                                        ; implicit-def: $vgpr31
                                        ; implicit-def: $vgpr6_vgpr7
                                        ; implicit-def: $vgpr32
                                        ; implicit-def: $vgpr8_vgpr9
                                        ; implicit-def: $vgpr33
                                        ; implicit-def: $vgpr10_vgpr11
                                        ; implicit-def: $vgpr34
                                        ; implicit-def: $vgpr14_vgpr15
                                        ; implicit-def: $vgpr35
                                        ; implicit-def: $vgpr18_vgpr19
                                        ; implicit-def: $vgpr36
.LBB51_17:                              ;   in Loop: Header=BB51_5 Depth=1
	s_or_saveexec_b64 s[2:3], s[4:5]
	v_mov_b32_e32 v2, s27
	s_xor_b64 exec, exec, s[2:3]
	s_cbranch_execz .LBB51_4
; %bb.18:                               ;   in Loop: Header=BB51_5 Depth=1
	v_div_scale_f32 v2, s[4:5], v23, v23, 1.0
	v_rcp_f32_e32 v25, v2
	v_div_scale_f32 v26, vcc, 1.0, v23, 1.0
	v_fma_f32 v27, -v2, v25, 1.0
	v_fmac_f32_e32 v25, v27, v25
	v_mul_f32_e32 v27, v26, v25
	v_fma_f32 v37, -v2, v27, v26
	v_fmac_f32_e32 v27, v37, v25
	v_fma_f32 v2, -v2, v27, v26
	v_div_fmas_f32 v2, v2, v25, v27
	v_div_fixup_f32 v23, v2, v23, 1.0
	s_waitcnt vmcnt(7)
	v_mul_f32_e32 v38, v23, v29
	s_waitcnt vmcnt(6)
	v_mul_f32_e32 v37, v23, v30
	;; [unrolled: 2-line block ×8, first 2 shown]
	global_store_dword v[16:17], v38, off
	global_store_dword v[12:13], v37, off
	global_store_dword v[4:5], v31, off
	global_store_dword v[6:7], v30, off
	global_store_dword v[8:9], v29, off
	global_store_dword v[10:11], v27, off
	global_store_dword v[14:15], v26, off
	global_store_dword v[18:19], v25, off
	s_and_saveexec_b64 s[4:5], s[0:1]
	s_cbranch_execz .LBB51_3
; %bb.19:                               ;   in Loop: Header=BB51_5 Depth=1
	v_add_u32_e32 v12, v20, v21
	v_add_u32_e32 v2, s28, v12
	v_lshl_add_u64 v[4:5], v[2:3], 2, s[8:9]
	global_load_dword v10, v[4:5], off
	v_add_u32_e32 v2, s29, v12
	v_lshl_add_u64 v[6:7], v[2:3], 2, s[8:9]
	v_add_u32_e32 v2, s30, v12
	global_load_dword v13, v[6:7], off
	v_lshl_add_u64 v[8:9], v[2:3], 2, s[8:9]
	s_waitcnt vmcnt(1)
	v_fma_f32 v2, -v22, v38, v10
	global_store_dword v[4:5], v2, off
	global_load_dword v14, v[8:9], off
	v_add_u32_e32 v2, s31, v12
	v_lshl_add_u64 v[4:5], v[2:3], 2, s[8:9]
	v_add_u32_e32 v2, s33, v12
	v_lshl_add_u64 v[10:11], v[2:3], 2, s[8:9]
	s_waitcnt vmcnt(2)
	v_fma_f32 v2, -v22, v37, v13
	global_store_dword v[6:7], v2, off
	global_load_dword v13, v[4:5], off
	s_waitcnt vmcnt(2)
	v_fma_f32 v2, -v22, v31, v14
	global_store_dword v[8:9], v2, off
	global_load_dword v8, v[10:11], off
	v_add_u32_e32 v2, s34, v12
	v_lshl_add_u64 v[6:7], v[2:3], 2, s[8:9]
	s_waitcnt vmcnt(2)
	v_fma_f32 v2, -v22, v30, v13
	global_store_dword v[4:5], v2, off
	s_waitcnt vmcnt(1)
	v_fma_f32 v2, -v22, v29, v8
	global_store_dword v[10:11], v2, off
	global_load_dword v8, v[6:7], off
	v_add_u32_e32 v2, s35, v12
	v_lshl_add_u64 v[4:5], v[2:3], 2, s[8:9]
	s_waitcnt vmcnt(0)
	v_fma_f32 v2, -v22, v27, v8
	global_store_dword v[6:7], v2, off
	global_load_dword v6, v[4:5], off
	v_add_u32_e32 v2, s36, v12
	s_waitcnt vmcnt(0)
	v_fma_f32 v6, -v22, v26, v6
	global_store_dword v[4:5], v6, off
	v_lshl_add_u64 v[4:5], v[2:3], 2, s[8:9]
	global_load_dword v2, v[4:5], off
	s_waitcnt vmcnt(0)
	v_fma_f32 v2, -v22, v25, v2
	global_store_dword v[4:5], v2, off
	s_branch .LBB51_3
.LBB51_20:
	s_or_b64 exec, exec, s[18:19]
	s_branch .LBB51_22
.LBB51_21:
	v_mov_b32_e32 v21, 0
.LBB51_22:
	v_subrev_u32_e32 v1, s22, v21
	v_add_u32_e32 v2, v1, v0
	v_ashrrev_i32_e32 v3, 31, v2
	s_waitcnt lgkmcnt(0)
	v_lshl_add_u64 v[2:3], v[2:3], 2, s[6:7]
	buffer_wbl2 sc1
	s_waitcnt vmcnt(0)
	buffer_inv sc1
	global_load_dword v2, v[2:3], off
	s_waitcnt vmcnt(0)
	v_mul_lo_u32 v2, v2, s22
	v_sub_u32_e32 v1, v1, v2
	v_cmp_lt_i32_e32 vcc, -1, v1
	s_and_b64 exec, exec, vcc
	s_cbranch_execz .LBB51_29
; %bb.23:
	s_lshl_b32 s4, s24, 3
	s_add_i32 s5, s4, s23
	s_add_i32 s12, s5, s23
	s_add_i32 s13, s12, s23
	s_add_i32 s14, s13, s23
	s_add_i32 s15, s14, s23
	s_add_i32 s16, s15, s23
	s_add_i32 s17, s16, s23
	s_lshl_b32 s18, s22, 1
	s_mov_b64 s[0:1], 0
	v_mov_b32_e32 v3, 0
	s_branch .LBB51_25
.LBB51_24:                              ;   in Loop: Header=BB51_25 Depth=1
	s_or_b64 exec, exec, s[2:3]
	v_sub_u32_e32 v1, v1, v2
	v_cmp_gt_i32_e32 vcc, 0, v1
	s_or_b64 s[0:1], vcc, s[0:1]
	s_andn2_b64 exec, exec, s[0:1]
	s_cbranch_execz .LBB51_29
.LBB51_25:                              ; =>This Inner Loop Header: Depth=1
	v_add_u32_e32 v4, v1, v0
	s_waitcnt vmcnt(0)
	v_ashrrev_i32_e32 v5, 31, v4
	v_lshlrev_b64 v[6:7], 2, v[4:5]
	v_lshl_add_u64 v[8:9], s[6:7], 0, v[6:7]
	global_load_dword v2, v[8:9], off
	v_lshl_add_u64 v[6:7], s[10:11], 0, v[6:7]
	global_load_dword v5, v[6:7], off
	s_waitcnt vmcnt(1)
	v_cmp_ne_u32_e32 vcc, 1, v2
	s_and_saveexec_b64 s[2:3], vcc
	s_xor_b64 s[2:3], exec, s[2:3]
	s_cbranch_execz .LBB51_27
; %bb.26:                               ;   in Loop: Header=BB51_25 Depth=1
	v_add_u32_e32 v21, v20, v1
	v_add_u32_e32 v2, s4, v21
	v_lshl_add_u64 v[6:7], v[2:3], 2, s[8:9]
	v_add_u32_e32 v2, s5, v21
	v_lshl_add_u64 v[8:9], v[2:3], 2, s[8:9]
	;; [unrolled: 2-line block ×9, first 2 shown]
	global_load_dword v21, v[24:25], off
	global_load_dword v26, v[6:7], off
	global_load_dword v27, v[8:9], off
	global_load_dword v28, v[10:11], off
	global_load_dword v29, v[12:13], off
	global_load_dword v30, v[14:15], off
	global_load_dword v31, v[16:17], off
	global_load_dword v32, v[18:19], off
	global_load_dword v33, v[22:23], off
	v_add_u32_e32 v2, s5, v4
	v_lshl_add_u64 v[6:7], v[2:3], 2, s[8:9]
	s_waitcnt vmcnt(7)
	v_fma_f32 v2, -v5, v26, v21
	global_store_dword v[24:25], v2, off
	global_load_dword v10, v[6:7], off
	v_add_u32_e32 v2, s12, v4
	v_lshl_add_u64 v[8:9], v[2:3], 2, s[8:9]
	s_waitcnt vmcnt(0)
	v_fma_f32 v2, -v5, v27, v10
	global_store_dword v[6:7], v2, off
	global_load_dword v10, v[8:9], off
	;; [unrolled: 6-line block ×7, first 2 shown]
	v_subrev_u32_e32 v2, s22, v1
	v_add_u32_e32 v8, v2, v0
	v_ashrrev_i32_e32 v9, 31, v8
	v_lshl_add_u64 v[10:11], v[8:9], 2, s[10:11]
	v_add_u32_e32 v2, s4, v8
	global_load_dword v9, v[10:11], off
	v_lshl_add_u64 v[10:11], v[2:3], 2, s[8:9]
	s_waitcnt vmcnt(1)
	v_fma_f32 v2, -v5, v33, v4
	global_store_dword v[6:7], v2, off
	global_load_dword v6, v[10:11], off
	v_add_u32_e32 v2, s5, v8
	v_lshl_add_u64 v[4:5], v[2:3], 2, s[8:9]
	s_waitcnt vmcnt(0)
	v_fma_f32 v2, -v9, v26, v6
	global_store_dword v[10:11], v2, off
	global_load_dword v10, v[4:5], off
	v_add_u32_e32 v2, s12, v8
	;; [unrolled: 6-line block ×7, first 2 shown]
	s_waitcnt vmcnt(0)
	v_fma_f32 v4, -v9, v32, v4
	global_store_dword v[6:7], v4, off
	v_lshl_add_u64 v[4:5], v[2:3], 2, s[8:9]
	global_load_dword v2, v[4:5], off
	s_waitcnt vmcnt(0)
	v_fma_f32 v2, -v9, v33, v2
	global_store_dword v[4:5], v2, off
                                        ; implicit-def: $vgpr4
                                        ; implicit-def: $vgpr5
.LBB51_27:                              ;   in Loop: Header=BB51_25 Depth=1
	s_or_saveexec_b64 s[2:3], s[2:3]
	v_mov_b32_e32 v2, s18
	s_xor_b64 exec, exec, s[2:3]
	s_cbranch_execz .LBB51_24
; %bb.28:                               ;   in Loop: Header=BB51_25 Depth=1
	v_add_u32_e32 v12, v20, v1
	v_add_u32_e32 v2, s4, v12
	v_lshl_add_u64 v[6:7], v[2:3], 2, s[8:9]
	v_add_u32_e32 v2, s4, v4
	v_lshl_add_u64 v[8:9], v[2:3], 2, s[8:9]
	global_load_dword v13, v[6:7], off
	global_load_dword v14, v[8:9], off
	v_add_u32_e32 v2, s5, v12
	v_lshl_add_u64 v[6:7], v[2:3], 2, s[8:9]
	v_add_u32_e32 v2, s5, v4
	v_lshl_add_u64 v[10:11], v[2:3], 2, s[8:9]
	s_waitcnt vmcnt(0)
	v_fma_f32 v2, -v5, v13, v14
	global_store_dword v[8:9], v2, off
	global_load_dword v13, v[6:7], off
	global_load_dword v14, v[10:11], off
	v_add_u32_e32 v2, s12, v12
	v_lshl_add_u64 v[6:7], v[2:3], 2, s[8:9]
	v_add_u32_e32 v2, s12, v4
	v_lshl_add_u64 v[8:9], v[2:3], 2, s[8:9]
	s_waitcnt vmcnt(0)
	v_fma_f32 v2, -v5, v13, v14
	global_store_dword v[10:11], v2, off
	global_load_dword v13, v[6:7], off
	global_load_dword v14, v[8:9], off
	v_add_u32_e32 v2, s13, v12
	v_lshl_add_u64 v[6:7], v[2:3], 2, s[8:9]
	v_add_u32_e32 v2, s13, v4
	v_lshl_add_u64 v[10:11], v[2:3], 2, s[8:9]
	s_waitcnt vmcnt(0)
	v_fma_f32 v2, -v5, v13, v14
	global_store_dword v[8:9], v2, off
	global_load_dword v13, v[6:7], off
	global_load_dword v14, v[10:11], off
	v_add_u32_e32 v2, s14, v12
	v_lshl_add_u64 v[6:7], v[2:3], 2, s[8:9]
	v_add_u32_e32 v2, s14, v4
	v_lshl_add_u64 v[8:9], v[2:3], 2, s[8:9]
	s_waitcnt vmcnt(0)
	v_fma_f32 v2, -v5, v13, v14
	global_store_dword v[10:11], v2, off
	global_load_dword v13, v[6:7], off
	global_load_dword v14, v[8:9], off
	v_add_u32_e32 v2, s15, v12
	v_lshl_add_u64 v[6:7], v[2:3], 2, s[8:9]
	v_add_u32_e32 v2, s15, v4
	v_lshl_add_u64 v[10:11], v[2:3], 2, s[8:9]
	s_waitcnt vmcnt(0)
	v_fma_f32 v2, -v5, v13, v14
	global_store_dword v[8:9], v2, off
	global_load_dword v13, v[6:7], off
	global_load_dword v14, v[10:11], off
	v_add_u32_e32 v2, s16, v12
	v_lshl_add_u64 v[6:7], v[2:3], 2, s[8:9]
	v_add_u32_e32 v2, s16, v4
	v_lshl_add_u64 v[8:9], v[2:3], 2, s[8:9]
	s_waitcnt vmcnt(0)
	v_fma_f32 v2, -v5, v13, v14
	global_store_dword v[10:11], v2, off
	global_load_dword v13, v[6:7], off
	global_load_dword v14, v[8:9], off
	v_add_u32_e32 v2, s17, v12
	v_lshl_add_u64 v[6:7], v[2:3], 2, s[8:9]
	v_add_u32_e32 v2, s17, v4
	v_lshl_add_u64 v[10:11], v[2:3], 2, s[8:9]
	s_waitcnt vmcnt(0)
	v_fma_f32 v2, -v5, v13, v14
	global_store_dword v[8:9], v2, off
	global_load_dword v2, v[6:7], off
	s_nop 0
	global_load_dword v4, v[10:11], off
	s_waitcnt vmcnt(0)
	v_fma_f32 v2, -v5, v2, v4
	global_store_dword v[10:11], v2, off
	v_mov_b32_e32 v2, s22
	s_branch .LBB51_24
.LBB51_29:
	s_endpgm
	.section	.rodata,"a",@progbits
	.p2align	6, 0x0
	.amdhsa_kernel _ZN9rocsparseL19gtsv_LBM_rhs_kernelILj256ELj32ELj8EfEEviiiPKT2_S3_S3_PS1_S3_PKi
		.amdhsa_group_segment_fixed_size 0
		.amdhsa_private_segment_fixed_size 0
		.amdhsa_kernarg_size 64
		.amdhsa_user_sgpr_count 2
		.amdhsa_user_sgpr_dispatch_ptr 0
		.amdhsa_user_sgpr_queue_ptr 0
		.amdhsa_user_sgpr_kernarg_segment_ptr 1
		.amdhsa_user_sgpr_dispatch_id 0
		.amdhsa_user_sgpr_kernarg_preload_length 0
		.amdhsa_user_sgpr_kernarg_preload_offset 0
		.amdhsa_user_sgpr_private_segment_size 0
		.amdhsa_uses_dynamic_stack 0
		.amdhsa_enable_private_segment 0
		.amdhsa_system_sgpr_workgroup_id_x 1
		.amdhsa_system_sgpr_workgroup_id_y 1
		.amdhsa_system_sgpr_workgroup_id_z 0
		.amdhsa_system_sgpr_workgroup_info 0
		.amdhsa_system_vgpr_workitem_id 0
		.amdhsa_next_free_vgpr 64
		.amdhsa_next_free_sgpr 37
		.amdhsa_accum_offset 64
		.amdhsa_reserve_vcc 1
		.amdhsa_float_round_mode_32 0
		.amdhsa_float_round_mode_16_64 0
		.amdhsa_float_denorm_mode_32 3
		.amdhsa_float_denorm_mode_16_64 3
		.amdhsa_dx10_clamp 1
		.amdhsa_ieee_mode 1
		.amdhsa_fp16_overflow 0
		.amdhsa_tg_split 0
		.amdhsa_exception_fp_ieee_invalid_op 0
		.amdhsa_exception_fp_denorm_src 0
		.amdhsa_exception_fp_ieee_div_zero 0
		.amdhsa_exception_fp_ieee_overflow 0
		.amdhsa_exception_fp_ieee_underflow 0
		.amdhsa_exception_fp_ieee_inexact 0
		.amdhsa_exception_int_div_zero 0
	.end_amdhsa_kernel
	.section	.text._ZN9rocsparseL19gtsv_LBM_rhs_kernelILj256ELj32ELj8EfEEviiiPKT2_S3_S3_PS1_S3_PKi,"axG",@progbits,_ZN9rocsparseL19gtsv_LBM_rhs_kernelILj256ELj32ELj8EfEEviiiPKT2_S3_S3_PS1_S3_PKi,comdat
.Lfunc_end51:
	.size	_ZN9rocsparseL19gtsv_LBM_rhs_kernelILj256ELj32ELj8EfEEviiiPKT2_S3_S3_PS1_S3_PKi, .Lfunc_end51-_ZN9rocsparseL19gtsv_LBM_rhs_kernelILj256ELj32ELj8EfEEviiiPKT2_S3_S3_PS1_S3_PKi
                                        ; -- End function
	.set _ZN9rocsparseL19gtsv_LBM_rhs_kernelILj256ELj32ELj8EfEEviiiPKT2_S3_S3_PS1_S3_PKi.num_vgpr, 64
	.set _ZN9rocsparseL19gtsv_LBM_rhs_kernelILj256ELj32ELj8EfEEviiiPKT2_S3_S3_PS1_S3_PKi.num_agpr, 0
	.set _ZN9rocsparseL19gtsv_LBM_rhs_kernelILj256ELj32ELj8EfEEviiiPKT2_S3_S3_PS1_S3_PKi.numbered_sgpr, 37
	.set _ZN9rocsparseL19gtsv_LBM_rhs_kernelILj256ELj32ELj8EfEEviiiPKT2_S3_S3_PS1_S3_PKi.num_named_barrier, 0
	.set _ZN9rocsparseL19gtsv_LBM_rhs_kernelILj256ELj32ELj8EfEEviiiPKT2_S3_S3_PS1_S3_PKi.private_seg_size, 0
	.set _ZN9rocsparseL19gtsv_LBM_rhs_kernelILj256ELj32ELj8EfEEviiiPKT2_S3_S3_PS1_S3_PKi.uses_vcc, 1
	.set _ZN9rocsparseL19gtsv_LBM_rhs_kernelILj256ELj32ELj8EfEEviiiPKT2_S3_S3_PS1_S3_PKi.uses_flat_scratch, 0
	.set _ZN9rocsparseL19gtsv_LBM_rhs_kernelILj256ELj32ELj8EfEEviiiPKT2_S3_S3_PS1_S3_PKi.has_dyn_sized_stack, 0
	.set _ZN9rocsparseL19gtsv_LBM_rhs_kernelILj256ELj32ELj8EfEEviiiPKT2_S3_S3_PS1_S3_PKi.has_recursion, 0
	.set _ZN9rocsparseL19gtsv_LBM_rhs_kernelILj256ELj32ELj8EfEEviiiPKT2_S3_S3_PS1_S3_PKi.has_indirect_call, 0
	.section	.AMDGPU.csdata,"",@progbits
; Kernel info:
; codeLenInByte = 3884
; TotalNumSgprs: 43
; NumVgprs: 64
; NumAgprs: 0
; TotalNumVgprs: 64
; ScratchSize: 0
; MemoryBound: 0
; FloatMode: 240
; IeeeMode: 1
; LDSByteSize: 0 bytes/workgroup (compile time only)
; SGPRBlocks: 5
; VGPRBlocks: 7
; NumSGPRsForWavesPerEU: 43
; NumVGPRsForWavesPerEU: 64
; AccumOffset: 64
; Occupancy: 8
; WaveLimiterHint : 0
; COMPUTE_PGM_RSRC2:SCRATCH_EN: 0
; COMPUTE_PGM_RSRC2:USER_SGPR: 2
; COMPUTE_PGM_RSRC2:TRAP_HANDLER: 0
; COMPUTE_PGM_RSRC2:TGID_X_EN: 1
; COMPUTE_PGM_RSRC2:TGID_Y_EN: 1
; COMPUTE_PGM_RSRC2:TGID_Z_EN: 0
; COMPUTE_PGM_RSRC2:TIDIG_COMP_CNT: 0
; COMPUTE_PGM_RSRC3_GFX90A:ACCUM_OFFSET: 15
; COMPUTE_PGM_RSRC3_GFX90A:TG_SPLIT: 0
	.section	.text._ZN9rocsparseL19gtsv_LBM_rhs_kernelILj256ELj32ELj4EfEEviiiPKT2_S3_S3_PS1_S3_PKi,"axG",@progbits,_ZN9rocsparseL19gtsv_LBM_rhs_kernelILj256ELj32ELj4EfEEviiiPKT2_S3_S3_PS1_S3_PKi,comdat
	.globl	_ZN9rocsparseL19gtsv_LBM_rhs_kernelILj256ELj32ELj4EfEEviiiPKT2_S3_S3_PS1_S3_PKi ; -- Begin function _ZN9rocsparseL19gtsv_LBM_rhs_kernelILj256ELj32ELj4EfEEviiiPKT2_S3_S3_PS1_S3_PKi
	.p2align	8
	.type	_ZN9rocsparseL19gtsv_LBM_rhs_kernelILj256ELj32ELj4EfEEviiiPKT2_S3_S3_PS1_S3_PKi,@function
_ZN9rocsparseL19gtsv_LBM_rhs_kernelILj256ELj32ELj4EfEEviiiPKT2_S3_S3_PS1_S3_PKi: ; @_ZN9rocsparseL19gtsv_LBM_rhs_kernelILj256ELj32ELj4EfEEviiiPKT2_S3_S3_PS1_S3_PKi
; %bb.0:
	s_load_dword s23, s[0:1], 0x0
	v_lshl_or_b32 v0, s2, 8, v0
	s_waitcnt lgkmcnt(0)
	s_lshr_b32 s22, s23, 5
	v_cmp_gt_i32_e32 vcc, s22, v0
	s_and_saveexec_b64 s[4:5], vcc
	s_cbranch_execz .LBB52_29
; %bb.1:
	s_load_dwordx4 s[8:11], s[0:1], 0x28
	s_load_dwordx2 s[6:7], s[0:1], 0x38
	s_cmp_lt_i32 s23, 1
	v_add_u32_e32 v12, s22, v0
	s_mul_i32 s24, s3, s23
	s_cbranch_scc1 .LBB52_21
; %bb.2:
	s_load_dwordx4 s[12:15], s[0:1], 0x10
	s_load_dwordx2 s[16:17], s[0:1], 0x20
	v_ashrrev_i32_e32 v1, 31, v0
	s_lshl_b32 s28, s24, 2
	s_add_i32 s29, s28, s23
	s_waitcnt lgkmcnt(0)
	v_lshl_add_u64 v[2:3], v[0:1], 2, s[14:15]
	global_load_dword v14, v[2:3], off
	s_add_i32 s30, s29, s23
	s_mul_i32 s25, s22, 31
	s_mul_i32 s26, s22, 30
	s_lshl_b32 s27, s22, 1
	v_add_u32_e32 v13, s22, v12
	s_add_i32 s31, s30, s23
	v_mov_b32_e32 v3, 0
	s_mov_b64 s[18:19], 0
	v_mov_b32_e32 v1, 0
	s_branch .LBB52_5
.LBB52_3:                               ;   in Loop: Header=BB52_5 Depth=1
	s_or_b64 exec, exec, s[4:5]
	v_fma_f32 v14, -v14, v20, v16
	v_mov_b32_e32 v2, s22
.LBB52_4:                               ;   in Loop: Header=BB52_5 Depth=1
	s_or_b64 exec, exec, s[2:3]
	v_add_u32_e32 v1, v2, v1
	v_cmp_le_i32_e32 vcc, s23, v1
	s_or_b64 s[18:19], vcc, s[18:19]
	s_andn2_b64 exec, exec, s[18:19]
	s_cbranch_execz .LBB52_20
.LBB52_5:                               ; =>This Inner Loop Header: Depth=1
	v_add_u32_e32 v10, v1, v0
	v_ashrrev_i32_e32 v11, 31, v10
	v_lshl_add_u64 v[4:5], v[10:11], 2, s[16:17]
	global_load_dword v18, v[4:5], off
	v_cmp_gt_u32_e64 s[0:1], s25, v1
	v_mov_b32_e32 v15, 0
	s_and_saveexec_b64 s[2:3], s[0:1]
	s_cbranch_execz .LBB52_7
; %bb.6:                                ;   in Loop: Header=BB52_5 Depth=1
	v_add_u32_e32 v4, v12, v1
	v_ashrrev_i32_e32 v5, 31, v4
	v_lshl_add_u64 v[4:5], v[4:5], 2, s[12:13]
	global_load_dword v15, v[4:5], off
.LBB52_7:                               ;   in Loop: Header=BB52_5 Depth=1
	s_or_b64 exec, exec, s[2:3]
	v_mov_b32_e32 v17, 0
	v_mov_b32_e32 v16, 0
	s_and_saveexec_b64 s[2:3], s[0:1]
	s_cbranch_execz .LBB52_9
; %bb.8:                                ;   in Loop: Header=BB52_5 Depth=1
	v_add_u32_e32 v4, v12, v1
	v_ashrrev_i32_e32 v5, 31, v4
	v_lshl_add_u64 v[4:5], v[4:5], 2, s[14:15]
	global_load_dword v16, v[4:5], off
.LBB52_9:                               ;   in Loop: Header=BB52_5 Depth=1
	s_or_b64 exec, exec, s[2:3]
	s_and_saveexec_b64 s[2:3], s[0:1]
	s_cbranch_execz .LBB52_11
; %bb.10:                               ;   in Loop: Header=BB52_5 Depth=1
	v_add_u32_e32 v4, v12, v1
	v_ashrrev_i32_e32 v5, 31, v4
	v_lshl_add_u64 v[4:5], v[4:5], 2, s[16:17]
	global_load_dword v17, v[4:5], off
.LBB52_11:                              ;   in Loop: Header=BB52_5 Depth=1
	s_or_b64 exec, exec, s[2:3]
	v_cmp_gt_u32_e64 s[2:3], s26, v1
	v_mov_b32_e32 v19, 0
	s_and_saveexec_b64 s[4:5], s[2:3]
	s_cbranch_execz .LBB52_13
; %bb.12:                               ;   in Loop: Header=BB52_5 Depth=1
	v_add_u32_e32 v4, v13, v1
	v_ashrrev_i32_e32 v5, 31, v4
	v_lshl_add_u64 v[4:5], v[4:5], 2, s[12:13]
	global_load_dword v19, v[4:5], off
.LBB52_13:                              ;   in Loop: Header=BB52_5 Depth=1
	s_or_b64 exec, exec, s[4:5]
	v_lshl_add_u64 v[4:5], v[10:11], 2, s[6:7]
	v_add_u32_e32 v2, s28, v10
	global_load_dword v20, v[4:5], off
	v_lshl_add_u64 v[4:5], v[2:3], 2, s[8:9]
	v_add_u32_e32 v2, s29, v10
	v_lshl_add_u64 v[6:7], v[2:3], 2, s[8:9]
	v_add_u32_e32 v2, s30, v10
	;; [unrolled: 2-line block ×3, first 2 shown]
	v_lshl_add_u64 v[10:11], v[2:3], 2, s[8:9]
	global_load_dword v21, v[4:5], off
	global_load_dword v22, v[6:7], off
	global_load_dword v23, v[8:9], off
	global_load_dword v24, v[10:11], off
	v_cmp_ne_u32_e64 s[4:5], s25, v1
	s_waitcnt vmcnt(4)
	v_cmp_ne_u32_e32 vcc, 1, v20
	s_and_b64 s[4:5], s[4:5], vcc
	v_mul_f32_e32 v20, v18, v15
	s_and_saveexec_b64 s[20:21], s[4:5]
	s_xor_b64 s[4:5], exec, s[20:21]
	s_cbranch_execz .LBB52_17
; %bb.14:                               ;   in Loop: Header=BB52_5 Depth=1
	v_add_u32_e32 v25, v12, v1
	v_add_u32_e32 v2, s28, v25
	v_lshl_add_u64 v[30:31], v[2:3], 2, s[8:9]
	v_add_u32_e32 v2, s29, v25
	v_lshl_add_u64 v[32:33], v[2:3], 2, s[8:9]
	v_add_u32_e32 v2, s30, v25
	global_load_dword v27, v[30:31], off
	global_load_dword v28, v[32:33], off
	v_lshl_add_u64 v[34:35], v[2:3], 2, s[8:9]
	v_add_u32_e32 v2, s31, v25
	global_load_dword v29, v[34:35], off
	v_lshl_add_u64 v[36:37], v[2:3], 2, s[8:9]
	global_load_dword v2, v[36:37], off
	v_fma_f32 v20, v14, v16, -v20
	v_div_scale_f32 v25, s[20:21], v20, v20, 1.0
	v_rcp_f32_e32 v26, v25
	v_div_scale_f32 v38, vcc, 1.0, v20, 1.0
	v_fma_f32 v39, -v25, v26, 1.0
	v_fmac_f32_e32 v26, v39, v26
	v_mul_f32_e32 v39, v38, v26
	v_fma_f32 v40, -v25, v39, v38
	v_fmac_f32_e32 v39, v40, v26
	v_fma_f32 v25, -v25, v39, v38
	v_div_fmas_f32 v25, v25, v26, v39
	v_div_fixup_f32 v20, v25, v20, 1.0
	s_waitcnt vmcnt(7)
	v_mul_f32_e32 v25, v20, v21
	s_waitcnt vmcnt(6)
	v_mul_f32_e32 v26, v20, v22
	;; [unrolled: 2-line block ×3, first 2 shown]
	v_mul_f32_e32 v23, v15, v25
	s_waitcnt vmcnt(4)
	v_mul_f32_e32 v22, v20, v24
	v_mul_f32_e32 v24, v15, v26
	;; [unrolled: 1-line block ×4, first 2 shown]
	s_waitcnt vmcnt(3)
	v_mul_f32_e32 v27, v20, v27
	s_waitcnt vmcnt(2)
	v_mul_f32_e32 v28, v20, v28
	v_mul_f32_e32 v40, v18, v27
	v_fma_f32 v41, v14, v27, -v23
	s_waitcnt vmcnt(1)
	v_mul_f32_e32 v23, v20, v29
	v_fma_f32 v29, v16, v25, -v40
	v_mul_f32_e32 v40, v18, v28
	v_fma_f32 v42, v14, v28, -v24
	s_waitcnt vmcnt(0)
	v_mul_f32_e32 v24, v20, v2
	global_store_dword v[4:5], v29, off
	v_fma_f32 v2, v16, v26, -v40
	v_mul_f32_e32 v4, v18, v23
	global_store_dword v[6:7], v2, off
	v_fma_f32 v2, v16, v21, -v4
	;; [unrolled: 3-line block ×3, first 2 shown]
	v_fma_f32 v5, v14, v23, -v38
	v_fma_f32 v6, v14, v24, -v39
	global_store_dword v[10:11], v2, off
	global_store_dword v[30:31], v41, off
	;; [unrolled: 1-line block ×5, first 2 shown]
	v_mov_b32_e32 v2, 0
	s_and_saveexec_b64 s[20:21], s[2:3]
	s_cbranch_execz .LBB52_16
; %bb.15:                               ;   in Loop: Header=BB52_5 Depth=1
	v_add_u32_e32 v4, v13, v1
	v_add_u32_e32 v2, s28, v4
	v_lshl_add_u64 v[6:7], v[2:3], 2, s[8:9]
	v_add_u32_e32 v2, s29, v4
	global_load_dword v16, v[6:7], off
	v_lshl_add_u64 v[8:9], v[2:3], 2, s[8:9]
	global_load_dword v18, v[8:9], off
	v_mul_f32_e32 v29, v15, v19
	v_mul_f32_e32 v19, v14, v19
	;; [unrolled: 1-line block ×4, first 2 shown]
	v_fma_f32 v25, v29, v25, -v2
	v_add_u32_e32 v2, s30, v4
	v_fma_f32 v26, v29, v26, -v10
	v_lshl_add_u64 v[10:11], v[2:3], 2, s[8:9]
	v_add_u32_e32 v2, s31, v4
	v_lshl_add_u64 v[14:15], v[2:3], 2, s[8:9]
	v_ashrrev_i32_e32 v5, 31, v4
	v_lshl_add_u64 v[4:5], v[4:5], 2, s[14:15]
	global_load_dword v4, v[4:5], off
	v_mul_f32_e32 v5, v19, v23
	v_fma_f32 v5, v29, v21, -v5
	s_waitcnt vmcnt(2)
	v_add_f32_e32 v2, v25, v16
	global_store_dword v[6:7], v2, off
	s_waitcnt vmcnt(2)
	v_add_f32_e32 v2, v26, v18
	global_store_dword v[8:9], v2, off
	global_load_dword v6, v[10:11], off
	v_mul_f32_e32 v7, v19, v24
	global_load_dword v2, v[14:15], off
	v_fma_f32 v7, v29, v22, -v7
	v_mul_f32_e32 v8, v17, v19
	s_waitcnt vmcnt(1)
	v_add_f32_e32 v5, v5, v6
	global_store_dword v[10:11], v5, off
	s_waitcnt vmcnt(1)
	v_add_f32_e32 v2, v7, v2
	global_store_dword v[14:15], v2, off
	v_fma_f32 v2, -v20, v8, v4
.LBB52_16:                              ;   in Loop: Header=BB52_5 Depth=1
	s_or_b64 exec, exec, s[20:21]
	v_mov_b32_e32 v14, v2
                                        ; implicit-def: $vgpr15
                                        ; implicit-def: $vgpr16
                                        ; implicit-def: $vgpr20
                                        ; implicit-def: $vgpr4_vgpr5
                                        ; implicit-def: $vgpr21
                                        ; implicit-def: $vgpr6_vgpr7
                                        ; implicit-def: $vgpr22
                                        ; implicit-def: $vgpr8_vgpr9
                                        ; implicit-def: $vgpr23
                                        ; implicit-def: $vgpr10_vgpr11
                                        ; implicit-def: $vgpr24
.LBB52_17:                              ;   in Loop: Header=BB52_5 Depth=1
	s_or_saveexec_b64 s[2:3], s[4:5]
	v_mov_b32_e32 v2, s27
	s_xor_b64 exec, exec, s[2:3]
	s_cbranch_execz .LBB52_4
; %bb.18:                               ;   in Loop: Header=BB52_5 Depth=1
	v_div_scale_f32 v2, s[4:5], v14, v14, 1.0
	v_rcp_f32_e32 v17, v2
	v_div_scale_f32 v18, vcc, 1.0, v14, 1.0
	v_fma_f32 v19, -v2, v17, 1.0
	v_fmac_f32_e32 v17, v19, v17
	v_mul_f32_e32 v19, v18, v17
	v_fma_f32 v25, -v2, v19, v18
	v_fmac_f32_e32 v19, v25, v17
	v_fma_f32 v2, -v2, v19, v18
	v_div_fmas_f32 v2, v2, v17, v19
	v_div_fixup_f32 v14, v2, v14, 1.0
	s_waitcnt vmcnt(3)
	v_mul_f32_e32 v21, v14, v21
	s_waitcnt vmcnt(2)
	v_mul_f32_e32 v19, v14, v22
	;; [unrolled: 2-line block ×4, first 2 shown]
	global_store_dword v[4:5], v21, off
	global_store_dword v[6:7], v19, off
	;; [unrolled: 1-line block ×4, first 2 shown]
	s_and_saveexec_b64 s[4:5], s[0:1]
	s_cbranch_execz .LBB52_3
; %bb.19:                               ;   in Loop: Header=BB52_5 Depth=1
	v_add_u32_e32 v10, v12, v1
	v_add_u32_e32 v2, s28, v10
	v_lshl_add_u64 v[4:5], v[2:3], 2, s[8:9]
	v_add_u32_e32 v2, s29, v10
	global_load_dword v22, v[4:5], off
	v_lshl_add_u64 v[6:7], v[2:3], 2, s[8:9]
	global_load_dword v23, v[6:7], off
	v_add_u32_e32 v2, s30, v10
	v_lshl_add_u64 v[8:9], v[2:3], 2, s[8:9]
	v_add_u32_e32 v2, s31, v10
	v_lshl_add_u64 v[10:11], v[2:3], 2, s[8:9]
	s_waitcnt vmcnt(1)
	v_fma_f32 v2, -v15, v21, v22
	global_store_dword v[4:5], v2, off
	s_waitcnt vmcnt(1)
	v_fma_f32 v2, -v15, v19, v23
	global_store_dword v[6:7], v2, off
	global_load_dword v4, v[8:9], off
	s_nop 0
	global_load_dword v2, v[10:11], off
	s_waitcnt vmcnt(1)
	v_fma_f32 v4, -v15, v18, v4
	global_store_dword v[8:9], v4, off
	s_waitcnt vmcnt(1)
	v_fma_f32 v2, -v15, v17, v2
	global_store_dword v[10:11], v2, off
	s_branch .LBB52_3
.LBB52_20:
	s_or_b64 exec, exec, s[18:19]
	s_branch .LBB52_22
.LBB52_21:
	v_mov_b32_e32 v1, 0
.LBB52_22:
	v_subrev_u32_e32 v1, s22, v1
	v_add_u32_e32 v2, v1, v0
	v_ashrrev_i32_e32 v3, 31, v2
	s_waitcnt lgkmcnt(0)
	v_lshl_add_u64 v[2:3], v[2:3], 2, s[6:7]
	buffer_wbl2 sc1
	s_waitcnt vmcnt(0)
	buffer_inv sc1
	global_load_dword v2, v[2:3], off
	s_waitcnt vmcnt(0)
	v_mul_lo_u32 v2, v2, s22
	v_sub_u32_e32 v1, v1, v2
	v_cmp_lt_i32_e32 vcc, -1, v1
	s_and_b64 exec, exec, vcc
	s_cbranch_execz .LBB52_29
; %bb.23:
	s_lshl_b32 s4, s24, 2
	s_add_i32 s5, s4, s23
	s_add_i32 s12, s5, s23
	s_add_i32 s13, s12, s23
	s_lshl_b32 s14, s22, 1
	s_mov_b64 s[0:1], 0
	v_mov_b32_e32 v3, 0
	s_branch .LBB52_25
.LBB52_24:                              ;   in Loop: Header=BB52_25 Depth=1
	s_or_b64 exec, exec, s[2:3]
	v_sub_u32_e32 v1, v1, v2
	v_cmp_gt_i32_e32 vcc, 0, v1
	s_or_b64 s[0:1], vcc, s[0:1]
	s_andn2_b64 exec, exec, s[0:1]
	s_cbranch_execz .LBB52_29
.LBB52_25:                              ; =>This Inner Loop Header: Depth=1
	v_add_u32_e32 v4, v1, v0
	s_waitcnt vmcnt(0)
	v_ashrrev_i32_e32 v5, 31, v4
	v_lshlrev_b64 v[6:7], 2, v[4:5]
	v_lshl_add_u64 v[8:9], s[6:7], 0, v[6:7]
	global_load_dword v2, v[8:9], off
	v_lshl_add_u64 v[6:7], s[10:11], 0, v[6:7]
	global_load_dword v5, v[6:7], off
	s_waitcnt vmcnt(1)
	v_cmp_ne_u32_e32 vcc, 1, v2
	s_and_saveexec_b64 s[2:3], vcc
	s_xor_b64 s[2:3], exec, s[2:3]
	s_cbranch_execz .LBB52_27
; %bb.26:                               ;   in Loop: Header=BB52_25 Depth=1
	v_add_u32_e32 v13, v12, v1
	v_add_u32_e32 v2, s4, v13
	v_lshl_add_u64 v[6:7], v[2:3], 2, s[8:9]
	v_add_u32_e32 v2, s5, v13
	v_lshl_add_u64 v[8:9], v[2:3], 2, s[8:9]
	;; [unrolled: 2-line block ×5, first 2 shown]
	global_load_dword v13, v[6:7], off
	global_load_dword v18, v[16:17], off
	;; [unrolled: 1-line block ×5, first 2 shown]
	v_add_u32_e32 v2, s5, v4
	v_lshl_add_u64 v[6:7], v[2:3], 2, s[8:9]
	s_waitcnt vmcnt(3)
	v_fma_f32 v2, -v5, v13, v18
	global_store_dword v[16:17], v2, off
	global_load_dword v10, v[6:7], off
	v_add_u32_e32 v2, s12, v4
	v_lshl_add_u64 v[8:9], v[2:3], 2, s[8:9]
	s_waitcnt vmcnt(0)
	v_fma_f32 v2, -v5, v19, v10
	global_store_dword v[6:7], v2, off
	global_load_dword v10, v[8:9], off
	;; [unrolled: 6-line block ×3, first 2 shown]
	v_subrev_u32_e32 v2, s22, v1
	v_add_u32_e32 v8, v2, v0
	v_ashrrev_i32_e32 v9, 31, v8
	v_lshl_add_u64 v[10:11], v[8:9], 2, s[10:11]
	v_add_u32_e32 v2, s4, v8
	global_load_dword v9, v[10:11], off
	v_lshl_add_u64 v[10:11], v[2:3], 2, s[8:9]
	s_waitcnt vmcnt(1)
	v_fma_f32 v2, -v5, v21, v4
	global_store_dword v[6:7], v2, off
	global_load_dword v6, v[10:11], off
	v_add_u32_e32 v2, s5, v8
	v_lshl_add_u64 v[4:5], v[2:3], 2, s[8:9]
	s_waitcnt vmcnt(0)
	v_fma_f32 v2, -v9, v13, v6
	global_store_dword v[10:11], v2, off
	global_load_dword v10, v[4:5], off
	v_add_u32_e32 v2, s12, v8
	;; [unrolled: 6-line block ×3, first 2 shown]
	s_waitcnt vmcnt(0)
	v_fma_f32 v4, -v9, v20, v4
	global_store_dword v[6:7], v4, off
	v_lshl_add_u64 v[4:5], v[2:3], 2, s[8:9]
	global_load_dword v2, v[4:5], off
	s_waitcnt vmcnt(0)
	v_fma_f32 v2, -v9, v21, v2
	global_store_dword v[4:5], v2, off
                                        ; implicit-def: $vgpr4
                                        ; implicit-def: $vgpr5
.LBB52_27:                              ;   in Loop: Header=BB52_25 Depth=1
	s_or_saveexec_b64 s[2:3], s[2:3]
	v_mov_b32_e32 v2, s14
	s_xor_b64 exec, exec, s[2:3]
	s_cbranch_execz .LBB52_24
; %bb.28:                               ;   in Loop: Header=BB52_25 Depth=1
	v_add_u32_e32 v13, v12, v1
	v_add_u32_e32 v2, s4, v13
	v_lshl_add_u64 v[6:7], v[2:3], 2, s[8:9]
	v_add_u32_e32 v2, s4, v4
	v_lshl_add_u64 v[8:9], v[2:3], 2, s[8:9]
	global_load_dword v14, v[6:7], off
	global_load_dword v15, v[8:9], off
	v_add_u32_e32 v2, s5, v13
	v_lshl_add_u64 v[6:7], v[2:3], 2, s[8:9]
	v_add_u32_e32 v2, s5, v4
	v_lshl_add_u64 v[10:11], v[2:3], 2, s[8:9]
	s_waitcnt vmcnt(0)
	v_fma_f32 v2, -v5, v14, v15
	global_store_dword v[8:9], v2, off
	global_load_dword v14, v[6:7], off
	global_load_dword v15, v[10:11], off
	v_add_u32_e32 v2, s12, v13
	v_lshl_add_u64 v[6:7], v[2:3], 2, s[8:9]
	v_add_u32_e32 v2, s12, v4
	v_lshl_add_u64 v[8:9], v[2:3], 2, s[8:9]
	s_waitcnt vmcnt(0)
	v_fma_f32 v2, -v5, v14, v15
	global_store_dword v[10:11], v2, off
	;; [unrolled: 9-line block ×3, first 2 shown]
	global_load_dword v2, v[6:7], off
	s_nop 0
	global_load_dword v4, v[10:11], off
	s_waitcnt vmcnt(0)
	v_fma_f32 v2, -v5, v2, v4
	global_store_dword v[10:11], v2, off
	v_mov_b32_e32 v2, s22
	s_branch .LBB52_24
.LBB52_29:
	s_endpgm
	.section	.rodata,"a",@progbits
	.p2align	6, 0x0
	.amdhsa_kernel _ZN9rocsparseL19gtsv_LBM_rhs_kernelILj256ELj32ELj4EfEEviiiPKT2_S3_S3_PS1_S3_PKi
		.amdhsa_group_segment_fixed_size 0
		.amdhsa_private_segment_fixed_size 0
		.amdhsa_kernarg_size 64
		.amdhsa_user_sgpr_count 2
		.amdhsa_user_sgpr_dispatch_ptr 0
		.amdhsa_user_sgpr_queue_ptr 0
		.amdhsa_user_sgpr_kernarg_segment_ptr 1
		.amdhsa_user_sgpr_dispatch_id 0
		.amdhsa_user_sgpr_kernarg_preload_length 0
		.amdhsa_user_sgpr_kernarg_preload_offset 0
		.amdhsa_user_sgpr_private_segment_size 0
		.amdhsa_uses_dynamic_stack 0
		.amdhsa_enable_private_segment 0
		.amdhsa_system_sgpr_workgroup_id_x 1
		.amdhsa_system_sgpr_workgroup_id_y 1
		.amdhsa_system_sgpr_workgroup_id_z 0
		.amdhsa_system_sgpr_workgroup_info 0
		.amdhsa_system_vgpr_workitem_id 0
		.amdhsa_next_free_vgpr 43
		.amdhsa_next_free_sgpr 32
		.amdhsa_accum_offset 44
		.amdhsa_reserve_vcc 1
		.amdhsa_float_round_mode_32 0
		.amdhsa_float_round_mode_16_64 0
		.amdhsa_float_denorm_mode_32 3
		.amdhsa_float_denorm_mode_16_64 3
		.amdhsa_dx10_clamp 1
		.amdhsa_ieee_mode 1
		.amdhsa_fp16_overflow 0
		.amdhsa_tg_split 0
		.amdhsa_exception_fp_ieee_invalid_op 0
		.amdhsa_exception_fp_denorm_src 0
		.amdhsa_exception_fp_ieee_div_zero 0
		.amdhsa_exception_fp_ieee_overflow 0
		.amdhsa_exception_fp_ieee_underflow 0
		.amdhsa_exception_fp_ieee_inexact 0
		.amdhsa_exception_int_div_zero 0
	.end_amdhsa_kernel
	.section	.text._ZN9rocsparseL19gtsv_LBM_rhs_kernelILj256ELj32ELj4EfEEviiiPKT2_S3_S3_PS1_S3_PKi,"axG",@progbits,_ZN9rocsparseL19gtsv_LBM_rhs_kernelILj256ELj32ELj4EfEEviiiPKT2_S3_S3_PS1_S3_PKi,comdat
.Lfunc_end52:
	.size	_ZN9rocsparseL19gtsv_LBM_rhs_kernelILj256ELj32ELj4EfEEviiiPKT2_S3_S3_PS1_S3_PKi, .Lfunc_end52-_ZN9rocsparseL19gtsv_LBM_rhs_kernelILj256ELj32ELj4EfEEviiiPKT2_S3_S3_PS1_S3_PKi
                                        ; -- End function
	.set _ZN9rocsparseL19gtsv_LBM_rhs_kernelILj256ELj32ELj4EfEEviiiPKT2_S3_S3_PS1_S3_PKi.num_vgpr, 43
	.set _ZN9rocsparseL19gtsv_LBM_rhs_kernelILj256ELj32ELj4EfEEviiiPKT2_S3_S3_PS1_S3_PKi.num_agpr, 0
	.set _ZN9rocsparseL19gtsv_LBM_rhs_kernelILj256ELj32ELj4EfEEviiiPKT2_S3_S3_PS1_S3_PKi.numbered_sgpr, 32
	.set _ZN9rocsparseL19gtsv_LBM_rhs_kernelILj256ELj32ELj4EfEEviiiPKT2_S3_S3_PS1_S3_PKi.num_named_barrier, 0
	.set _ZN9rocsparseL19gtsv_LBM_rhs_kernelILj256ELj32ELj4EfEEviiiPKT2_S3_S3_PS1_S3_PKi.private_seg_size, 0
	.set _ZN9rocsparseL19gtsv_LBM_rhs_kernelILj256ELj32ELj4EfEEviiiPKT2_S3_S3_PS1_S3_PKi.uses_vcc, 1
	.set _ZN9rocsparseL19gtsv_LBM_rhs_kernelILj256ELj32ELj4EfEEviiiPKT2_S3_S3_PS1_S3_PKi.uses_flat_scratch, 0
	.set _ZN9rocsparseL19gtsv_LBM_rhs_kernelILj256ELj32ELj4EfEEviiiPKT2_S3_S3_PS1_S3_PKi.has_dyn_sized_stack, 0
	.set _ZN9rocsparseL19gtsv_LBM_rhs_kernelILj256ELj32ELj4EfEEviiiPKT2_S3_S3_PS1_S3_PKi.has_recursion, 0
	.set _ZN9rocsparseL19gtsv_LBM_rhs_kernelILj256ELj32ELj4EfEEviiiPKT2_S3_S3_PS1_S3_PKi.has_indirect_call, 0
	.section	.AMDGPU.csdata,"",@progbits
; Kernel info:
; codeLenInByte = 2432
; TotalNumSgprs: 38
; NumVgprs: 43
; NumAgprs: 0
; TotalNumVgprs: 43
; ScratchSize: 0
; MemoryBound: 0
; FloatMode: 240
; IeeeMode: 1
; LDSByteSize: 0 bytes/workgroup (compile time only)
; SGPRBlocks: 4
; VGPRBlocks: 5
; NumSGPRsForWavesPerEU: 38
; NumVGPRsForWavesPerEU: 43
; AccumOffset: 44
; Occupancy: 8
; WaveLimiterHint : 0
; COMPUTE_PGM_RSRC2:SCRATCH_EN: 0
; COMPUTE_PGM_RSRC2:USER_SGPR: 2
; COMPUTE_PGM_RSRC2:TRAP_HANDLER: 0
; COMPUTE_PGM_RSRC2:TGID_X_EN: 1
; COMPUTE_PGM_RSRC2:TGID_Y_EN: 1
; COMPUTE_PGM_RSRC2:TGID_Z_EN: 0
; COMPUTE_PGM_RSRC2:TIDIG_COMP_CNT: 0
; COMPUTE_PGM_RSRC3_GFX90A:ACCUM_OFFSET: 10
; COMPUTE_PGM_RSRC3_GFX90A:TG_SPLIT: 0
	.section	.text._ZN9rocsparseL19gtsv_LBM_rhs_kernelILj256ELj32ELj2EfEEviiiPKT2_S3_S3_PS1_S3_PKi,"axG",@progbits,_ZN9rocsparseL19gtsv_LBM_rhs_kernelILj256ELj32ELj2EfEEviiiPKT2_S3_S3_PS1_S3_PKi,comdat
	.globl	_ZN9rocsparseL19gtsv_LBM_rhs_kernelILj256ELj32ELj2EfEEviiiPKT2_S3_S3_PS1_S3_PKi ; -- Begin function _ZN9rocsparseL19gtsv_LBM_rhs_kernelILj256ELj32ELj2EfEEviiiPKT2_S3_S3_PS1_S3_PKi
	.p2align	8
	.type	_ZN9rocsparseL19gtsv_LBM_rhs_kernelILj256ELj32ELj2EfEEviiiPKT2_S3_S3_PS1_S3_PKi,@function
_ZN9rocsparseL19gtsv_LBM_rhs_kernelILj256ELj32ELj2EfEEviiiPKT2_S3_S3_PS1_S3_PKi: ; @_ZN9rocsparseL19gtsv_LBM_rhs_kernelILj256ELj32ELj2EfEEviiiPKT2_S3_S3_PS1_S3_PKi
; %bb.0:
	s_load_dword s23, s[0:1], 0x0
	v_lshl_or_b32 v0, s2, 8, v0
	s_waitcnt lgkmcnt(0)
	s_lshr_b32 s22, s23, 5
	v_cmp_gt_i32_e32 vcc, s22, v0
	s_and_saveexec_b64 s[4:5], vcc
	s_cbranch_execz .LBB53_29
; %bb.1:
	s_load_dwordx4 s[8:11], s[0:1], 0x28
	s_load_dwordx2 s[6:7], s[0:1], 0x38
	s_cmp_lt_i32 s23, 1
	v_add_u32_e32 v8, s22, v0
	s_mul_i32 s24, s3, s23
	s_cbranch_scc1 .LBB53_21
; %bb.2:
	s_load_dwordx4 s[12:15], s[0:1], 0x10
	s_load_dwordx2 s[16:17], s[0:1], 0x20
	v_ashrrev_i32_e32 v1, 31, v0
	s_lshl_b32 s28, s24, 1
	s_mul_i32 s25, s22, 31
	s_waitcnt lgkmcnt(0)
	v_lshl_add_u64 v[2:3], v[0:1], 2, s[14:15]
	global_load_dword v10, v[2:3], off
	s_mul_i32 s26, s22, 30
	s_lshl_b32 s27, s22, 1
	v_add_u32_e32 v9, s22, v8
	s_add_i32 s29, s28, s23
	v_mov_b32_e32 v3, 0
	s_mov_b64 s[18:19], 0
	v_mov_b32_e32 v1, 0
	s_branch .LBB53_5
.LBB53_3:                               ;   in Loop: Header=BB53_5 Depth=1
	s_or_b64 exec, exec, s[4:5]
	v_fma_f32 v10, -v10, v16, v12
	v_mov_b32_e32 v2, s22
.LBB53_4:                               ;   in Loop: Header=BB53_5 Depth=1
	s_or_b64 exec, exec, s[2:3]
	v_add_u32_e32 v1, v2, v1
	v_cmp_le_i32_e32 vcc, s23, v1
	s_or_b64 s[18:19], vcc, s[18:19]
	s_andn2_b64 exec, exec, s[18:19]
	s_cbranch_execz .LBB53_20
.LBB53_5:                               ; =>This Inner Loop Header: Depth=1
	v_add_u32_e32 v6, v1, v0
	v_ashrrev_i32_e32 v7, 31, v6
	v_lshl_add_u64 v[4:5], v[6:7], 2, s[16:17]
	global_load_dword v14, v[4:5], off
	v_cmp_gt_u32_e64 s[0:1], s25, v1
	v_mov_b32_e32 v11, 0
	s_and_saveexec_b64 s[2:3], s[0:1]
	s_cbranch_execz .LBB53_7
; %bb.6:                                ;   in Loop: Header=BB53_5 Depth=1
	v_add_u32_e32 v4, v8, v1
	v_ashrrev_i32_e32 v5, 31, v4
	v_lshl_add_u64 v[4:5], v[4:5], 2, s[12:13]
	global_load_dword v11, v[4:5], off
.LBB53_7:                               ;   in Loop: Header=BB53_5 Depth=1
	s_or_b64 exec, exec, s[2:3]
	v_mov_b32_e32 v13, 0
	v_mov_b32_e32 v12, 0
	s_and_saveexec_b64 s[2:3], s[0:1]
	s_cbranch_execz .LBB53_9
; %bb.8:                                ;   in Loop: Header=BB53_5 Depth=1
	v_add_u32_e32 v4, v8, v1
	v_ashrrev_i32_e32 v5, 31, v4
	v_lshl_add_u64 v[4:5], v[4:5], 2, s[14:15]
	global_load_dword v12, v[4:5], off
.LBB53_9:                               ;   in Loop: Header=BB53_5 Depth=1
	s_or_b64 exec, exec, s[2:3]
	s_and_saveexec_b64 s[2:3], s[0:1]
	s_cbranch_execz .LBB53_11
; %bb.10:                               ;   in Loop: Header=BB53_5 Depth=1
	v_add_u32_e32 v4, v8, v1
	v_ashrrev_i32_e32 v5, 31, v4
	v_lshl_add_u64 v[4:5], v[4:5], 2, s[16:17]
	global_load_dword v13, v[4:5], off
.LBB53_11:                              ;   in Loop: Header=BB53_5 Depth=1
	s_or_b64 exec, exec, s[2:3]
	v_cmp_gt_u32_e64 s[2:3], s26, v1
	v_mov_b32_e32 v15, 0
	s_and_saveexec_b64 s[4:5], s[2:3]
	s_cbranch_execz .LBB53_13
; %bb.12:                               ;   in Loop: Header=BB53_5 Depth=1
	v_add_u32_e32 v4, v9, v1
	v_ashrrev_i32_e32 v5, 31, v4
	v_lshl_add_u64 v[4:5], v[4:5], 2, s[12:13]
	global_load_dword v15, v[4:5], off
.LBB53_13:                              ;   in Loop: Header=BB53_5 Depth=1
	s_or_b64 exec, exec, s[4:5]
	v_lshl_add_u64 v[4:5], v[6:7], 2, s[6:7]
	global_load_dword v16, v[4:5], off
	v_add_u32_e32 v2, s28, v6
	v_lshl_add_u64 v[4:5], v[2:3], 2, s[8:9]
	v_add_u32_e32 v2, s29, v6
	v_lshl_add_u64 v[6:7], v[2:3], 2, s[8:9]
	global_load_dword v17, v[4:5], off
	global_load_dword v18, v[6:7], off
	v_cmp_ne_u32_e32 vcc, s25, v1
	s_waitcnt vmcnt(2)
	v_cmp_ne_u32_e64 s[4:5], 1, v16
	s_and_b64 s[4:5], vcc, s[4:5]
	v_mul_f32_e32 v16, v14, v11
	s_and_saveexec_b64 s[20:21], s[4:5]
	s_xor_b64 s[4:5], exec, s[20:21]
	s_cbranch_execz .LBB53_17
; %bb.14:                               ;   in Loop: Header=BB53_5 Depth=1
	v_add_u32_e32 v19, v8, v1
	v_add_u32_e32 v2, s28, v19
	v_lshl_add_u64 v[22:23], v[2:3], 2, s[8:9]
	v_add_u32_e32 v2, s29, v19
	v_lshl_add_u64 v[24:25], v[2:3], 2, s[8:9]
	global_load_dword v2, v[22:23], off
	global_load_dword v20, v[24:25], off
	v_fma_f32 v16, v10, v12, -v16
	v_div_scale_f32 v19, s[20:21], v16, v16, 1.0
	v_rcp_f32_e32 v21, v19
	v_div_scale_f32 v26, vcc, 1.0, v16, 1.0
	v_fma_f32 v27, -v19, v21, 1.0
	v_fmac_f32_e32 v21, v27, v21
	v_mul_f32_e32 v27, v26, v21
	v_fma_f32 v28, -v19, v27, v26
	v_fmac_f32_e32 v27, v28, v21
	v_fma_f32 v19, -v19, v27, v26
	v_div_fmas_f32 v19, v19, v21, v27
	v_div_fixup_f32 v16, v19, v16, 1.0
	s_waitcnt vmcnt(3)
	v_mul_f32_e32 v17, v16, v17
	s_waitcnt vmcnt(2)
	v_mul_f32_e32 v18, v16, v18
	v_mul_f32_e32 v21, v11, v17
	v_mul_f32_e32 v26, v11, v18
	s_waitcnt vmcnt(1)
	v_mul_f32_e32 v19, v16, v2
	s_waitcnt vmcnt(0)
	v_mul_f32_e32 v20, v16, v20
	v_mul_f32_e32 v2, v14, v19
	v_fma_f32 v2, v12, v17, -v2
	v_mul_f32_e32 v14, v14, v20
	global_store_dword v[4:5], v2, off
	v_fma_f32 v2, v12, v18, -v14
	v_fma_f32 v21, v10, v19, -v21
	;; [unrolled: 1-line block ×3, first 2 shown]
	global_store_dword v[6:7], v2, off
	global_store_dword v[22:23], v21, off
	;; [unrolled: 1-line block ×3, first 2 shown]
	v_mov_b32_e32 v2, 0
	s_and_saveexec_b64 s[20:21], s[2:3]
	s_cbranch_execz .LBB53_16
; %bb.15:                               ;   in Loop: Header=BB53_5 Depth=1
	v_add_u32_e32 v4, v9, v1
	v_add_u32_e32 v2, s28, v4
	v_lshl_add_u64 v[6:7], v[2:3], 2, s[8:9]
	v_add_u32_e32 v2, s29, v4
	v_ashrrev_i32_e32 v5, 31, v4
	v_lshl_add_u64 v[22:23], v[2:3], 2, s[8:9]
	global_load_dword v2, v[6:7], off
	global_load_dword v12, v[22:23], off
	v_lshl_add_u64 v[4:5], v[4:5], 2, s[14:15]
	global_load_dword v4, v[4:5], off
	v_mul_f32_e32 v10, v10, v15
	v_mul_f32_e32 v5, v11, v15
	v_mul_f32_e32 v11, v10, v19
	v_mul_f32_e32 v14, v10, v20
	v_fma_f32 v11, v5, v17, -v11
	v_fma_f32 v5, v5, v18, -v14
	v_mul_f32_e32 v10, v13, v10
	s_waitcnt vmcnt(2)
	v_add_f32_e32 v2, v11, v2
	global_store_dword v[6:7], v2, off
	s_waitcnt vmcnt(2)
	v_add_f32_e32 v2, v5, v12
	global_store_dword v[22:23], v2, off
	s_waitcnt vmcnt(2)
	v_fma_f32 v2, -v16, v10, v4
.LBB53_16:                              ;   in Loop: Header=BB53_5 Depth=1
	s_or_b64 exec, exec, s[20:21]
	v_mov_b32_e32 v10, v2
                                        ; implicit-def: $vgpr16
                                        ; implicit-def: $vgpr12
                                        ; implicit-def: $vgpr17
                                        ; implicit-def: $vgpr18
                                        ; implicit-def: $vgpr4_vgpr5
                                        ; implicit-def: $vgpr6_vgpr7
                                        ; implicit-def: $vgpr11
.LBB53_17:                              ;   in Loop: Header=BB53_5 Depth=1
	s_or_saveexec_b64 s[2:3], s[4:5]
	v_mov_b32_e32 v2, s27
	s_xor_b64 exec, exec, s[2:3]
	s_cbranch_execz .LBB53_4
; %bb.18:                               ;   in Loop: Header=BB53_5 Depth=1
	v_div_scale_f32 v2, s[4:5], v10, v10, 1.0
	v_rcp_f32_e32 v13, v2
	v_div_scale_f32 v14, vcc, 1.0, v10, 1.0
	v_fma_f32 v15, -v2, v13, 1.0
	v_fmac_f32_e32 v13, v15, v13
	v_mul_f32_e32 v15, v14, v13
	v_fma_f32 v19, -v2, v15, v14
	v_fmac_f32_e32 v15, v19, v13
	v_fma_f32 v2, -v2, v15, v14
	v_div_fmas_f32 v2, v2, v13, v15
	v_div_fixup_f32 v10, v2, v10, 1.0
	s_waitcnt vmcnt(1)
	v_mul_f32_e32 v14, v10, v17
	s_waitcnt vmcnt(0)
	v_mul_f32_e32 v13, v10, v18
	global_store_dword v[4:5], v14, off
	global_store_dword v[6:7], v13, off
	s_and_saveexec_b64 s[4:5], s[0:1]
	s_cbranch_execz .LBB53_3
; %bb.19:                               ;   in Loop: Header=BB53_5 Depth=1
	v_add_u32_e32 v6, v8, v1
	v_add_u32_e32 v2, s28, v6
	v_lshl_add_u64 v[4:5], v[2:3], 2, s[8:9]
	v_add_u32_e32 v2, s29, v6
	v_lshl_add_u64 v[6:7], v[2:3], 2, s[8:9]
	global_load_dword v15, v[4:5], off
	global_load_dword v2, v[6:7], off
	s_waitcnt vmcnt(1)
	v_fma_f32 v14, -v11, v14, v15
	s_waitcnt vmcnt(0)
	v_fma_f32 v2, -v11, v13, v2
	global_store_dword v[4:5], v14, off
	global_store_dword v[6:7], v2, off
	s_branch .LBB53_3
.LBB53_20:
	s_or_b64 exec, exec, s[18:19]
	s_branch .LBB53_22
.LBB53_21:
	v_mov_b32_e32 v1, 0
.LBB53_22:
	v_subrev_u32_e32 v1, s22, v1
	v_add_u32_e32 v2, v1, v0
	v_ashrrev_i32_e32 v3, 31, v2
	s_waitcnt lgkmcnt(0)
	v_lshl_add_u64 v[2:3], v[2:3], 2, s[6:7]
	buffer_wbl2 sc1
	s_waitcnt vmcnt(0)
	buffer_inv sc1
	global_load_dword v2, v[2:3], off
	s_waitcnt vmcnt(0)
	v_mul_lo_u32 v2, v2, s22
	v_sub_u32_e32 v1, v1, v2
	v_cmp_lt_i32_e32 vcc, -1, v1
	s_and_b64 exec, exec, vcc
	s_cbranch_execz .LBB53_29
; %bb.23:
	s_lshl_b32 s4, s24, 1
	s_add_i32 s5, s4, s23
	s_lshl_b32 s12, s22, 1
	s_mov_b64 s[0:1], 0
	v_mov_b32_e32 v3, 0
	s_branch .LBB53_25
.LBB53_24:                              ;   in Loop: Header=BB53_25 Depth=1
	s_or_b64 exec, exec, s[2:3]
	v_sub_u32_e32 v1, v1, v2
	v_cmp_gt_i32_e32 vcc, 0, v1
	s_or_b64 s[0:1], vcc, s[0:1]
	s_andn2_b64 exec, exec, s[0:1]
	s_cbranch_execz .LBB53_29
.LBB53_25:                              ; =>This Inner Loop Header: Depth=1
	v_add_u32_e32 v4, v1, v0
	s_waitcnt vmcnt(0)
	v_ashrrev_i32_e32 v5, 31, v4
	v_lshlrev_b64 v[6:7], 2, v[4:5]
	v_lshl_add_u64 v[10:11], s[6:7], 0, v[6:7]
	global_load_dword v2, v[10:11], off
	v_lshl_add_u64 v[6:7], s[10:11], 0, v[6:7]
	global_load_dword v5, v[6:7], off
	s_waitcnt vmcnt(1)
	v_cmp_ne_u32_e32 vcc, 1, v2
	s_and_saveexec_b64 s[2:3], vcc
	s_xor_b64 s[2:3], exec, s[2:3]
	s_cbranch_execz .LBB53_27
; %bb.26:                               ;   in Loop: Header=BB53_25 Depth=1
	v_add_u32_e32 v9, v8, v1
	v_add_u32_e32 v2, s4, v9
	v_lshl_add_u64 v[6:7], v[2:3], 2, s[8:9]
	v_add_u32_e32 v2, s5, v9
	v_lshl_add_u64 v[10:11], v[2:3], 2, s[8:9]
	;; [unrolled: 2-line block ×3, first 2 shown]
	global_load_dword v9, v[6:7], off
	global_load_dword v14, v[12:13], off
	;; [unrolled: 1-line block ×3, first 2 shown]
	v_add_u32_e32 v2, s5, v4
	v_lshl_add_u64 v[6:7], v[2:3], 2, s[8:9]
	s_waitcnt vmcnt(1)
	v_fma_f32 v2, -v5, v9, v14
	global_store_dword v[12:13], v2, off
	global_load_dword v4, v[6:7], off
	v_subrev_u32_e32 v2, s22, v1
	v_add_u32_e32 v10, v2, v0
	v_ashrrev_i32_e32 v11, 31, v10
	v_lshl_add_u64 v[12:13], v[10:11], 2, s[10:11]
	v_add_u32_e32 v2, s4, v10
	global_load_dword v11, v[12:13], off
	v_lshl_add_u64 v[12:13], v[2:3], 2, s[8:9]
	s_waitcnt vmcnt(1)
	v_fma_f32 v2, -v5, v15, v4
	global_store_dword v[6:7], v2, off
	global_load_dword v4, v[12:13], off
	v_add_u32_e32 v2, s5, v10
	s_waitcnt vmcnt(0)
	v_fma_f32 v4, -v11, v9, v4
	global_store_dword v[12:13], v4, off
	v_lshl_add_u64 v[4:5], v[2:3], 2, s[8:9]
	global_load_dword v2, v[4:5], off
	s_waitcnt vmcnt(0)
	v_fma_f32 v2, -v11, v15, v2
	global_store_dword v[4:5], v2, off
                                        ; implicit-def: $vgpr4
                                        ; implicit-def: $vgpr5
.LBB53_27:                              ;   in Loop: Header=BB53_25 Depth=1
	s_or_saveexec_b64 s[2:3], s[2:3]
	v_mov_b32_e32 v2, s12
	s_xor_b64 exec, exec, s[2:3]
	s_cbranch_execz .LBB53_24
; %bb.28:                               ;   in Loop: Header=BB53_25 Depth=1
	v_add_u32_e32 v9, v8, v1
	v_add_u32_e32 v2, s4, v9
	v_lshl_add_u64 v[6:7], v[2:3], 2, s[8:9]
	v_add_u32_e32 v2, s4, v4
	v_lshl_add_u64 v[10:11], v[2:3], 2, s[8:9]
	global_load_dword v14, v[6:7], off
	global_load_dword v15, v[10:11], off
	v_add_u32_e32 v2, s5, v9
	v_lshl_add_u64 v[6:7], v[2:3], 2, s[8:9]
	v_add_u32_e32 v2, s5, v4
	v_lshl_add_u64 v[12:13], v[2:3], 2, s[8:9]
	s_waitcnt vmcnt(0)
	v_fma_f32 v2, -v5, v14, v15
	global_store_dword v[10:11], v2, off
	global_load_dword v2, v[6:7], off
	s_nop 0
	global_load_dword v4, v[12:13], off
	s_waitcnt vmcnt(0)
	v_fma_f32 v2, -v5, v2, v4
	global_store_dword v[12:13], v2, off
	v_mov_b32_e32 v2, s22
	s_branch .LBB53_24
.LBB53_29:
	s_endpgm
	.section	.rodata,"a",@progbits
	.p2align	6, 0x0
	.amdhsa_kernel _ZN9rocsparseL19gtsv_LBM_rhs_kernelILj256ELj32ELj2EfEEviiiPKT2_S3_S3_PS1_S3_PKi
		.amdhsa_group_segment_fixed_size 0
		.amdhsa_private_segment_fixed_size 0
		.amdhsa_kernarg_size 64
		.amdhsa_user_sgpr_count 2
		.amdhsa_user_sgpr_dispatch_ptr 0
		.amdhsa_user_sgpr_queue_ptr 0
		.amdhsa_user_sgpr_kernarg_segment_ptr 1
		.amdhsa_user_sgpr_dispatch_id 0
		.amdhsa_user_sgpr_kernarg_preload_length 0
		.amdhsa_user_sgpr_kernarg_preload_offset 0
		.amdhsa_user_sgpr_private_segment_size 0
		.amdhsa_uses_dynamic_stack 0
		.amdhsa_enable_private_segment 0
		.amdhsa_system_sgpr_workgroup_id_x 1
		.amdhsa_system_sgpr_workgroup_id_y 1
		.amdhsa_system_sgpr_workgroup_id_z 0
		.amdhsa_system_sgpr_workgroup_info 0
		.amdhsa_system_vgpr_workitem_id 0
		.amdhsa_next_free_vgpr 29
		.amdhsa_next_free_sgpr 30
		.amdhsa_accum_offset 32
		.amdhsa_reserve_vcc 1
		.amdhsa_float_round_mode_32 0
		.amdhsa_float_round_mode_16_64 0
		.amdhsa_float_denorm_mode_32 3
		.amdhsa_float_denorm_mode_16_64 3
		.amdhsa_dx10_clamp 1
		.amdhsa_ieee_mode 1
		.amdhsa_fp16_overflow 0
		.amdhsa_tg_split 0
		.amdhsa_exception_fp_ieee_invalid_op 0
		.amdhsa_exception_fp_denorm_src 0
		.amdhsa_exception_fp_ieee_div_zero 0
		.amdhsa_exception_fp_ieee_overflow 0
		.amdhsa_exception_fp_ieee_underflow 0
		.amdhsa_exception_fp_ieee_inexact 0
		.amdhsa_exception_int_div_zero 0
	.end_amdhsa_kernel
	.section	.text._ZN9rocsparseL19gtsv_LBM_rhs_kernelILj256ELj32ELj2EfEEviiiPKT2_S3_S3_PS1_S3_PKi,"axG",@progbits,_ZN9rocsparseL19gtsv_LBM_rhs_kernelILj256ELj32ELj2EfEEviiiPKT2_S3_S3_PS1_S3_PKi,comdat
.Lfunc_end53:
	.size	_ZN9rocsparseL19gtsv_LBM_rhs_kernelILj256ELj32ELj2EfEEviiiPKT2_S3_S3_PS1_S3_PKi, .Lfunc_end53-_ZN9rocsparseL19gtsv_LBM_rhs_kernelILj256ELj32ELj2EfEEviiiPKT2_S3_S3_PS1_S3_PKi
                                        ; -- End function
	.set _ZN9rocsparseL19gtsv_LBM_rhs_kernelILj256ELj32ELj2EfEEviiiPKT2_S3_S3_PS1_S3_PKi.num_vgpr, 29
	.set _ZN9rocsparseL19gtsv_LBM_rhs_kernelILj256ELj32ELj2EfEEviiiPKT2_S3_S3_PS1_S3_PKi.num_agpr, 0
	.set _ZN9rocsparseL19gtsv_LBM_rhs_kernelILj256ELj32ELj2EfEEviiiPKT2_S3_S3_PS1_S3_PKi.numbered_sgpr, 30
	.set _ZN9rocsparseL19gtsv_LBM_rhs_kernelILj256ELj32ELj2EfEEviiiPKT2_S3_S3_PS1_S3_PKi.num_named_barrier, 0
	.set _ZN9rocsparseL19gtsv_LBM_rhs_kernelILj256ELj32ELj2EfEEviiiPKT2_S3_S3_PS1_S3_PKi.private_seg_size, 0
	.set _ZN9rocsparseL19gtsv_LBM_rhs_kernelILj256ELj32ELj2EfEEviiiPKT2_S3_S3_PS1_S3_PKi.uses_vcc, 1
	.set _ZN9rocsparseL19gtsv_LBM_rhs_kernelILj256ELj32ELj2EfEEviiiPKT2_S3_S3_PS1_S3_PKi.uses_flat_scratch, 0
	.set _ZN9rocsparseL19gtsv_LBM_rhs_kernelILj256ELj32ELj2EfEEviiiPKT2_S3_S3_PS1_S3_PKi.has_dyn_sized_stack, 0
	.set _ZN9rocsparseL19gtsv_LBM_rhs_kernelILj256ELj32ELj2EfEEviiiPKT2_S3_S3_PS1_S3_PKi.has_recursion, 0
	.set _ZN9rocsparseL19gtsv_LBM_rhs_kernelILj256ELj32ELj2EfEEviiiPKT2_S3_S3_PS1_S3_PKi.has_indirect_call, 0
	.section	.AMDGPU.csdata,"",@progbits
; Kernel info:
; codeLenInByte = 1696
; TotalNumSgprs: 36
; NumVgprs: 29
; NumAgprs: 0
; TotalNumVgprs: 29
; ScratchSize: 0
; MemoryBound: 0
; FloatMode: 240
; IeeeMode: 1
; LDSByteSize: 0 bytes/workgroup (compile time only)
; SGPRBlocks: 4
; VGPRBlocks: 3
; NumSGPRsForWavesPerEU: 36
; NumVGPRsForWavesPerEU: 29
; AccumOffset: 32
; Occupancy: 8
; WaveLimiterHint : 0
; COMPUTE_PGM_RSRC2:SCRATCH_EN: 0
; COMPUTE_PGM_RSRC2:USER_SGPR: 2
; COMPUTE_PGM_RSRC2:TRAP_HANDLER: 0
; COMPUTE_PGM_RSRC2:TGID_X_EN: 1
; COMPUTE_PGM_RSRC2:TGID_Y_EN: 1
; COMPUTE_PGM_RSRC2:TGID_Z_EN: 0
; COMPUTE_PGM_RSRC2:TIDIG_COMP_CNT: 0
; COMPUTE_PGM_RSRC3_GFX90A:ACCUM_OFFSET: 7
; COMPUTE_PGM_RSRC3_GFX90A:TG_SPLIT: 0
	.section	.text._ZN9rocsparseL19gtsv_LBM_rhs_kernelILj256ELj32ELj1EfEEviiiPKT2_S3_S3_PS1_S3_PKi,"axG",@progbits,_ZN9rocsparseL19gtsv_LBM_rhs_kernelILj256ELj32ELj1EfEEviiiPKT2_S3_S3_PS1_S3_PKi,comdat
	.globl	_ZN9rocsparseL19gtsv_LBM_rhs_kernelILj256ELj32ELj1EfEEviiiPKT2_S3_S3_PS1_S3_PKi ; -- Begin function _ZN9rocsparseL19gtsv_LBM_rhs_kernelILj256ELj32ELj1EfEEviiiPKT2_S3_S3_PS1_S3_PKi
	.p2align	8
	.type	_ZN9rocsparseL19gtsv_LBM_rhs_kernelILj256ELj32ELj1EfEEviiiPKT2_S3_S3_PS1_S3_PKi,@function
_ZN9rocsparseL19gtsv_LBM_rhs_kernelILj256ELj32ELj1EfEEviiiPKT2_S3_S3_PS1_S3_PKi: ; @_ZN9rocsparseL19gtsv_LBM_rhs_kernelILj256ELj32ELj1EfEEviiiPKT2_S3_S3_PS1_S3_PKi
; %bb.0:
	s_load_dword s24, s[0:1], 0x0
	v_lshl_or_b32 v0, s2, 8, v0
	s_waitcnt lgkmcnt(0)
	s_lshr_b32 s22, s24, 5
	v_cmp_gt_i32_e32 vcc, s22, v0
	s_and_saveexec_b64 s[4:5], vcc
	s_cbranch_execz .LBB54_29
; %bb.1:
	s_load_dwordx4 s[8:11], s[0:1], 0x28
	s_load_dwordx2 s[6:7], s[0:1], 0x38
	s_cmp_lt_i32 s24, 1
	s_mul_i32 s23, s24, s3
	s_cbranch_scc1 .LBB54_21
; %bb.2:
	s_load_dwordx4 s[12:15], s[0:1], 0x10
	s_load_dwordx2 s[16:17], s[0:1], 0x20
	v_ashrrev_i32_e32 v1, 31, v0
	v_add_u32_e32 v13, s22, v0
	s_mul_i32 s25, s22, 31
	s_waitcnt lgkmcnt(0)
	v_lshl_add_u64 v[2:3], v[0:1], 2, s[14:15]
	global_load_dword v5, v[2:3], off
	s_mul_i32 s26, s22, 30
	s_lshl_b32 s27, s22, 1
	v_add_u32_e32 v14, s22, v13
	v_add_u32_e32 v15, s23, v13
	v_mov_b32_e32 v3, 0
	s_mov_b64 s[18:19], 0
	v_mov_b32_e32 v1, 0
	s_branch .LBB54_5
.LBB54_3:                               ;   in Loop: Header=BB54_5 Depth=1
	s_or_b64 exec, exec, s[4:5]
	v_fma_f32 v5, -v5, v7, v16
	v_mov_b32_e32 v2, s22
.LBB54_4:                               ;   in Loop: Header=BB54_5 Depth=1
	s_or_b64 exec, exec, s[2:3]
	v_add_u32_e32 v1, v2, v1
	v_cmp_le_i32_e32 vcc, s24, v1
	s_or_b64 s[18:19], vcc, s[18:19]
	s_andn2_b64 exec, exec, s[18:19]
	s_cbranch_execz .LBB54_20
.LBB54_5:                               ; =>This Inner Loop Header: Depth=1
	v_add_u32_e32 v8, v1, v0
	v_ashrrev_i32_e32 v9, 31, v8
	v_lshl_add_u64 v[6:7], v[8:9], 2, s[16:17]
	global_load_dword v18, v[6:7], off
	v_cmp_gt_u32_e64 s[0:1], s25, v1
	v_add_u32_e32 v6, v13, v1
	v_mov_b32_e32 v4, 0
	s_and_saveexec_b64 s[2:3], s[0:1]
	s_cbranch_execz .LBB54_7
; %bb.6:                                ;   in Loop: Header=BB54_5 Depth=1
	v_ashrrev_i32_e32 v7, 31, v6
	s_waitcnt vmcnt(1)
	v_lshl_add_u64 v[10:11], v[6:7], 2, s[12:13]
	global_load_dword v4, v[10:11], off
.LBB54_7:                               ;   in Loop: Header=BB54_5 Depth=1
	s_or_b64 exec, exec, s[2:3]
	v_mov_b32_e32 v17, 0
	v_mov_b32_e32 v16, 0
	s_and_saveexec_b64 s[2:3], s[0:1]
	s_cbranch_execz .LBB54_9
; %bb.8:                                ;   in Loop: Header=BB54_5 Depth=1
	v_ashrrev_i32_e32 v7, 31, v6
	s_waitcnt vmcnt(1)
	v_lshl_add_u64 v[10:11], v[6:7], 2, s[14:15]
	global_load_dword v16, v[10:11], off
.LBB54_9:                               ;   in Loop: Header=BB54_5 Depth=1
	s_or_b64 exec, exec, s[2:3]
	s_and_saveexec_b64 s[2:3], s[0:1]
	s_cbranch_execz .LBB54_11
; %bb.10:                               ;   in Loop: Header=BB54_5 Depth=1
	v_ashrrev_i32_e32 v7, 31, v6
	v_lshl_add_u64 v[6:7], v[6:7], 2, s[16:17]
	global_load_dword v17, v[6:7], off
.LBB54_11:                              ;   in Loop: Header=BB54_5 Depth=1
	s_or_b64 exec, exec, s[2:3]
	v_cmp_gt_u32_e64 s[2:3], s26, v1
	v_mov_b32_e32 v6, 0
	s_and_saveexec_b64 s[4:5], s[2:3]
	s_cbranch_execz .LBB54_13
; %bb.12:                               ;   in Loop: Header=BB54_5 Depth=1
	v_add_u32_e32 v6, v14, v1
	v_ashrrev_i32_e32 v7, 31, v6
	v_lshl_add_u64 v[6:7], v[6:7], 2, s[12:13]
	global_load_dword v6, v[6:7], off
.LBB54_13:                              ;   in Loop: Header=BB54_5 Depth=1
	s_or_b64 exec, exec, s[4:5]
	s_waitcnt vmcnt(1)
	v_lshl_add_u64 v[10:11], v[8:9], 2, s[6:7]
	global_load_dword v7, v[10:11], off
	v_add_u32_e32 v2, s23, v8
	v_lshl_add_u64 v[8:9], v[2:3], 2, s[8:9]
	global_load_dword v10, v[8:9], off
	v_cmp_ne_u32_e32 vcc, s25, v1
	s_waitcnt vmcnt(1)
	v_cmp_ne_u32_e64 s[4:5], 1, v7
	s_and_b64 s[4:5], vcc, s[4:5]
	v_mul_f32_e32 v7, v18, v4
	s_and_saveexec_b64 s[20:21], s[4:5]
	s_xor_b64 s[4:5], exec, s[20:21]
	s_cbranch_execz .LBB54_17
; %bb.14:                               ;   in Loop: Header=BB54_5 Depth=1
	v_add_u32_e32 v2, v15, v1
	v_lshl_add_u64 v[20:21], v[2:3], 2, s[8:9]
	global_load_dword v11, v[20:21], off
	v_fma_f32 v2, v5, v16, -v7
	v_div_scale_f32 v7, s[20:21], v2, v2, 1.0
	v_rcp_f32_e32 v12, v7
	v_div_scale_f32 v19, vcc, 1.0, v2, 1.0
	v_fma_f32 v22, -v7, v12, 1.0
	v_fmac_f32_e32 v12, v22, v12
	v_mul_f32_e32 v22, v19, v12
	v_fma_f32 v23, -v7, v22, v19
	v_fmac_f32_e32 v22, v23, v12
	v_fma_f32 v7, -v7, v22, v19
	v_div_fmas_f32 v7, v7, v12, v22
	v_div_fixup_f32 v12, v7, v2, 1.0
	s_waitcnt vmcnt(0)
	v_pk_mul_f32 v[10:11], v[12:13], v[10:11] op_sel_hi:[0,1]
	v_mul_f32_e32 v2, v18, v11
	v_mul_f32_e32 v7, v4, v10
	v_fma_f32 v2, v16, v10, -v2
	v_fma_f32 v7, v5, v11, -v7
	global_store_dword v[8:9], v2, off
	global_store_dword v[20:21], v7, off
	v_mov_b32_e32 v2, 0
	s_and_saveexec_b64 s[20:21], s[2:3]
	s_cbranch_execz .LBB54_16
; %bb.15:                               ;   in Loop: Header=BB54_5 Depth=1
	v_add_u32_e32 v8, v14, v1
	v_add_u32_e32 v2, s23, v8
	v_lshl_add_u64 v[18:19], v[2:3], 2, s[8:9]
	v_ashrrev_i32_e32 v9, 31, v8
	global_load_dword v2, v[18:19], off
	v_lshl_add_u64 v[8:9], v[8:9], 2, s[14:15]
	global_load_dword v8, v[8:9], off
	v_pk_mul_f32 v[4:5], v[4:5], v[6:7] op_sel_hi:[1,0]
	s_nop 0
	v_pk_mul_f32 v[6:7], v[4:5], v[10:11]
	v_mul_f32_e32 v4, v17, v5
	v_sub_f32_e32 v5, v6, v7
	s_waitcnt vmcnt(1)
	v_add_f32_e32 v2, v5, v2
	global_store_dword v[18:19], v2, off
	s_waitcnt vmcnt(1)
	v_fma_f32 v2, -v12, v4, v8
.LBB54_16:                              ;   in Loop: Header=BB54_5 Depth=1
	s_or_b64 exec, exec, s[20:21]
	v_mov_b32_e32 v5, v2
                                        ; implicit-def: $vgpr7
                                        ; implicit-def: $vgpr16
                                        ; implicit-def: $vgpr10
                                        ; implicit-def: $vgpr8_vgpr9
.LBB54_17:                              ;   in Loop: Header=BB54_5 Depth=1
	s_or_saveexec_b64 s[2:3], s[4:5]
	v_mov_b32_e32 v2, s27
	s_xor_b64 exec, exec, s[2:3]
	s_cbranch_execz .LBB54_4
; %bb.18:                               ;   in Loop: Header=BB54_5 Depth=1
	v_div_scale_f32 v2, s[4:5], v5, v5, 1.0
	v_rcp_f32_e32 v6, v2
	v_div_scale_f32 v11, vcc, 1.0, v5, 1.0
	v_fma_f32 v12, -v2, v6, 1.0
	v_fmac_f32_e32 v6, v12, v6
	v_mul_f32_e32 v12, v11, v6
	v_fma_f32 v17, -v2, v12, v11
	v_fmac_f32_e32 v12, v17, v6
	v_fma_f32 v2, -v2, v12, v11
	v_div_fmas_f32 v2, v2, v6, v12
	v_div_fixup_f32 v5, v2, v5, 1.0
	s_waitcnt vmcnt(0)
	v_mul_f32_e32 v6, v5, v10
	global_store_dword v[8:9], v6, off
	s_and_saveexec_b64 s[4:5], s[0:1]
	s_cbranch_execz .LBB54_3
; %bb.19:                               ;   in Loop: Header=BB54_5 Depth=1
	v_add_u32_e32 v2, v15, v1
	v_lshl_add_u64 v[8:9], v[2:3], 2, s[8:9]
	global_load_dword v2, v[8:9], off
	s_waitcnt vmcnt(0)
	v_fma_f32 v2, -v4, v6, v2
	global_store_dword v[8:9], v2, off
	s_branch .LBB54_3
.LBB54_20:
	s_or_b64 exec, exec, s[18:19]
	s_branch .LBB54_22
.LBB54_21:
	v_mov_b32_e32 v1, 0
.LBB54_22:
	v_subrev_u32_e32 v1, s22, v1
	v_add_u32_e32 v2, v1, v0
	v_ashrrev_i32_e32 v3, 31, v2
	s_waitcnt lgkmcnt(0)
	v_lshl_add_u64 v[2:3], v[2:3], 2, s[6:7]
	buffer_wbl2 sc1
	s_waitcnt vmcnt(0)
	buffer_inv sc1
	global_load_dword v2, v[2:3], off
	s_waitcnt vmcnt(0)
	v_mul_lo_u32 v2, v2, s22
	v_sub_u32_e32 v1, v1, v2
	v_cmp_lt_i32_e32 vcc, -1, v1
	s_and_b64 exec, exec, vcc
	s_cbranch_execz .LBB54_29
; %bb.23:
	s_add_i32 s0, s23, s22
	v_add_u32_e32 v6, s0, v0
	s_lshl_b32 s4, s22, 1
	s_mov_b64 s[0:1], 0
	v_mov_b32_e32 v3, 0
	s_branch .LBB54_25
.LBB54_24:                              ;   in Loop: Header=BB54_25 Depth=1
	s_or_b64 exec, exec, s[2:3]
	v_sub_u32_e32 v1, v1, v2
	v_cmp_gt_i32_e32 vcc, 0, v1
	s_or_b64 s[0:1], vcc, s[0:1]
	s_andn2_b64 exec, exec, s[0:1]
	s_cbranch_execz .LBB54_29
.LBB54_25:                              ; =>This Inner Loop Header: Depth=1
	v_add_u32_e32 v4, v1, v0
	s_waitcnt vmcnt(0)
	v_ashrrev_i32_e32 v5, 31, v4
	v_lshlrev_b64 v[8:9], 2, v[4:5]
	v_lshl_add_u64 v[10:11], s[6:7], 0, v[8:9]
	global_load_dword v2, v[10:11], off
	v_lshl_add_u64 v[8:9], s[10:11], 0, v[8:9]
	global_load_dword v5, v[8:9], off
	s_waitcnt vmcnt(1)
	v_cmp_ne_u32_e32 vcc, 1, v2
	s_and_saveexec_b64 s[2:3], vcc
	s_xor_b64 s[2:3], exec, s[2:3]
	s_cbranch_execz .LBB54_27
; %bb.26:                               ;   in Loop: Header=BB54_25 Depth=1
	v_add_u32_e32 v2, v6, v1
	v_lshl_add_u64 v[8:9], v[2:3], 2, s[8:9]
	v_add_u32_e32 v2, s23, v4
	v_lshl_add_u64 v[10:11], v[2:3], 2, s[8:9]
	global_load_dword v7, v[8:9], off
	global_load_dword v4, v[10:11], off
	v_subrev_u32_e32 v2, s22, v1
	v_add_u32_e32 v8, v2, v0
	v_ashrrev_i32_e32 v9, 31, v8
	v_add_u32_e32 v2, s23, v8
	v_lshl_add_u64 v[8:9], v[8:9], 2, s[10:11]
	global_load_dword v8, v[8:9], off
	s_waitcnt vmcnt(1)
	v_fma_f32 v4, -v5, v7, v4
	global_store_dword v[10:11], v4, off
	v_lshl_add_u64 v[4:5], v[2:3], 2, s[8:9]
	global_load_dword v2, v[4:5], off
	s_waitcnt vmcnt(0)
	v_fma_f32 v2, -v8, v7, v2
	global_store_dword v[4:5], v2, off
                                        ; implicit-def: $vgpr4
                                        ; implicit-def: $vgpr5
.LBB54_27:                              ;   in Loop: Header=BB54_25 Depth=1
	s_or_saveexec_b64 s[2:3], s[2:3]
	v_mov_b32_e32 v2, s4
	s_xor_b64 exec, exec, s[2:3]
	s_cbranch_execz .LBB54_24
; %bb.28:                               ;   in Loop: Header=BB54_25 Depth=1
	v_add_u32_e32 v2, v6, v1
	v_lshl_add_u64 v[8:9], v[2:3], 2, s[8:9]
	v_add_u32_e32 v2, s23, v4
	v_lshl_add_u64 v[10:11], v[2:3], 2, s[8:9]
	global_load_dword v2, v[8:9], off
	global_load_dword v4, v[10:11], off
	s_waitcnt vmcnt(0)
	v_fma_f32 v2, -v5, v2, v4
	global_store_dword v[10:11], v2, off
	v_mov_b32_e32 v2, s22
	s_branch .LBB54_24
.LBB54_29:
	s_endpgm
	.section	.rodata,"a",@progbits
	.p2align	6, 0x0
	.amdhsa_kernel _ZN9rocsparseL19gtsv_LBM_rhs_kernelILj256ELj32ELj1EfEEviiiPKT2_S3_S3_PS1_S3_PKi
		.amdhsa_group_segment_fixed_size 0
		.amdhsa_private_segment_fixed_size 0
		.amdhsa_kernarg_size 64
		.amdhsa_user_sgpr_count 2
		.amdhsa_user_sgpr_dispatch_ptr 0
		.amdhsa_user_sgpr_queue_ptr 0
		.amdhsa_user_sgpr_kernarg_segment_ptr 1
		.amdhsa_user_sgpr_dispatch_id 0
		.amdhsa_user_sgpr_kernarg_preload_length 0
		.amdhsa_user_sgpr_kernarg_preload_offset 0
		.amdhsa_user_sgpr_private_segment_size 0
		.amdhsa_uses_dynamic_stack 0
		.amdhsa_enable_private_segment 0
		.amdhsa_system_sgpr_workgroup_id_x 1
		.amdhsa_system_sgpr_workgroup_id_y 1
		.amdhsa_system_sgpr_workgroup_id_z 0
		.amdhsa_system_sgpr_workgroup_info 0
		.amdhsa_system_vgpr_workitem_id 0
		.amdhsa_next_free_vgpr 24
		.amdhsa_next_free_sgpr 28
		.amdhsa_accum_offset 24
		.amdhsa_reserve_vcc 1
		.amdhsa_float_round_mode_32 0
		.amdhsa_float_round_mode_16_64 0
		.amdhsa_float_denorm_mode_32 3
		.amdhsa_float_denorm_mode_16_64 3
		.amdhsa_dx10_clamp 1
		.amdhsa_ieee_mode 1
		.amdhsa_fp16_overflow 0
		.amdhsa_tg_split 0
		.amdhsa_exception_fp_ieee_invalid_op 0
		.amdhsa_exception_fp_denorm_src 0
		.amdhsa_exception_fp_ieee_div_zero 0
		.amdhsa_exception_fp_ieee_overflow 0
		.amdhsa_exception_fp_ieee_underflow 0
		.amdhsa_exception_fp_ieee_inexact 0
		.amdhsa_exception_int_div_zero 0
	.end_amdhsa_kernel
	.section	.text._ZN9rocsparseL19gtsv_LBM_rhs_kernelILj256ELj32ELj1EfEEviiiPKT2_S3_S3_PS1_S3_PKi,"axG",@progbits,_ZN9rocsparseL19gtsv_LBM_rhs_kernelILj256ELj32ELj1EfEEviiiPKT2_S3_S3_PS1_S3_PKi,comdat
.Lfunc_end54:
	.size	_ZN9rocsparseL19gtsv_LBM_rhs_kernelILj256ELj32ELj1EfEEviiiPKT2_S3_S3_PS1_S3_PKi, .Lfunc_end54-_ZN9rocsparseL19gtsv_LBM_rhs_kernelILj256ELj32ELj1EfEEviiiPKT2_S3_S3_PS1_S3_PKi
                                        ; -- End function
	.set _ZN9rocsparseL19gtsv_LBM_rhs_kernelILj256ELj32ELj1EfEEviiiPKT2_S3_S3_PS1_S3_PKi.num_vgpr, 24
	.set _ZN9rocsparseL19gtsv_LBM_rhs_kernelILj256ELj32ELj1EfEEviiiPKT2_S3_S3_PS1_S3_PKi.num_agpr, 0
	.set _ZN9rocsparseL19gtsv_LBM_rhs_kernelILj256ELj32ELj1EfEEviiiPKT2_S3_S3_PS1_S3_PKi.numbered_sgpr, 28
	.set _ZN9rocsparseL19gtsv_LBM_rhs_kernelILj256ELj32ELj1EfEEviiiPKT2_S3_S3_PS1_S3_PKi.num_named_barrier, 0
	.set _ZN9rocsparseL19gtsv_LBM_rhs_kernelILj256ELj32ELj1EfEEviiiPKT2_S3_S3_PS1_S3_PKi.private_seg_size, 0
	.set _ZN9rocsparseL19gtsv_LBM_rhs_kernelILj256ELj32ELj1EfEEviiiPKT2_S3_S3_PS1_S3_PKi.uses_vcc, 1
	.set _ZN9rocsparseL19gtsv_LBM_rhs_kernelILj256ELj32ELj1EfEEviiiPKT2_S3_S3_PS1_S3_PKi.uses_flat_scratch, 0
	.set _ZN9rocsparseL19gtsv_LBM_rhs_kernelILj256ELj32ELj1EfEEviiiPKT2_S3_S3_PS1_S3_PKi.has_dyn_sized_stack, 0
	.set _ZN9rocsparseL19gtsv_LBM_rhs_kernelILj256ELj32ELj1EfEEviiiPKT2_S3_S3_PS1_S3_PKi.has_recursion, 0
	.set _ZN9rocsparseL19gtsv_LBM_rhs_kernelILj256ELj32ELj1EfEEviiiPKT2_S3_S3_PS1_S3_PKi.has_indirect_call, 0
	.section	.AMDGPU.csdata,"",@progbits
; Kernel info:
; codeLenInByte = 1316
; TotalNumSgprs: 34
; NumVgprs: 24
; NumAgprs: 0
; TotalNumVgprs: 24
; ScratchSize: 0
; MemoryBound: 0
; FloatMode: 240
; IeeeMode: 1
; LDSByteSize: 0 bytes/workgroup (compile time only)
; SGPRBlocks: 4
; VGPRBlocks: 2
; NumSGPRsForWavesPerEU: 34
; NumVGPRsForWavesPerEU: 24
; AccumOffset: 24
; Occupancy: 8
; WaveLimiterHint : 0
; COMPUTE_PGM_RSRC2:SCRATCH_EN: 0
; COMPUTE_PGM_RSRC2:USER_SGPR: 2
; COMPUTE_PGM_RSRC2:TRAP_HANDLER: 0
; COMPUTE_PGM_RSRC2:TGID_X_EN: 1
; COMPUTE_PGM_RSRC2:TGID_Y_EN: 1
; COMPUTE_PGM_RSRC2:TGID_Z_EN: 0
; COMPUTE_PGM_RSRC2:TIDIG_COMP_CNT: 0
; COMPUTE_PGM_RSRC3_GFX90A:ACCUM_OFFSET: 5
; COMPUTE_PGM_RSRC3_GFX90A:TG_SPLIT: 0
	.section	.text._ZN9rocsparseL29gtsv_spike_block_level_kernelILj256ELj32EfEEviiiPT1_PKS1_S4_S2_S2_S2_S2_S2_,"axG",@progbits,_ZN9rocsparseL29gtsv_spike_block_level_kernelILj256ELj32EfEEviiiPT1_PKS1_S4_S2_S2_S2_S2_S2_,comdat
	.globl	_ZN9rocsparseL29gtsv_spike_block_level_kernelILj256ELj32EfEEviiiPT1_PKS1_S4_S2_S2_S2_S2_S2_ ; -- Begin function _ZN9rocsparseL29gtsv_spike_block_level_kernelILj256ELj32EfEEviiiPT1_PKS1_S4_S2_S2_S2_S2_S2_
	.p2align	8
	.type	_ZN9rocsparseL29gtsv_spike_block_level_kernelILj256ELj32EfEEviiiPT1_PKS1_S4_S2_S2_S2_S2_S2_,@function
_ZN9rocsparseL29gtsv_spike_block_level_kernelILj256ELj32EfEEviiiPT1_PKS1_S4_S2_S2_S2_S2_S2_: ; @_ZN9rocsparseL29gtsv_spike_block_level_kernelILj256ELj32EfEEviiiPT1_PKS1_S4_S2_S2_S2_S2_S2_
; %bb.0:
	s_load_dword s14, s[0:1], 0x0
	s_load_dwordx2 s[8:9], s[0:1], 0x18
	v_lshl_or_b32 v2, s2, 8, v0
	v_mov_b32_e32 v4, 0
	v_mov_b32_e32 v3, 0
	s_waitcnt lgkmcnt(0)
	s_lshr_b32 s18, s14, 5
	v_cmp_gt_i32_e64 s[4:5], s18, v2
	s_and_saveexec_b64 s[6:7], s[4:5]
	s_cbranch_execz .LBB55_2
; %bb.1:
	v_ashrrev_i32_e32 v3, 31, v2
	v_lshl_add_u64 v[6:7], v[2:3], 2, s[8:9]
	global_load_dword v3, v[6:7], off
.LBB55_2:
	s_or_b64 exec, exec, s[6:7]
	s_load_dwordx2 s[6:7], s[0:1], 0x20
	v_lshlrev_b32_e32 v1, 2, v0
	v_or_b32_e32 v6, 0x800, v1
	s_waitcnt vmcnt(0)
	ds_write_b32 v1, v3 offset:2048
	s_and_saveexec_b64 s[10:11], s[4:5]
	s_cbranch_execz .LBB55_4
; %bb.3:
	v_mad_u64_u32 v[4:5], s[12:13], s18, 31, v[2:3]
	v_mov_b32_e32 v5, 0
	v_lshl_add_u64 v[4:5], v[4:5], 2, s[8:9]
	global_load_dword v4, v[4:5], off
.LBB55_4:
	s_or_b64 exec, exec, s[10:11]
	s_waitcnt vmcnt(0)
	ds_write_b32 v6, v4 offset:1024
	v_mov_b32_e32 v4, 0
	v_mov_b32_e32 v3, 0
	s_and_saveexec_b64 s[8:9], s[4:5]
	s_cbranch_execz .LBB55_6
; %bb.5:
	v_ashrrev_i32_e32 v3, 31, v2
	s_waitcnt lgkmcnt(0)
	v_lshl_add_u64 v[8:9], v[2:3], 2, s[6:7]
	global_load_dword v3, v[8:9], off
.LBB55_6:
	s_or_b64 exec, exec, s[8:9]
	s_load_dwordx2 s[12:13], s[0:1], 0x10
	s_waitcnt vmcnt(0)
	ds_write_b32 v1, v3
	s_and_saveexec_b64 s[8:9], s[4:5]
	s_cbranch_execz .LBB55_8
; %bb.7:
	v_mad_u64_u32 v[4:5], s[10:11], s18, 31, v[2:3]
	v_mov_b32_e32 v5, 0
	s_waitcnt lgkmcnt(0)
	v_lshl_add_u64 v[4:5], v[4:5], 2, s[6:7]
	global_load_dword v4, v[4:5], off
.LBB55_8:
	s_or_b64 exec, exec, s[8:9]
	s_mul_i32 s14, s14, s3
	s_waitcnt vmcnt(0)
	ds_write_b32 v1, v4 offset:1024
	v_mov_b32_e32 v3, 0
	v_add_u32_e32 v4, s14, v2
	v_mov_b32_e32 v7, 0
	s_waitcnt lgkmcnt(0)
	s_and_saveexec_b64 s[6:7], s[4:5]
	s_cbranch_execz .LBB55_10
; %bb.9:
	v_ashrrev_i32_e32 v5, 31, v4
	v_lshl_add_u64 v[8:9], v[4:5], 2, s[12:13]
	global_load_dword v7, v[8:9], off
.LBB55_10:
	s_or_b64 exec, exec, s[6:7]
	v_or_b32_e32 v5, 0x1000, v1
	s_mul_i32 s19, s18, 31
	s_waitcnt vmcnt(0)
	ds_write_b32 v1, v7 offset:4096
	s_and_saveexec_b64 s[6:7], s[4:5]
	s_cbranch_execz .LBB55_12
; %bb.11:
	s_mul_i32 s8, s18, 31
	s_add_i32 s8, s8, s14
	v_add_u32_e32 v8, s8, v2
	v_mov_b32_e32 v9, 0
	v_lshl_add_u64 v[8:9], v[8:9], 2, s[12:13]
	global_load_dword v3, v[8:9], off
.LBB55_12:
	s_or_b64 exec, exec, s[6:7]
	s_movk_i32 s6, 0x80
	v_cmp_gt_u32_e32 vcc, s6, v0
	s_waitcnt vmcnt(0)
	ds_write_b32 v5, v3 offset:1024
	s_waitcnt lgkmcnt(0)
	s_barrier
	s_and_saveexec_b64 s[6:7], vcc
	s_cbranch_execz .LBB55_14
; %bb.13:
	v_add_u32_e32 v3, v6, v1
	v_add_u32_e32 v7, v1, v1
	ds_read2st64_b64 v[8:11], v3 offset1:2
	ds_read2st64_b64 v[12:15], v7 offset1:2
	v_add_u32_e32 v22, v5, v1
	ds_read2st64_b64 v[16:19], v22 offset1:2
	s_waitcnt lgkmcnt(1)
	v_fma_f32 v20, -v9, v14, 1.0
	v_div_scale_f32 v21, s[8:9], v20, v20, 1.0
	v_rcp_f32_e32 v23, v21
	v_div_scale_f32 v24, vcc, 1.0, v20, 1.0
	v_fma_f32 v25, -v21, v23, 1.0
	v_fmac_f32_e32 v23, v25, v23
	v_mul_f32_e32 v25, v24, v23
	v_fma_f32 v26, -v21, v25, v24
	v_fmac_f32_e32 v25, v26, v23
	v_fma_f32 v21, -v21, v25, v24
	v_div_fmas_f32 v21, v21, v23, v25
	v_div_fixup_f32 v23, v21, v20, 1.0
	s_waitcnt lgkmcnt(0)
	v_fma_f32 v20, -v14, v17, v18
	v_fma_f32 v17, -v9, v18, v17
	v_mul_f32_e32 v14, v14, v13
	v_mul_f32_e32 v9, v9, v10
	;; [unrolled: 1-line block ×4, first 2 shown]
	v_mul_f32_e64 v14, v14, -v23
	v_mul_f32_e32 v13, v23, v13
	v_mul_f32_e64 v9, v9, -v23
	v_mul_f32_e32 v10, v23, v10
	v_fma_f32 v16, -v17, v12, v16
	v_fma_f32 v21, -v11, v20, v19
	;; [unrolled: 1-line block ×3, first 2 shown]
	v_mul_f32_e64 v12, v13, -v12
	v_fma_f32 v15, -v14, v11, v15
	v_mul_f32_e64 v11, v10, -v11
	ds_write2st64_b64 v22, v[16:17], v[20:21] offset1:2
	ds_write2st64_b64 v7, v[12:13], v[14:15] offset1:2
	;; [unrolled: 1-line block ×3, first 2 shown]
.LBB55_14:
	s_or_b64 exec, exec, s[6:7]
	v_cmp_gt_u32_e32 vcc, 64, v0
	s_waitcnt lgkmcnt(0)
	s_barrier
	s_and_saveexec_b64 s[6:7], vcc
	s_cbranch_execz .LBB55_16
; %bb.15:
	v_lshlrev_b32_e32 v3, 4, v0
	v_add_u32_e32 v7, 0x800, v3
	v_add_u32_e32 v20, 0x400, v3
	ds_read2_b32 v[8:9], v7 offset1:2
	ds_read2_b32 v[10:11], v20 offset0:1 offset1:3
	v_mad_u32_u24 v21, v0, 12, v5
	v_add_u32_e32 v22, 0x400, v21
	v_add_u32_e32 v25, 0xc00, v3
	s_waitcnt lgkmcnt(0)
	v_fma_f32 v16, -v9, v10, 1.0
	v_div_scale_f32 v17, s[8:9], v16, v16, 1.0
	v_rcp_f32_e32 v18, v17
	v_div_scale_f32 v19, vcc, 1.0, v16, 1.0
	v_fma_f32 v12, -v17, v18, 1.0
	v_fmac_f32_e32 v18, v12, v18
	v_mul_f32_e32 v23, v19, v18
	v_fma_f32 v12, -v17, v23, v19
	v_fmac_f32_e32 v23, v12, v18
	ds_read2_b32 v[12:13], v22 offset0:1 offset1:3
	ds_read2_b32 v[14:15], v21 offset1:2
	v_fma_f32 v17, -v17, v23, v19
	v_div_fmas_f32 v17, v17, v18, v23
	v_div_fixup_f32 v23, v17, v16, 1.0
	ds_read2_b32 v[18:19], v25 offset0:1 offset1:3
	s_waitcnt lgkmcnt(1)
	v_fma_f32 v16, -v10, v15, v12
	v_mul_f32_e32 v24, v23, v16
	ds_read2_b32 v[16:17], v3 offset1:2
	v_fma_f32 v12, -v9, v12, v15
	v_mul_f32_e32 v12, v12, v23
	s_waitcnt lgkmcnt(1)
	v_mul_f32_e32 v9, v9, v18
	v_mul_f32_e64 v9, v9, -v23
	s_waitcnt lgkmcnt(0)
	v_fma_f32 v14, -v12, v16, v14
	ds_write2_b32 v21, v14, v12 offset1:2
	v_fma_f32 v12, -v19, v24, v13
	ds_write2_b32 v22, v24, v12 offset0:1 offset1:3
	v_mul_f32_e32 v10, v10, v17
	v_mul_f32_e32 v12, v23, v17
	v_fma_f32 v8, -v9, v16, v8
	v_mul_f32_e64 v10, v10, -v23
	ds_write2_b32 v7, v8, v9 offset1:2
	v_mul_f32_e64 v7, v12, -v16
	v_mul_f32_e32 v13, v23, v18
	ds_write2_b32 v3, v7, v12 offset1:2
	v_fma_f32 v3, -v10, v19, v11
	ds_write2_b32 v20, v10, v3 offset0:1 offset1:3
	v_mul_f32_e64 v3, v13, -v19
	ds_write2_b32 v25, v13, v3 offset0:1 offset1:3
.LBB55_16:
	s_or_b64 exec, exec, s[6:7]
	v_cmp_gt_u32_e32 vcc, 32, v0
	s_waitcnt lgkmcnt(0)
	s_barrier
	s_and_saveexec_b64 s[6:7], vcc
	s_cbranch_execz .LBB55_18
; %bb.17:
	v_lshlrev_b32_e32 v3, 5, v0
	v_add_u32_e32 v7, 0x800, v3
	v_add_u32_e32 v20, 0x400, v3
	ds_read2_b32 v[8:9], v7 offset1:4
	ds_read2_b32 v[10:11], v20 offset0:3 offset1:7
	v_add_u32_e32 v21, 0x1400, v3
	v_add_u32_e32 v23, 0x1000, v3
	ds_read2_b32 v[12:13], v21 offset0:3 offset1:7
	v_add_u32_e32 v25, 0xc00, v3
	s_waitcnt lgkmcnt(1)
	v_fma_f32 v16, -v9, v10, 1.0
	v_div_scale_f32 v17, s[8:9], v16, v16, 1.0
	v_rcp_f32_e32 v18, v17
	v_div_scale_f32 v19, vcc, 1.0, v16, 1.0
	v_fma_f32 v14, -v17, v18, 1.0
	v_fmac_f32_e32 v18, v14, v18
	v_mul_f32_e32 v22, v19, v18
	v_fma_f32 v14, -v17, v22, v19
	v_fmac_f32_e32 v22, v14, v18
	ds_read2_b32 v[14:15], v23 offset1:4
	v_fma_f32 v17, -v17, v22, v19
	v_div_fmas_f32 v17, v17, v18, v22
	v_div_fixup_f32 v22, v17, v16, 1.0
	ds_read2_b32 v[18:19], v25 offset0:3 offset1:7
	s_waitcnt lgkmcnt(1)
	v_fma_f32 v16, -v10, v15, v12
	v_mul_f32_e32 v24, v22, v16
	ds_read2_b32 v[16:17], v3 offset1:4
	v_fma_f32 v12, -v9, v12, v15
	v_mul_f32_e32 v12, v12, v22
	s_waitcnt lgkmcnt(1)
	v_mul_f32_e32 v9, v9, v18
	v_mul_f32_e64 v9, v9, -v22
	s_waitcnt lgkmcnt(0)
	v_fma_f32 v14, -v12, v16, v14
	ds_write2_b32 v23, v14, v12 offset1:4
	v_fma_f32 v12, -v19, v24, v13
	ds_write2_b32 v21, v24, v12 offset0:3 offset1:7
	v_mul_f32_e32 v10, v10, v17
	v_mul_f32_e32 v12, v22, v17
	v_fma_f32 v8, -v9, v16, v8
	v_mul_f32_e64 v10, v10, -v22
	ds_write2_b32 v7, v8, v9 offset1:4
	v_mul_f32_e64 v7, v12, -v16
	v_mul_f32_e32 v13, v22, v18
	ds_write2_b32 v3, v7, v12 offset1:4
	v_fma_f32 v3, -v10, v19, v11
	ds_write2_b32 v20, v10, v3 offset0:3 offset1:7
	v_mul_f32_e64 v3, v13, -v19
	ds_write2_b32 v25, v13, v3 offset0:3 offset1:7
.LBB55_18:
	s_or_b64 exec, exec, s[6:7]
	v_cmp_gt_u32_e32 vcc, 16, v0
	s_waitcnt lgkmcnt(0)
	s_barrier
	s_and_saveexec_b64 s[6:7], vcc
	s_cbranch_execz .LBB55_20
; %bb.19:
	v_lshlrev_b32_e32 v3, 6, v0
	v_add_u32_e32 v7, 0x800, v3
	v_add_u32_e32 v20, 0x400, v3
	ds_read2_b32 v[8:9], v7 offset1:8
	ds_read2_b32 v[10:11], v20 offset0:7 offset1:15
	v_add_u32_e32 v21, 0x1400, v3
	v_add_u32_e32 v23, 0x1000, v3
	ds_read2_b32 v[12:13], v21 offset0:7 offset1:15
	v_add_u32_e32 v25, 0xc00, v3
	s_waitcnt lgkmcnt(1)
	v_fma_f32 v16, -v9, v10, 1.0
	v_div_scale_f32 v17, s[8:9], v16, v16, 1.0
	v_rcp_f32_e32 v18, v17
	v_div_scale_f32 v19, vcc, 1.0, v16, 1.0
	v_fma_f32 v14, -v17, v18, 1.0
	v_fmac_f32_e32 v18, v14, v18
	v_mul_f32_e32 v22, v19, v18
	v_fma_f32 v14, -v17, v22, v19
	v_fmac_f32_e32 v22, v14, v18
	ds_read2_b32 v[14:15], v23 offset1:8
	v_fma_f32 v17, -v17, v22, v19
	v_div_fmas_f32 v17, v17, v18, v22
	v_div_fixup_f32 v22, v17, v16, 1.0
	ds_read2_b32 v[18:19], v25 offset0:7 offset1:15
	s_waitcnt lgkmcnt(1)
	v_fma_f32 v16, -v10, v15, v12
	v_mul_f32_e32 v24, v22, v16
	ds_read2_b32 v[16:17], v3 offset1:8
	v_fma_f32 v12, -v9, v12, v15
	v_mul_f32_e32 v12, v12, v22
	s_waitcnt lgkmcnt(1)
	v_mul_f32_e32 v9, v9, v18
	v_mul_f32_e64 v9, v9, -v22
	s_waitcnt lgkmcnt(0)
	v_fma_f32 v14, -v12, v16, v14
	ds_write2_b32 v23, v14, v12 offset1:8
	v_fma_f32 v12, -v19, v24, v13
	ds_write2_b32 v21, v24, v12 offset0:7 offset1:15
	v_mul_f32_e32 v10, v10, v17
	v_mul_f32_e32 v12, v22, v17
	v_fma_f32 v8, -v9, v16, v8
	v_mul_f32_e64 v10, v10, -v22
	ds_write2_b32 v7, v8, v9 offset1:8
	v_mul_f32_e64 v7, v12, -v16
	v_mul_f32_e32 v13, v22, v18
	ds_write2_b32 v3, v7, v12 offset1:8
	v_fma_f32 v3, -v10, v19, v11
	ds_write2_b32 v20, v10, v3 offset0:7 offset1:15
	v_mul_f32_e64 v3, v13, -v19
	ds_write2_b32 v25, v13, v3 offset0:7 offset1:15
.LBB55_20:
	;; [unrolled: 58-line block ×4, first 2 shown]
	s_or_b64 exec, exec, s[6:7]
	v_cmp_gt_u32_e32 vcc, 2, v0
	s_waitcnt lgkmcnt(0)
	s_barrier
	s_and_saveexec_b64 s[6:7], vcc
	s_cbranch_execz .LBB55_26
; %bb.25:
	v_lshlrev_b32_e32 v3, 9, v0
	v_add_u32_e32 v7, 0xfc, v3
	ds_read2st64_b32 v[8:9], v7 offset0:4 offset1:5
	ds_read2st64_b32 v[10:11], v3 offset0:8 offset1:9
	;; [unrolled: 1-line block ×3, first 2 shown]
	ds_read2st64_b32 v[14:15], v3 offset1:1
	ds_read2st64_b32 v[16:17], v7 offset0:12 offset1:13
	ds_read2st64_b32 v[18:19], v7 offset0:20 offset1:21
	s_waitcnt lgkmcnt(4)
	v_fma_f32 v20, -v11, v8, 1.0
	v_div_scale_f32 v21, s[8:9], v20, v20, 1.0
	v_rcp_f32_e32 v22, v21
	s_nop 0
	v_fma_f32 v23, -v21, v22, 1.0
	v_fmac_f32_e32 v22, v23, v22
	v_div_scale_f32 v23, vcc, 1.0, v20, 1.0
	v_mul_f32_e32 v24, v23, v22
	v_fma_f32 v25, -v21, v24, v23
	v_fmac_f32_e32 v24, v25, v22
	v_fma_f32 v21, -v21, v24, v23
	v_div_fmas_f32 v21, v21, v22, v24
	v_div_fixup_f32 v20, v21, v20, 1.0
	s_waitcnt lgkmcnt(0)
	v_fma_f32 v21, -v8, v13, v18
	v_fma_f32 v13, -v11, v18, v13
	v_mul_f32_e32 v13, v13, v20
	v_mul_f32_e32 v21, v20, v21
	v_fma_f32 v12, -v13, v14, v12
	v_mul_f32_e32 v11, v11, v16
	ds_write2st64_b32 v3, v12, v13 offset0:16 offset1:17
	v_fma_f32 v12, -v17, v21, v19
	v_mul_f32_e64 v11, v11, -v20
	ds_write2st64_b32 v7, v21, v12 offset0:20 offset1:21
	v_mul_f32_e32 v8, v8, v15
	v_mul_f32_e32 v12, v20, v15
	v_fma_f32 v10, -v11, v14, v10
	v_mul_f32_e64 v8, v8, -v20
	ds_write2st64_b32 v3, v10, v11 offset0:8 offset1:9
	v_mul_f32_e64 v10, v12, -v14
	v_mul_f32_e32 v13, v20, v16
	ds_write2st64_b32 v3, v10, v12 offset1:1
	v_fma_f32 v3, -v8, v17, v9
	ds_write2st64_b32 v7, v8, v3 offset0:4 offset1:5
	v_mul_f32_e64 v3, v13, -v17
	ds_write2st64_b32 v7, v13, v3 offset0:12 offset1:13
.LBB55_26:
	s_or_b64 exec, exec, s[6:7]
	v_cmp_eq_u32_e64 s[6:7], 0, v0
	s_waitcnt lgkmcnt(0)
	s_barrier
	s_and_saveexec_b64 s[8:9], s[6:7]
	s_cbranch_execz .LBB55_28
; %bb.27:
	s_movk_i32 s10, 0xa00
	v_add_u32_e64 v3, s10, 0
	v_mov_b32_e32 v0, 0
	ds_read2_b32 v[8:9], v3 offset1:255
	ds_read_b32 v7, v0 offset:1532
	v_mov_b32_e32 v18, 0x7fc
	ds_read2_b32 v[10:11], v18 offset1:1
	ds_read_b32 v19, v0 offset:6140
	v_mov_b32_e32 v21, 0xffc
	ds_read2_b32 v[12:13], v21 offset1:1
	s_waitcnt lgkmcnt(3)
	v_fma_f32 v16, -v8, v7, 1.0
	v_div_scale_f32 v17, s[10:11], v16, v16, 1.0
	v_rcp_f32_e32 v20, v17
	v_div_scale_f32 v22, vcc, 1.0, v16, 1.0
	s_movk_i32 s10, 0x1200
	v_fma_f32 v14, -v17, v20, 1.0
	v_fmac_f32_e32 v20, v14, v20
	v_mul_f32_e32 v23, v22, v20
	v_fma_f32 v14, -v17, v23, v22
	v_fmac_f32_e32 v23, v14, v20
	v_add_u32_e64 v24, s10, 0
	ds_read2_b32 v[14:15], v24 offset1:255
	v_fma_f32 v17, -v17, v23, v22
	v_div_fmas_f32 v17, v17, v20, v23
	v_div_fixup_f32 v20, v17, v16, 1.0
	ds_read2st64_b32 v[16:17], v0 offset1:2
	s_waitcnt lgkmcnt(1)
	v_fma_f32 v22, -v7, v14, v15
	v_fma_f32 v14, -v8, v15, v14
	v_mul_f32_e32 v22, v20, v22
	v_mul_f32_e32 v14, v14, v20
	ds_write2_b32 v24, v14, v22 offset1:255
	s_waitcnt lgkmcnt(1)
	v_fma_f32 v13, -v14, v16, v13
	v_fma_f32 v14, -v12, v22, v19
	v_mul_f32_e32 v8, v8, v9
	ds_write_b32 v0, v14 offset:6140
	v_mul_f32_e32 v7, v7, v17
	v_mul_f32_e32 v14, v20, v17
	v_mul_f32_e64 v8, v8, -v20
	v_mul_f32_e32 v9, v20, v9
	v_mul_f32_e64 v7, v7, -v20
	ds_write2_b32 v3, v8, v9 offset1:255
	v_fma_f32 v3, -v8, v16, v11
	v_mul_f32_e64 v8, v14, -v16
	ds_write_b32 v0, v7 offset:1532
	ds_write2st64_b32 v0, v8, v14 offset1:2
	v_fma_f32 v0, -v7, v12, v10
	ds_write2_b32 v18, v0, v3 offset1:1
	v_mul_f32_e64 v0, v9, -v12
	ds_write2_b32 v21, v0, v13 offset1:1
.LBB55_28:
	s_or_b64 exec, exec, s[8:9]
	s_load_dwordx2 s[14:15], s[0:1], 0x48
	s_load_dwordx4 s[8:11], s[0:1], 0x38
	s_waitcnt lgkmcnt(0)
	s_barrier
	s_and_saveexec_b64 s[16:17], s[4:5]
	s_cbranch_execnz .LBB55_31
; %bb.29:
	s_or_b64 exec, exec, s[16:17]
	s_and_saveexec_b64 s[4:5], s[6:7]
	s_cbranch_execnz .LBB55_35
.LBB55_30:
	s_endpgm
.LBB55_31:
	s_cmp_eq_u32 s3, 0
	s_cbranch_scc1 .LBB55_39
; %bb.32:
	s_mul_i32 s18, s18, 31
	s_cbranch_execnz .LBB55_34
.LBB55_33:
	s_load_dwordx4 s[20:23], s[0:1], 0x28
	ds_read2st64_b32 v[6:7], v6 offset1:4
	ds_read2st64_b32 v[0:1], v1 offset1:4
	v_ashrrev_i32_e32 v3, 31, v2
	v_add_u32_e32 v8, s19, v2
	v_lshlrev_b64 v[2:3], 2, v[2:3]
	v_mov_b32_e32 v9, 0
	s_waitcnt lgkmcnt(0)
	v_lshl_add_u64 v[10:11], s[20:21], 0, v[2:3]
	v_lshlrev_b64 v[8:9], 2, v[8:9]
	v_lshl_add_u64 v[2:3], s[22:23], 0, v[2:3]
	global_store_dword v[10:11], v6, off
	v_lshl_add_u64 v[10:11], s[20:21], 0, v[8:9]
	global_store_dword v[2:3], v0, off
	v_lshl_add_u64 v[2:3], s[22:23], 0, v[8:9]
	s_mov_b32 s18, s19
	global_store_dword v[10:11], v7, off
	global_store_dword v[2:3], v1, off
.LBB55_34:
	ds_read2st64_b32 v[0:1], v5 offset1:4
	v_ashrrev_i32_e32 v5, 31, v4
	v_add_u32_e32 v2, s18, v4
	v_mov_b32_e32 v3, 0
	v_lshl_add_u64 v[4:5], v[4:5], 2, s[12:13]
	v_lshl_add_u64 v[2:3], v[2:3], 2, s[12:13]
	s_waitcnt lgkmcnt(0)
	global_store_dword v[4:5], v0, off
	global_store_dword v[2:3], v1, off
	s_or_b64 exec, exec, s[16:17]
	s_and_saveexec_b64 s[4:5], s[6:7]
	s_cbranch_execz .LBB55_30
.LBB55_35:
	s_cmp_eq_u32 s3, 0
	s_cbranch_scc1 .LBB55_40
; %bb.36:
	s_load_dword s6, s[0:1], 0x50
	s_cbranch_execnz .LBB55_38
.LBB55_37:
	s_waitcnt lgkmcnt(0)
	s_load_dword s6, s[0:1], 0x50
	v_mov_b32_e32 v0, 0x7fc
	ds_read2_b32 v[0:1], v0 offset1:1
	s_mov_b32 s4, s3
	s_ashr_i32 s3, s2, 31
	s_lshl_b64 s[12:13], s[2:3], 2
	s_mov_b32 s3, s4
	s_add_u32 s4, s10, s12
	v_mov_b32_e32 v2, 0
	s_addc_u32 s5, s11, s13
	ds_read_b32 v3, v2 offset:4092
	ds_read_b32 v4, v2
	s_waitcnt lgkmcnt(0)
	s_add_i32 s0, s6, s2
	s_mov_b32 s1, 0
	s_lshl_b64 s[0:1], s[0:1], 2
	global_store_dword v2, v1, s[4:5]
	s_add_u32 s4, s10, s0
	s_addc_u32 s5, s11, s1
	global_store_dword v2, v3, s[4:5]
	s_add_u32 s4, s14, s12
	s_addc_u32 s5, s15, s13
	s_add_u32 s0, s14, s0
	s_addc_u32 s1, s15, s1
	global_store_dword v2, v4, s[4:5]
	global_store_dword v2, v0, s[0:1]
.LBB55_38:
	s_waitcnt lgkmcnt(0)
	s_mul_i32 s0, s6, s3
	s_lshl_b32 s0, s0, 1
	s_add_i32 s0, s0, s2
	s_mov_b32 s1, 0
	v_mov_b32_e32 v0, 0
	s_lshl_b64 s[2:3], s[0:1], 2
	ds_read_b32 v1, v0 offset:4096
	ds_read_b32 v2, v0 offset:6140
	s_add_u32 s2, s8, s2
	s_addc_u32 s3, s9, s3
	s_add_i32 s0, s0, s6
	s_lshl_b64 s[0:1], s[0:1], 2
	s_add_u32 s0, s8, s0
	s_addc_u32 s1, s9, s1
	s_waitcnt lgkmcnt(1)
	global_store_dword v0, v1, s[2:3]
	s_waitcnt lgkmcnt(0)
	global_store_dword v0, v2, s[0:1]
	s_endpgm
.LBB55_39:
                                        ; implicit-def: $sgpr18
	s_branch .LBB55_33
.LBB55_40:
                                        ; implicit-def: $sgpr6
	s_branch .LBB55_37
	.section	.rodata,"a",@progbits
	.p2align	6, 0x0
	.amdhsa_kernel _ZN9rocsparseL29gtsv_spike_block_level_kernelILj256ELj32EfEEviiiPT1_PKS1_S4_S2_S2_S2_S2_S2_
		.amdhsa_group_segment_fixed_size 6144
		.amdhsa_private_segment_fixed_size 0
		.amdhsa_kernarg_size 336
		.amdhsa_user_sgpr_count 2
		.amdhsa_user_sgpr_dispatch_ptr 0
		.amdhsa_user_sgpr_queue_ptr 0
		.amdhsa_user_sgpr_kernarg_segment_ptr 1
		.amdhsa_user_sgpr_dispatch_id 0
		.amdhsa_user_sgpr_kernarg_preload_length 0
		.amdhsa_user_sgpr_kernarg_preload_offset 0
		.amdhsa_user_sgpr_private_segment_size 0
		.amdhsa_uses_dynamic_stack 0
		.amdhsa_enable_private_segment 0
		.amdhsa_system_sgpr_workgroup_id_x 1
		.amdhsa_system_sgpr_workgroup_id_y 1
		.amdhsa_system_sgpr_workgroup_id_z 0
		.amdhsa_system_sgpr_workgroup_info 0
		.amdhsa_system_vgpr_workitem_id 0
		.amdhsa_next_free_vgpr 27
		.amdhsa_next_free_sgpr 24
		.amdhsa_accum_offset 28
		.amdhsa_reserve_vcc 1
		.amdhsa_float_round_mode_32 0
		.amdhsa_float_round_mode_16_64 0
		.amdhsa_float_denorm_mode_32 3
		.amdhsa_float_denorm_mode_16_64 3
		.amdhsa_dx10_clamp 1
		.amdhsa_ieee_mode 1
		.amdhsa_fp16_overflow 0
		.amdhsa_tg_split 0
		.amdhsa_exception_fp_ieee_invalid_op 0
		.amdhsa_exception_fp_denorm_src 0
		.amdhsa_exception_fp_ieee_div_zero 0
		.amdhsa_exception_fp_ieee_overflow 0
		.amdhsa_exception_fp_ieee_underflow 0
		.amdhsa_exception_fp_ieee_inexact 0
		.amdhsa_exception_int_div_zero 0
	.end_amdhsa_kernel
	.section	.text._ZN9rocsparseL29gtsv_spike_block_level_kernelILj256ELj32EfEEviiiPT1_PKS1_S4_S2_S2_S2_S2_S2_,"axG",@progbits,_ZN9rocsparseL29gtsv_spike_block_level_kernelILj256ELj32EfEEviiiPT1_PKS1_S4_S2_S2_S2_S2_S2_,comdat
.Lfunc_end55:
	.size	_ZN9rocsparseL29gtsv_spike_block_level_kernelILj256ELj32EfEEviiiPT1_PKS1_S4_S2_S2_S2_S2_S2_, .Lfunc_end55-_ZN9rocsparseL29gtsv_spike_block_level_kernelILj256ELj32EfEEviiiPT1_PKS1_S4_S2_S2_S2_S2_S2_
                                        ; -- End function
	.set _ZN9rocsparseL29gtsv_spike_block_level_kernelILj256ELj32EfEEviiiPT1_PKS1_S4_S2_S2_S2_S2_S2_.num_vgpr, 27
	.set _ZN9rocsparseL29gtsv_spike_block_level_kernelILj256ELj32EfEEviiiPT1_PKS1_S4_S2_S2_S2_S2_S2_.num_agpr, 0
	.set _ZN9rocsparseL29gtsv_spike_block_level_kernelILj256ELj32EfEEviiiPT1_PKS1_S4_S2_S2_S2_S2_S2_.numbered_sgpr, 24
	.set _ZN9rocsparseL29gtsv_spike_block_level_kernelILj256ELj32EfEEviiiPT1_PKS1_S4_S2_S2_S2_S2_S2_.num_named_barrier, 0
	.set _ZN9rocsparseL29gtsv_spike_block_level_kernelILj256ELj32EfEEviiiPT1_PKS1_S4_S2_S2_S2_S2_S2_.private_seg_size, 0
	.set _ZN9rocsparseL29gtsv_spike_block_level_kernelILj256ELj32EfEEviiiPT1_PKS1_S4_S2_S2_S2_S2_S2_.uses_vcc, 1
	.set _ZN9rocsparseL29gtsv_spike_block_level_kernelILj256ELj32EfEEviiiPT1_PKS1_S4_S2_S2_S2_S2_S2_.uses_flat_scratch, 0
	.set _ZN9rocsparseL29gtsv_spike_block_level_kernelILj256ELj32EfEEviiiPT1_PKS1_S4_S2_S2_S2_S2_S2_.has_dyn_sized_stack, 0
	.set _ZN9rocsparseL29gtsv_spike_block_level_kernelILj256ELj32EfEEviiiPT1_PKS1_S4_S2_S2_S2_S2_S2_.has_recursion, 0
	.set _ZN9rocsparseL29gtsv_spike_block_level_kernelILj256ELj32EfEEviiiPT1_PKS1_S4_S2_S2_S2_S2_S2_.has_indirect_call, 0
	.section	.AMDGPU.csdata,"",@progbits
; Kernel info:
; codeLenInByte = 3748
; TotalNumSgprs: 30
; NumVgprs: 27
; NumAgprs: 0
; TotalNumVgprs: 27
; ScratchSize: 0
; MemoryBound: 0
; FloatMode: 240
; IeeeMode: 1
; LDSByteSize: 6144 bytes/workgroup (compile time only)
; SGPRBlocks: 3
; VGPRBlocks: 3
; NumSGPRsForWavesPerEU: 30
; NumVGPRsForWavesPerEU: 27
; AccumOffset: 28
; Occupancy: 8
; WaveLimiterHint : 0
; COMPUTE_PGM_RSRC2:SCRATCH_EN: 0
; COMPUTE_PGM_RSRC2:USER_SGPR: 2
; COMPUTE_PGM_RSRC2:TRAP_HANDLER: 0
; COMPUTE_PGM_RSRC2:TGID_X_EN: 1
; COMPUTE_PGM_RSRC2:TGID_Y_EN: 1
; COMPUTE_PGM_RSRC2:TGID_Z_EN: 0
; COMPUTE_PGM_RSRC2:TIDIG_COMP_CNT: 0
; COMPUTE_PGM_RSRC3_GFX90A:ACCUM_OFFSET: 6
; COMPUTE_PGM_RSRC3_GFX90A:TG_SPLIT: 0
	.section	.text._ZN9rocsparseL33gtsv_solve_spike_propagate_kernelILj256ELj32EfEEviiiPT1_PKS1_S4_S4_,"axG",@progbits,_ZN9rocsparseL33gtsv_solve_spike_propagate_kernelILj256ELj32EfEEviiiPT1_PKS1_S4_S4_,comdat
	.globl	_ZN9rocsparseL33gtsv_solve_spike_propagate_kernelILj256ELj32EfEEviiiPT1_PKS1_S4_S4_ ; -- Begin function _ZN9rocsparseL33gtsv_solve_spike_propagate_kernelILj256ELj32EfEEviiiPT1_PKS1_S4_S4_
	.p2align	8
	.type	_ZN9rocsparseL33gtsv_solve_spike_propagate_kernelILj256ELj32EfEEviiiPT1_PKS1_S4_S4_,@function
_ZN9rocsparseL33gtsv_solve_spike_propagate_kernelILj256ELj32EfEEviiiPT1_PKS1_S4_S4_: ; @_ZN9rocsparseL33gtsv_solve_spike_propagate_kernelILj256ELj32EfEEviiiPT1_PKS1_S4_S4_
; %bb.0:
	s_load_dword s8, s[0:1], 0x0
	v_lshl_or_b32 v2, s2, 8, v0
	v_mov_b32_e32 v4, 0
	v_ashrrev_i32_e32 v3, 31, v2
	v_mov_b32_e32 v5, 0
	s_waitcnt lgkmcnt(0)
	s_lshr_b32 s12, s8, 5
	v_cmp_le_i32_e64 s[4:5], s12, v2
	v_cmp_gt_i32_e32 vcc, s12, v2
	s_and_saveexec_b64 s[6:7], vcc
	s_cbranch_execz .LBB56_2
; %bb.1:
	s_load_dwordx2 s[10:11], s[0:1], 0x18
	v_mad_u64_u32 v[4:5], s[14:15], s12, 31, v[2:3]
	v_mov_b32_e32 v5, 0
	s_waitcnt lgkmcnt(0)
	v_lshl_add_u64 v[6:7], v[2:3], 2, s[10:11]
	v_lshl_add_u64 v[8:9], v[4:5], 2, s[10:11]
	global_load_dword v4, v[6:7], off
	global_load_dword v5, v[8:9], off
.LBB56_2:
	s_or_b64 exec, exec, s[6:7]
	s_load_dwordx2 s[6:7], s[0:1], 0x10
	v_lshlrev_b32_e32 v1, 2, v0
	v_add_u32_e32 v6, 16, v1
	s_waitcnt vmcnt(0)
	ds_write2st64_b32 v6, v4, v5 offset0:16 offset1:20
	s_and_saveexec_b64 s[10:11], s[4:5]
	s_xor_b64 s[4:5], exec, s[10:11]
; %bb.3:
	v_mov_b32_e32 v3, 0
	ds_write2st64_b32 v6, v3, v3 offset0:8 offset1:12
; %bb.4:
	s_or_saveexec_b64 s[4:5], s[4:5]
	v_mov_b32_e32 v4, 0
	s_mul_i32 s8, s8, s3
	v_mov_b32_e32 v5, 0
	s_xor_b64 exec, exec, s[4:5]
	s_cbranch_execz .LBB56_6
; %bb.5:
	s_load_dwordx2 s[10:11], s[0:1], 0x20
	v_mad_u64_u32 v[6:7], s[14:15], s12, 31, v[2:3]
	v_mov_b32_e32 v7, 0
	s_waitcnt lgkmcnt(0)
	v_lshl_add_u64 v[10:11], v[6:7], 2, s[10:11]
	v_add_u32_e32 v6, s8, v6
	v_lshl_add_u64 v[8:9], v[2:3], 2, s[10:11]
	v_lshl_add_u64 v[6:7], v[6:7], 2, s[6:7]
	global_load_dword v3, v[8:9], off
	global_load_dword v12, v[10:11], off
	;; [unrolled: 1-line block ×3, first 2 shown]
	v_add_u32_e32 v6, 16, v1
	s_waitcnt vmcnt(1)
	ds_write2st64_b32 v6, v3, v12 offset0:8 offset1:12
.LBB56_6:
	s_or_b64 exec, exec, s[4:5]
	v_add_u32_e32 v2, s8, v2
	s_waitcnt vmcnt(0)
	ds_write_b32 v1, v5 offset:4
	s_and_saveexec_b64 s[4:5], vcc
	s_cbranch_execz .LBB56_8
; %bb.7:
	v_ashrrev_i32_e32 v3, 31, v2
	s_waitcnt lgkmcnt(0)
	v_lshl_add_u64 v[4:5], v[2:3], 2, s[6:7]
	global_load_dword v4, v[4:5], off
.LBB56_8:
	s_or_b64 exec, exec, s[4:5]
	s_mov_b32 s14, 0
	v_cmp_eq_u32_e64 s[4:5], 0, v0
	s_waitcnt vmcnt(0)
	ds_write_b32 v1, v4 offset:1028
	s_waitcnt lgkmcnt(0)
	s_barrier
	s_and_saveexec_b64 s[8:9], s[4:5]
	s_cbranch_execz .LBB56_14
; %bb.9:
	s_load_dword s13, s[0:1], 0x30
	s_load_dwordx2 s[10:11], s[0:1], 0x28
	s_cmp_lt_i32 s2, 1
	s_waitcnt lgkmcnt(0)
	s_mul_i32 s3, s3, s13
	s_cbranch_scc1 .LBB56_11
; %bb.10:
	s_lshl_b32 s0, s3, 1
	s_add_i32 s1, s2, s13
	s_add_i32 s0, s1, s0
	s_add_i32 s0, s0, -1
	s_mov_b32 s1, 0
	s_lshl_b64 s[0:1], s[0:1], 2
	s_add_u32 s0, s10, s0
	s_addc_u32 s1, s11, s1
	s_load_dword s14, s[0:1], 0x0
.LBB56_11:
	s_add_i32 s0, s13, -1
	v_mov_b32_e32 v3, 0
	s_waitcnt lgkmcnt(0)
	v_mov_b32_e32 v4, s14
	s_mov_b32 s1, 0
	s_cmp_ge_u32 s2, s0
	s_mov_b32 s14, 0
	ds_write_b32 v3, v4
	s_cbranch_scc1 .LBB56_13
; %bb.12:
	s_lshl_b32 s0, s3, 1
	s_add_i32 s0, s2, s0
	s_add_i32 s14, s0, 1
	s_mov_b32 s15, 0
	s_lshl_b64 s[14:15], s[14:15], 2
	s_add_u32 s14, s10, s14
	s_addc_u32 s15, s11, s15
	s_load_dword s14, s[14:15], 0x0
.LBB56_13:
	s_lshl_b32 s0, s3, 1
	s_add_i32 s0, s0, s2
	s_lshl_b64 s[2:3], s[0:1], 2
	s_add_u32 s2, s10, s2
	s_addc_u32 s3, s11, s3
	s_add_i32 s0, s0, s13
	s_lshl_b64 s[0:1], s[0:1], 2
	s_add_u32 s0, s10, s0
	s_addc_u32 s1, s11, s1
	s_load_dword s10, s[0:1], 0x0
	s_load_dword s11, s[2:3], 0x0
	s_waitcnt lgkmcnt(0)
	v_mov_b32_e32 v4, s14
	ds_write_b32 v3, v4 offset:2052
	v_mov_b32_e32 v4, s10
	v_mov_b32_e32 v5, s11
	ds_write_b64 v3, v[4:5] offset:1024
.LBB56_14:
	s_or_b64 exec, exec, s[8:9]
	s_waitcnt lgkmcnt(0)
	s_barrier
	s_and_saveexec_b64 s[0:1], s[4:5]
	s_cbranch_execz .LBB56_16
; %bb.15:
	s_movk_i32 s2, 0xa10
	v_mov_b32_e32 v3, 0
	v_add_u32_e64 v6, s2, 0
	v_add_u32_e64 v8, 4, 0
	s_movk_i32 s2, 0x1210
	ds_read2st64_b32 v[4:5], v3 offset1:2
	ds_read2_b32 v[6:7], v6 offset1:255
	ds_read2st64_b32 v[8:9], v8 offset0:6 offset1:8
	v_add_u32_e64 v10, s2, 0
	ds_read2_b32 v[10:11], v10 offset1:255
	s_waitcnt lgkmcnt(1)
	v_fma_f32 v5, -v7, v9, v5
	s_waitcnt lgkmcnt(0)
	v_fma_f32 v5, -v11, v4, v5
	ds_write_b32 v3, v5 offset:512
	v_fma_f32 v5, -v6, v9, v8
	v_fma_f32 v4, -v10, v4, v5
	ds_write_b32 v3, v4 offset:1540
.LBB56_16:
	s_or_b64 exec, exec, s[0:1]
	v_cmp_gt_u32_e64 s[0:1], 2, v0
	s_waitcnt lgkmcnt(0)
	s_barrier
	s_and_saveexec_b64 s[2:3], s[0:1]
	s_cbranch_execz .LBB56_18
; %bb.17:
	s_movk_i32 s0, 0x1fc
	v_mad_u32_u24 v3, v0, s0, v1
	v_lshlrev_b32_e32 v10, 9, v0
	v_add_u32_e32 v6, 0x910, v10
	v_add_u32_e32 v8, 4, v3
	ds_read2st64_b32 v[4:5], v3 offset1:1
	ds_read2_b32 v[6:7], v6 offset1:255
	ds_read2st64_b32 v[8:9], v8 offset0:5 offset1:6
	v_add_u32_e32 v10, 0x1110, v10
	ds_read2_b32 v[10:11], v10 offset1:255
	s_waitcnt lgkmcnt(1)
	v_fma_f32 v5, -v7, v9, v5
	s_waitcnt lgkmcnt(0)
	v_fma_f32 v5, -v11, v4, v5
	ds_write_b32 v3, v5 offset:256
	v_fma_f32 v5, -v6, v9, v8
	v_fma_f32 v4, -v10, v4, v5
	ds_write_b32 v3, v4 offset:1284
.LBB56_18:
	s_or_b64 exec, exec, s[2:3]
	v_cmp_gt_u32_e64 s[0:1], 4, v0
	s_waitcnt lgkmcnt(0)
	s_barrier
	s_and_saveexec_b64 s[2:3], s[0:1]
	s_cbranch_execz .LBB56_20
; %bb.19:
	v_lshlrev_b32_e32 v3, 8, v0
	v_add_u32_e32 v6, 0x890, v3
	v_add_u32_e32 v8, 0x400, v3
	ds_read2_b32 v[4:5], v3 offset1:32
	ds_read2_b32 v[6:7], v6 offset1:255
	ds_read2_b32 v[8:9], v8 offset0:33 offset1:65
	v_add_u32_e32 v10, 0x1090, v3
	ds_read2_b32 v[10:11], v10 offset1:255
	s_waitcnt lgkmcnt(1)
	v_fma_f32 v5, -v7, v9, v5
	s_waitcnt lgkmcnt(0)
	v_fma_f32 v5, -v11, v4, v5
	ds_write_b32 v3, v5 offset:128
	v_fma_f32 v5, -v6, v9, v8
	v_fma_f32 v4, -v10, v4, v5
	ds_write_b32 v3, v4 offset:1156
.LBB56_20:
	s_or_b64 exec, exec, s[2:3]
	v_cmp_gt_u32_e64 s[0:1], 8, v0
	s_waitcnt lgkmcnt(0)
	s_barrier
	s_and_saveexec_b64 s[2:3], s[0:1]
	s_cbranch_execz .LBB56_22
; %bb.21:
	v_lshlrev_b32_e32 v3, 7, v0
	v_add_u32_e32 v6, 0x850, v3
	v_add_u32_e32 v8, 0x400, v3
	ds_read2_b32 v[4:5], v3 offset1:16
	ds_read2_b32 v[6:7], v6 offset1:255
	ds_read2_b32 v[8:9], v8 offset0:17 offset1:33
	v_add_u32_e32 v10, 0x1050, v3
	ds_read2_b32 v[10:11], v10 offset1:255
	s_waitcnt lgkmcnt(1)
	v_fma_f32 v5, -v7, v9, v5
	s_waitcnt lgkmcnt(0)
	v_fma_f32 v5, -v11, v4, v5
	ds_write_b32 v3, v5 offset:64
	v_fma_f32 v5, -v6, v9, v8
	v_fma_f32 v4, -v10, v4, v5
	ds_write_b32 v3, v4 offset:1092
.LBB56_22:
	;; [unrolled: 24-line block ×5, first 2 shown]
	s_or_b64 exec, exec, s[2:3]
	s_movk_i32 s0, 0x80
	v_cmp_gt_u32_e64 s[0:1], s0, v0
	s_waitcnt lgkmcnt(0)
	s_barrier
	s_and_saveexec_b64 s[2:3], s[0:1]
	s_cbranch_execz .LBB56_30
; %bb.29:
	v_lshlrev_b32_e32 v0, 3, v0
	v_add_u32_e32 v3, 0x814, v0
	ds_read2_b64 v[4:7], v0 offset1:129
	ds_read2_b32 v[8:9], v3 offset1:255
	v_add_u32_e32 v3, 0x1014, v0
	ds_read2_b32 v[10:11], v3 offset1:255
	s_waitcnt lgkmcnt(1)
	v_fma_f32 v3, -v9, v7, v5
	v_fma_f32 v5, -v8, v7, v6
	s_waitcnt lgkmcnt(0)
	v_fma_f32 v3, -v11, v4, v3
	ds_write_b32 v0, v3 offset:4
	v_fma_f32 v3, -v10, v4, v5
	ds_write_b32 v0, v3 offset:1032
.LBB56_30:
	s_or_b64 exec, exec, s[2:3]
	s_waitcnt lgkmcnt(0)
	s_barrier
	s_and_saveexec_b64 s[0:1], vcc
	s_cbranch_execz .LBB56_32
; %bb.31:
	v_add_u32_e32 v0, 4, v1
	ds_read2st64_b32 v[0:1], v0 offset1:4
	v_ashrrev_i32_e32 v3, 31, v2
	v_lshl_add_u64 v[4:5], v[2:3], 2, s[6:7]
	v_mad_u64_u32 v[2:3], s[0:1], s12, 31, v[2:3]
	v_mov_b32_e32 v3, 0
	v_lshl_add_u64 v[2:3], v[2:3], 2, s[6:7]
	s_waitcnt lgkmcnt(0)
	global_store_dword v[4:5], v1, off
	global_store_dword v[2:3], v0, off
.LBB56_32:
	s_endpgm
	.section	.rodata,"a",@progbits
	.p2align	6, 0x0
	.amdhsa_kernel _ZN9rocsparseL33gtsv_solve_spike_propagate_kernelILj256ELj32EfEEviiiPT1_PKS1_S4_S4_
		.amdhsa_group_segment_fixed_size 6160
		.amdhsa_private_segment_fixed_size 0
		.amdhsa_kernarg_size 304
		.amdhsa_user_sgpr_count 2
		.amdhsa_user_sgpr_dispatch_ptr 0
		.amdhsa_user_sgpr_queue_ptr 0
		.amdhsa_user_sgpr_kernarg_segment_ptr 1
		.amdhsa_user_sgpr_dispatch_id 0
		.amdhsa_user_sgpr_kernarg_preload_length 0
		.amdhsa_user_sgpr_kernarg_preload_offset 0
		.amdhsa_user_sgpr_private_segment_size 0
		.amdhsa_uses_dynamic_stack 0
		.amdhsa_enable_private_segment 0
		.amdhsa_system_sgpr_workgroup_id_x 1
		.amdhsa_system_sgpr_workgroup_id_y 1
		.amdhsa_system_sgpr_workgroup_id_z 0
		.amdhsa_system_sgpr_workgroup_info 0
		.amdhsa_system_vgpr_workitem_id 0
		.amdhsa_next_free_vgpr 13
		.amdhsa_next_free_sgpr 16
		.amdhsa_accum_offset 16
		.amdhsa_reserve_vcc 1
		.amdhsa_float_round_mode_32 0
		.amdhsa_float_round_mode_16_64 0
		.amdhsa_float_denorm_mode_32 3
		.amdhsa_float_denorm_mode_16_64 3
		.amdhsa_dx10_clamp 1
		.amdhsa_ieee_mode 1
		.amdhsa_fp16_overflow 0
		.amdhsa_tg_split 0
		.amdhsa_exception_fp_ieee_invalid_op 0
		.amdhsa_exception_fp_denorm_src 0
		.amdhsa_exception_fp_ieee_div_zero 0
		.amdhsa_exception_fp_ieee_overflow 0
		.amdhsa_exception_fp_ieee_underflow 0
		.amdhsa_exception_fp_ieee_inexact 0
		.amdhsa_exception_int_div_zero 0
	.end_amdhsa_kernel
	.section	.text._ZN9rocsparseL33gtsv_solve_spike_propagate_kernelILj256ELj32EfEEviiiPT1_PKS1_S4_S4_,"axG",@progbits,_ZN9rocsparseL33gtsv_solve_spike_propagate_kernelILj256ELj32EfEEviiiPT1_PKS1_S4_S4_,comdat
.Lfunc_end56:
	.size	_ZN9rocsparseL33gtsv_solve_spike_propagate_kernelILj256ELj32EfEEviiiPT1_PKS1_S4_S4_, .Lfunc_end56-_ZN9rocsparseL33gtsv_solve_spike_propagate_kernelILj256ELj32EfEEviiiPT1_PKS1_S4_S4_
                                        ; -- End function
	.set _ZN9rocsparseL33gtsv_solve_spike_propagate_kernelILj256ELj32EfEEviiiPT1_PKS1_S4_S4_.num_vgpr, 13
	.set _ZN9rocsparseL33gtsv_solve_spike_propagate_kernelILj256ELj32EfEEviiiPT1_PKS1_S4_S4_.num_agpr, 0
	.set _ZN9rocsparseL33gtsv_solve_spike_propagate_kernelILj256ELj32EfEEviiiPT1_PKS1_S4_S4_.numbered_sgpr, 16
	.set _ZN9rocsparseL33gtsv_solve_spike_propagate_kernelILj256ELj32EfEEviiiPT1_PKS1_S4_S4_.num_named_barrier, 0
	.set _ZN9rocsparseL33gtsv_solve_spike_propagate_kernelILj256ELj32EfEEviiiPT1_PKS1_S4_S4_.private_seg_size, 0
	.set _ZN9rocsparseL33gtsv_solve_spike_propagate_kernelILj256ELj32EfEEviiiPT1_PKS1_S4_S4_.uses_vcc, 1
	.set _ZN9rocsparseL33gtsv_solve_spike_propagate_kernelILj256ELj32EfEEviiiPT1_PKS1_S4_S4_.uses_flat_scratch, 0
	.set _ZN9rocsparseL33gtsv_solve_spike_propagate_kernelILj256ELj32EfEEviiiPT1_PKS1_S4_S4_.has_dyn_sized_stack, 0
	.set _ZN9rocsparseL33gtsv_solve_spike_propagate_kernelILj256ELj32EfEEviiiPT1_PKS1_S4_S4_.has_recursion, 0
	.set _ZN9rocsparseL33gtsv_solve_spike_propagate_kernelILj256ELj32EfEEviiiPT1_PKS1_S4_S4_.has_indirect_call, 0
	.section	.AMDGPU.csdata,"",@progbits
; Kernel info:
; codeLenInByte = 1844
; TotalNumSgprs: 22
; NumVgprs: 13
; NumAgprs: 0
; TotalNumVgprs: 13
; ScratchSize: 0
; MemoryBound: 0
; FloatMode: 240
; IeeeMode: 1
; LDSByteSize: 6160 bytes/workgroup (compile time only)
; SGPRBlocks: 2
; VGPRBlocks: 1
; NumSGPRsForWavesPerEU: 22
; NumVGPRsForWavesPerEU: 13
; AccumOffset: 16
; Occupancy: 8
; WaveLimiterHint : 0
; COMPUTE_PGM_RSRC2:SCRATCH_EN: 0
; COMPUTE_PGM_RSRC2:USER_SGPR: 2
; COMPUTE_PGM_RSRC2:TRAP_HANDLER: 0
; COMPUTE_PGM_RSRC2:TGID_X_EN: 1
; COMPUTE_PGM_RSRC2:TGID_Y_EN: 1
; COMPUTE_PGM_RSRC2:TGID_Z_EN: 0
; COMPUTE_PGM_RSRC2:TIDIG_COMP_CNT: 0
; COMPUTE_PGM_RSRC3_GFX90A:ACCUM_OFFSET: 3
; COMPUTE_PGM_RSRC3_GFX90A:TG_SPLIT: 0
	.section	.text._ZN9rocsparseL39gtsv_spike_backward_substitution_kernelILj256ELj32EfEEviiiPT1_PKS1_S4_,"axG",@progbits,_ZN9rocsparseL39gtsv_spike_backward_substitution_kernelILj256ELj32EfEEviiiPT1_PKS1_S4_,comdat
	.globl	_ZN9rocsparseL39gtsv_spike_backward_substitution_kernelILj256ELj32EfEEviiiPT1_PKS1_S4_ ; -- Begin function _ZN9rocsparseL39gtsv_spike_backward_substitution_kernelILj256ELj32EfEEviiiPT1_PKS1_S4_
	.p2align	8
	.type	_ZN9rocsparseL39gtsv_spike_backward_substitution_kernelILj256ELj32EfEEviiiPT1_PKS1_S4_,@function
_ZN9rocsparseL39gtsv_spike_backward_substitution_kernelILj256ELj32EfEEviiiPT1_PKS1_S4_: ; @_ZN9rocsparseL39gtsv_spike_backward_substitution_kernelILj256ELj32EfEEviiiPT1_PKS1_S4_
; %bb.0:
	s_load_dword s6, s[0:1], 0x0
	s_lshl_b32 s10, s2, 8
	v_or_b32_e32 v4, s10, v0
	s_waitcnt lgkmcnt(0)
	s_lshr_b32 s11, s6, 5
	v_cmp_gt_i32_e32 vcc, s11, v4
	s_and_saveexec_b64 s[4:5], vcc
	s_cbranch_execz .LBB57_9
; %bb.1:
	s_load_dwordx2 s[8:9], s[0:1], 0x10
	v_cmp_lt_i32_e32 vcc, 0, v4
	v_mov_b32_e32 v2, 0
	s_mul_i32 s2, s6, s3
	s_and_saveexec_b64 s[4:5], vcc
	s_cbranch_execz .LBB57_3
; %bb.2:
	s_mul_i32 s7, s11, 31
	s_mul_i32 s3, s6, s3
	s_add_i32 s7, s7, s3
	v_add3_u32 v2, v4, s7, -1
	v_mov_b32_e32 v3, 0
	s_waitcnt lgkmcnt(0)
	v_lshl_add_u64 v[2:3], v[2:3], 2, s[8:9]
	global_load_dword v2, v[2:3], off
.LBB57_3:
	s_or_b64 exec, exec, s[4:5]
	v_add_u32_e32 v1, 32, v4
	v_cmp_le_u32_e32 vcc, s6, v1
	s_and_saveexec_b64 s[4:5], vcc
	s_xor_b64 s[4:5], exec, s[4:5]
; %bb.4:
                                        ; implicit-def: $vgpr4
; %bb.5:
	s_or_saveexec_b64 s[4:5], s[4:5]
	v_mov_b32_e32 v3, 0
	v_mov_b32_e32 v13, s2
	s_xor_b64 exec, exec, s[4:5]
	s_cbranch_execz .LBB57_7
; %bb.6:
	s_ashr_i32 s3, s2, 31
	v_ashrrev_i32_e32 v5, 31, v4
	v_lshl_add_u64 v[4:5], v[4:5], 0, s[2:3]
	s_waitcnt lgkmcnt(0)
	v_lshl_add_u64 v[4:5], v[4:5], 2, s[8:9]
	global_load_dword v3, v[4:5], off offset:4
	v_mov_b32_e32 v13, s2
.LBB57_7:
	s_or_b64 exec, exec, s[4:5]
	s_load_dwordx4 s[4:7], s[0:1], 0x18
	v_add_u32_e32 v11, v0, v13
	s_lshl_b32 s1, s11, 1
	v_add_u32_e32 v1, s1, v11
	v_add_u32_e32 v4, s1, v0
	s_mul_i32 s1, s11, 3
	v_add_u32_e32 v5, s1, v11
	v_add_u32_e32 v6, s1, v0
	s_lshl_b32 s1, s11, 2
	s_mul_i32 s0, s11, 6
	v_add_u32_e32 v7, s1, v11
	v_add_u32_e32 v8, s1, v0
	s_mul_i32 s1, s11, 5
	v_add_u32_e32 v10, s1, v0
	v_add_u32_e32 v12, s0, v0
	;; [unrolled: 1-line block ×6, first 2 shown]
	s_mov_b32 s1, 30
.LBB57_8:                               ; =>This Inner Loop Header: Depth=1
	v_add_u32_e32 v14, s10, v0
	v_ashrrev_i32_e32 v15, 31, v14
	v_add_u32_e32 v16, s10, v13
	v_lshlrev_b64 v[14:15], 2, v[14:15]
	v_ashrrev_i32_e32 v17, 31, v16
	s_waitcnt lgkmcnt(0)
	v_lshl_add_u64 v[18:19], s[4:5], 0, v[14:15]
	v_lshl_add_u64 v[16:17], v[16:17], 2, s[8:9]
	;; [unrolled: 1-line block ×3, first 2 shown]
	global_load_dword v20, v[18:19], off
	global_load_dword v21, v[14:15], off
	;; [unrolled: 1-line block ×3, first 2 shown]
	v_add_u32_e32 v14, s10, v4
	v_ashrrev_i32_e32 v15, 31, v14
	v_lshlrev_b64 v[14:15], 2, v[14:15]
	v_lshl_add_u64 v[22:23], s[4:5], 0, v[14:15]
	v_lshl_add_u64 v[14:15], s[6:7], 0, v[14:15]
	global_load_dword v24, v[22:23], off
	global_load_dword v25, v[14:15], off
	v_add_u32_e32 v18, s10, v1
	v_ashrrev_i32_e32 v19, 31, v18
	v_lshl_add_u64 v[18:19], v[18:19], 2, s[8:9]
	s_add_i32 s1, s1, -6
	v_add_u32_e32 v1, s0, v1
	v_add_u32_e32 v4, s0, v4
	;; [unrolled: 1-line block ×4, first 2 shown]
	s_cmp_lg_u32 s1, 0
	s_waitcnt vmcnt(3)
	v_pk_mul_f32 v[14:15], v[2:3], v[20:21]
	s_waitcnt vmcnt(2)
	v_sub_f32_e32 v14, v26, v14
	v_sub_f32_e32 v14, v14, v15
	global_store_dword v[16:17], v14, off
	global_load_dword v26, v[18:19], off
	v_add_u32_e32 v14, s10, v6
	v_ashrrev_i32_e32 v15, 31, v14
	v_lshlrev_b64 v[14:15], 2, v[14:15]
	v_lshl_add_u64 v[20:21], s[4:5], 0, v[14:15]
	v_lshl_add_u64 v[14:15], s[6:7], 0, v[14:15]
	global_load_dword v22, v[20:21], off
	global_load_dword v23, v[14:15], off
	s_waitcnt vmcnt(4)
	v_pk_mul_f32 v[14:15], v[2:3], v[24:25]
	v_add_u32_e32 v16, s10, v5
	v_ashrrev_i32_e32 v17, 31, v16
	v_lshl_add_u64 v[16:17], v[16:17], 2, s[8:9]
	v_add_u32_e32 v5, s0, v5
	v_add_u32_e32 v6, s0, v6
	s_waitcnt vmcnt(2)
	v_sub_f32_e32 v14, v26, v14
	v_sub_f32_e32 v14, v14, v15
	global_store_dword v[18:19], v14, off
	global_load_dword v26, v[16:17], off
	v_add_u32_e32 v14, s10, v8
	v_ashrrev_i32_e32 v15, 31, v14
	v_lshlrev_b64 v[14:15], 2, v[14:15]
	v_lshl_add_u64 v[20:21], s[4:5], 0, v[14:15]
	v_lshl_add_u64 v[14:15], s[6:7], 0, v[14:15]
	global_load_dword v24, v[20:21], off
	global_load_dword v25, v[14:15], off
	s_waitcnt vmcnt(4)
	v_pk_mul_f32 v[14:15], v[2:3], v[22:23]
	v_add_u32_e32 v18, s10, v7
	v_ashrrev_i32_e32 v19, 31, v18
	v_lshl_add_u64 v[18:19], v[18:19], 2, s[8:9]
	v_add_u32_e32 v7, s0, v7
	v_add_u32_e32 v8, s0, v8
	;; [unrolled: 19-line block ×4, first 2 shown]
	s_waitcnt vmcnt(2)
	v_sub_f32_e32 v14, v26, v14
	v_sub_f32_e32 v14, v14, v15
	global_store_dword v[16:17], v14, off
	global_load_dword v16, v[18:19], off
	s_waitcnt vmcnt(2)
	v_pk_mul_f32 v[14:15], v[2:3], v[24:25]
	s_waitcnt vmcnt(0)
	v_sub_f32_e32 v14, v16, v14
	v_sub_f32_e32 v14, v14, v15
	global_store_dword v[18:19], v14, off
	s_cbranch_scc1 .LBB57_8
.LBB57_9:
	s_endpgm
	.section	.rodata,"a",@progbits
	.p2align	6, 0x0
	.amdhsa_kernel _ZN9rocsparseL39gtsv_spike_backward_substitution_kernelILj256ELj32EfEEviiiPT1_PKS1_S4_
		.amdhsa_group_segment_fixed_size 0
		.amdhsa_private_segment_fixed_size 0
		.amdhsa_kernarg_size 40
		.amdhsa_user_sgpr_count 2
		.amdhsa_user_sgpr_dispatch_ptr 0
		.amdhsa_user_sgpr_queue_ptr 0
		.amdhsa_user_sgpr_kernarg_segment_ptr 1
		.amdhsa_user_sgpr_dispatch_id 0
		.amdhsa_user_sgpr_kernarg_preload_length 0
		.amdhsa_user_sgpr_kernarg_preload_offset 0
		.amdhsa_user_sgpr_private_segment_size 0
		.amdhsa_uses_dynamic_stack 0
		.amdhsa_enable_private_segment 0
		.amdhsa_system_sgpr_workgroup_id_x 1
		.amdhsa_system_sgpr_workgroup_id_y 1
		.amdhsa_system_sgpr_workgroup_id_z 0
		.amdhsa_system_sgpr_workgroup_info 0
		.amdhsa_system_vgpr_workitem_id 0
		.amdhsa_next_free_vgpr 27
		.amdhsa_next_free_sgpr 12
		.amdhsa_accum_offset 28
		.amdhsa_reserve_vcc 1
		.amdhsa_float_round_mode_32 0
		.amdhsa_float_round_mode_16_64 0
		.amdhsa_float_denorm_mode_32 3
		.amdhsa_float_denorm_mode_16_64 3
		.amdhsa_dx10_clamp 1
		.amdhsa_ieee_mode 1
		.amdhsa_fp16_overflow 0
		.amdhsa_tg_split 0
		.amdhsa_exception_fp_ieee_invalid_op 0
		.amdhsa_exception_fp_denorm_src 0
		.amdhsa_exception_fp_ieee_div_zero 0
		.amdhsa_exception_fp_ieee_overflow 0
		.amdhsa_exception_fp_ieee_underflow 0
		.amdhsa_exception_fp_ieee_inexact 0
		.amdhsa_exception_int_div_zero 0
	.end_amdhsa_kernel
	.section	.text._ZN9rocsparseL39gtsv_spike_backward_substitution_kernelILj256ELj32EfEEviiiPT1_PKS1_S4_,"axG",@progbits,_ZN9rocsparseL39gtsv_spike_backward_substitution_kernelILj256ELj32EfEEviiiPT1_PKS1_S4_,comdat
.Lfunc_end57:
	.size	_ZN9rocsparseL39gtsv_spike_backward_substitution_kernelILj256ELj32EfEEviiiPT1_PKS1_S4_, .Lfunc_end57-_ZN9rocsparseL39gtsv_spike_backward_substitution_kernelILj256ELj32EfEEviiiPT1_PKS1_S4_
                                        ; -- End function
	.set _ZN9rocsparseL39gtsv_spike_backward_substitution_kernelILj256ELj32EfEEviiiPT1_PKS1_S4_.num_vgpr, 27
	.set _ZN9rocsparseL39gtsv_spike_backward_substitution_kernelILj256ELj32EfEEviiiPT1_PKS1_S4_.num_agpr, 0
	.set _ZN9rocsparseL39gtsv_spike_backward_substitution_kernelILj256ELj32EfEEviiiPT1_PKS1_S4_.numbered_sgpr, 12
	.set _ZN9rocsparseL39gtsv_spike_backward_substitution_kernelILj256ELj32EfEEviiiPT1_PKS1_S4_.num_named_barrier, 0
	.set _ZN9rocsparseL39gtsv_spike_backward_substitution_kernelILj256ELj32EfEEviiiPT1_PKS1_S4_.private_seg_size, 0
	.set _ZN9rocsparseL39gtsv_spike_backward_substitution_kernelILj256ELj32EfEEviiiPT1_PKS1_S4_.uses_vcc, 1
	.set _ZN9rocsparseL39gtsv_spike_backward_substitution_kernelILj256ELj32EfEEviiiPT1_PKS1_S4_.uses_flat_scratch, 0
	.set _ZN9rocsparseL39gtsv_spike_backward_substitution_kernelILj256ELj32EfEEviiiPT1_PKS1_S4_.has_dyn_sized_stack, 0
	.set _ZN9rocsparseL39gtsv_spike_backward_substitution_kernelILj256ELj32EfEEviiiPT1_PKS1_S4_.has_recursion, 0
	.set _ZN9rocsparseL39gtsv_spike_backward_substitution_kernelILj256ELj32EfEEviiiPT1_PKS1_S4_.has_indirect_call, 0
	.section	.AMDGPU.csdata,"",@progbits
; Kernel info:
; codeLenInByte = 968
; TotalNumSgprs: 18
; NumVgprs: 27
; NumAgprs: 0
; TotalNumVgprs: 27
; ScratchSize: 0
; MemoryBound: 0
; FloatMode: 240
; IeeeMode: 1
; LDSByteSize: 0 bytes/workgroup (compile time only)
; SGPRBlocks: 2
; VGPRBlocks: 3
; NumSGPRsForWavesPerEU: 18
; NumVGPRsForWavesPerEU: 27
; AccumOffset: 28
; Occupancy: 8
; WaveLimiterHint : 0
; COMPUTE_PGM_RSRC2:SCRATCH_EN: 0
; COMPUTE_PGM_RSRC2:USER_SGPR: 2
; COMPUTE_PGM_RSRC2:TRAP_HANDLER: 0
; COMPUTE_PGM_RSRC2:TGID_X_EN: 1
; COMPUTE_PGM_RSRC2:TGID_Y_EN: 1
; COMPUTE_PGM_RSRC2:TGID_Z_EN: 0
; COMPUTE_PGM_RSRC2:TIDIG_COMP_CNT: 0
; COMPUTE_PGM_RSRC3_GFX90A:ACCUM_OFFSET: 6
; COMPUTE_PGM_RSRC3_GFX90A:TG_SPLIT: 0
	.section	.text._ZN9rocsparseL32gtsv_transpose_back_array_kernelILj256ELj32EfEEviiiPKT1_PS1_,"axG",@progbits,_ZN9rocsparseL32gtsv_transpose_back_array_kernelILj256ELj32EfEEviiiPKT1_PS1_,comdat
	.globl	_ZN9rocsparseL32gtsv_transpose_back_array_kernelILj256ELj32EfEEviiiPKT1_PS1_ ; -- Begin function _ZN9rocsparseL32gtsv_transpose_back_array_kernelILj256ELj32EfEEviiiPKT1_PS1_
	.p2align	8
	.type	_ZN9rocsparseL32gtsv_transpose_back_array_kernelILj256ELj32EfEEviiiPKT1_PS1_,@function
_ZN9rocsparseL32gtsv_transpose_back_array_kernelILj256ELj32EfEEviiiPKT1_PS1_: ; @_ZN9rocsparseL32gtsv_transpose_back_array_kernelILj256ELj32EfEEviiiPKT1_PS1_
; %bb.0:
	s_load_dwordx4 s[4:7], s[0:1], 0x0
	v_lshl_or_b32 v0, s2, 8, v0
	v_lshlrev_b32_e32 v2, 5, v0
	s_waitcnt lgkmcnt(0)
	v_cvt_f32_u32_e32 v1, s5
	s_sub_i32 s2, 0, s5
	v_rcp_iflag_f32_e32 v1, v1
	s_nop 0
	v_mul_f32_e32 v1, 0x4f7ffffe, v1
	v_cvt_u32_f32_e32 v1, v1
	v_mul_lo_u32 v3, s2, v1
	v_mul_hi_u32 v3, v1, v3
	v_add_u32_e32 v1, v1, v3
	v_mul_hi_u32 v1, v2, v1
	v_mul_lo_u32 v3, v1, s5
	v_sub_u32_e32 v3, v2, v3
	v_add_u32_e32 v4, 1, v1
	v_cmp_le_u32_e32 vcc, s5, v3
	s_nop 1
	v_cndmask_b32_e32 v1, v1, v4, vcc
	v_subrev_u32_e32 v4, s5, v3
	v_cndmask_b32_e32 v3, v3, v4, vcc
	v_add_u32_e32 v4, 1, v1
	v_cmp_le_u32_e32 vcc, s5, v3
	s_nop 1
	v_cndmask_b32_e32 v1, v1, v4, vcc
	v_mul_lo_u32 v3, v1, s5
	v_sub_u32_e32 v2, v2, v3
	v_add_u32_e32 v1, v1, v2
	v_cmp_gt_i32_e32 vcc, s4, v1
	s_and_saveexec_b64 s[8:9], vcc
	s_cbranch_execz .LBB58_2
; %bb.1:
	s_load_dwordx4 s[8:11], s[0:1], 0x10
	s_mul_i32 s0, s5, s3
	v_add_u32_e32 v2, s0, v0
	v_ashrrev_i32_e32 v3, 31, v2
	s_mul_i32 s0, s6, s3
	s_waitcnt lgkmcnt(0)
	v_lshl_add_u64 v[2:3], v[2:3], 2, s[8:9]
	global_load_dword v2, v[2:3], off
	v_add_u32_e32 v0, s0, v1
	v_ashrrev_i32_e32 v1, 31, v0
	v_lshl_add_u64 v[0:1], v[0:1], 2, s[10:11]
	s_waitcnt vmcnt(0)
	global_store_dword v[0:1], v2, off
.LBB58_2:
	s_endpgm
	.section	.rodata,"a",@progbits
	.p2align	6, 0x0
	.amdhsa_kernel _ZN9rocsparseL32gtsv_transpose_back_array_kernelILj256ELj32EfEEviiiPKT1_PS1_
		.amdhsa_group_segment_fixed_size 0
		.amdhsa_private_segment_fixed_size 0
		.amdhsa_kernarg_size 32
		.amdhsa_user_sgpr_count 2
		.amdhsa_user_sgpr_dispatch_ptr 0
		.amdhsa_user_sgpr_queue_ptr 0
		.amdhsa_user_sgpr_kernarg_segment_ptr 1
		.amdhsa_user_sgpr_dispatch_id 0
		.amdhsa_user_sgpr_kernarg_preload_length 0
		.amdhsa_user_sgpr_kernarg_preload_offset 0
		.amdhsa_user_sgpr_private_segment_size 0
		.amdhsa_uses_dynamic_stack 0
		.amdhsa_enable_private_segment 0
		.amdhsa_system_sgpr_workgroup_id_x 1
		.amdhsa_system_sgpr_workgroup_id_y 1
		.amdhsa_system_sgpr_workgroup_id_z 0
		.amdhsa_system_sgpr_workgroup_info 0
		.amdhsa_system_vgpr_workitem_id 0
		.amdhsa_next_free_vgpr 5
		.amdhsa_next_free_sgpr 12
		.amdhsa_accum_offset 8
		.amdhsa_reserve_vcc 1
		.amdhsa_float_round_mode_32 0
		.amdhsa_float_round_mode_16_64 0
		.amdhsa_float_denorm_mode_32 3
		.amdhsa_float_denorm_mode_16_64 3
		.amdhsa_dx10_clamp 1
		.amdhsa_ieee_mode 1
		.amdhsa_fp16_overflow 0
		.amdhsa_tg_split 0
		.amdhsa_exception_fp_ieee_invalid_op 0
		.amdhsa_exception_fp_denorm_src 0
		.amdhsa_exception_fp_ieee_div_zero 0
		.amdhsa_exception_fp_ieee_overflow 0
		.amdhsa_exception_fp_ieee_underflow 0
		.amdhsa_exception_fp_ieee_inexact 0
		.amdhsa_exception_int_div_zero 0
	.end_amdhsa_kernel
	.section	.text._ZN9rocsparseL32gtsv_transpose_back_array_kernelILj256ELj32EfEEviiiPKT1_PS1_,"axG",@progbits,_ZN9rocsparseL32gtsv_transpose_back_array_kernelILj256ELj32EfEEviiiPKT1_PS1_,comdat
.Lfunc_end58:
	.size	_ZN9rocsparseL32gtsv_transpose_back_array_kernelILj256ELj32EfEEviiiPKT1_PS1_, .Lfunc_end58-_ZN9rocsparseL32gtsv_transpose_back_array_kernelILj256ELj32EfEEviiiPKT1_PS1_
                                        ; -- End function
	.set _ZN9rocsparseL32gtsv_transpose_back_array_kernelILj256ELj32EfEEviiiPKT1_PS1_.num_vgpr, 5
	.set _ZN9rocsparseL32gtsv_transpose_back_array_kernelILj256ELj32EfEEviiiPKT1_PS1_.num_agpr, 0
	.set _ZN9rocsparseL32gtsv_transpose_back_array_kernelILj256ELj32EfEEviiiPKT1_PS1_.numbered_sgpr, 12
	.set _ZN9rocsparseL32gtsv_transpose_back_array_kernelILj256ELj32EfEEviiiPKT1_PS1_.num_named_barrier, 0
	.set _ZN9rocsparseL32gtsv_transpose_back_array_kernelILj256ELj32EfEEviiiPKT1_PS1_.private_seg_size, 0
	.set _ZN9rocsparseL32gtsv_transpose_back_array_kernelILj256ELj32EfEEviiiPKT1_PS1_.uses_vcc, 1
	.set _ZN9rocsparseL32gtsv_transpose_back_array_kernelILj256ELj32EfEEviiiPKT1_PS1_.uses_flat_scratch, 0
	.set _ZN9rocsparseL32gtsv_transpose_back_array_kernelILj256ELj32EfEEviiiPKT1_PS1_.has_dyn_sized_stack, 0
	.set _ZN9rocsparseL32gtsv_transpose_back_array_kernelILj256ELj32EfEEviiiPKT1_PS1_.has_recursion, 0
	.set _ZN9rocsparseL32gtsv_transpose_back_array_kernelILj256ELj32EfEEviiiPKT1_PS1_.has_indirect_call, 0
	.section	.AMDGPU.csdata,"",@progbits
; Kernel info:
; codeLenInByte = 236
; TotalNumSgprs: 18
; NumVgprs: 5
; NumAgprs: 0
; TotalNumVgprs: 5
; ScratchSize: 0
; MemoryBound: 0
; FloatMode: 240
; IeeeMode: 1
; LDSByteSize: 0 bytes/workgroup (compile time only)
; SGPRBlocks: 2
; VGPRBlocks: 0
; NumSGPRsForWavesPerEU: 18
; NumVGPRsForWavesPerEU: 5
; AccumOffset: 8
; Occupancy: 8
; WaveLimiterHint : 0
; COMPUTE_PGM_RSRC2:SCRATCH_EN: 0
; COMPUTE_PGM_RSRC2:USER_SGPR: 2
; COMPUTE_PGM_RSRC2:TRAP_HANDLER: 0
; COMPUTE_PGM_RSRC2:TGID_X_EN: 1
; COMPUTE_PGM_RSRC2:TGID_Y_EN: 1
; COMPUTE_PGM_RSRC2:TGID_Z_EN: 0
; COMPUTE_PGM_RSRC2:TIDIG_COMP_CNT: 0
; COMPUTE_PGM_RSRC3_GFX90A:ACCUM_OFFSET: 1
; COMPUTE_PGM_RSRC3_GFX90A:TG_SPLIT: 0
	.section	.text._ZN9rocsparseL42gtsv_transpose_and_pad_array_shared_kernelILj256ELj64EfEEviiiPKT1_PS1_S1_,"axG",@progbits,_ZN9rocsparseL42gtsv_transpose_and_pad_array_shared_kernelILj256ELj64EfEEviiiPKT1_PS1_S1_,comdat
	.globl	_ZN9rocsparseL42gtsv_transpose_and_pad_array_shared_kernelILj256ELj64EfEEviiiPKT1_PS1_S1_ ; -- Begin function _ZN9rocsparseL42gtsv_transpose_and_pad_array_shared_kernelILj256ELj64EfEEviiiPKT1_PS1_S1_
	.p2align	8
	.type	_ZN9rocsparseL42gtsv_transpose_and_pad_array_shared_kernelILj256ELj64EfEEviiiPKT1_PS1_S1_,@function
_ZN9rocsparseL42gtsv_transpose_and_pad_array_shared_kernelILj256ELj64EfEEviiiPKT1_PS1_S1_: ; @_ZN9rocsparseL42gtsv_transpose_and_pad_array_shared_kernelILj256ELj64EfEEviiiPKT1_PS1_S1_
; %bb.0:
	s_load_dwordx4 s[4:7], s[0:1], 0x0
	s_waitcnt lgkmcnt(0)
	s_load_dword s7, s[0:1], 0x20
	v_lshl_or_b32 v1, s2, 8, v0
	v_cmp_gt_i32_e32 vcc, s4, v1
	s_waitcnt lgkmcnt(0)
	v_mov_b32_e32 v4, s7
	s_and_saveexec_b64 s[8:9], vcc
	s_cbranch_execz .LBB59_2
; %bb.1:
	s_load_dwordx2 s[10:11], s[0:1], 0x10
	s_mul_i32 s4, s6, s3
	v_add_u32_e32 v2, s4, v1
	v_ashrrev_i32_e32 v3, 31, v2
	s_waitcnt lgkmcnt(0)
	v_lshl_add_u64 v[2:3], v[2:3], 2, s[10:11]
	global_load_dword v4, v[2:3], off
.LBB59_2:
	s_or_b64 exec, exec, s[8:9]
	v_lshrrev_b32_e32 v2, 2, v0
	v_and_b32_e32 v3, 3, v0
	v_lshlrev_b32_e32 v0, 2, v0
	s_waitcnt vmcnt(0)
	ds_write_b32 v0, v4
	s_lshr_b32 s4, s5, 6
	v_lshl_or_b32 v0, s2, 2, v3
	v_mad_u64_u32 v[0:1], s[6:7], s4, v2, v[0:1]
	v_cmp_gt_i32_e32 vcc, s5, v0
	s_waitcnt lgkmcnt(0)
	s_barrier
	s_and_saveexec_b64 s[6:7], vcc
	s_cbranch_execz .LBB59_4
; %bb.3:
	v_lshlrev_b32_e32 v1, 2, v2
	s_load_dwordx2 s[0:1], s[0:1], 0x18
	v_lshl_or_b32 v1, v3, 8, v1
	ds_read_b32 v2, v1
	s_mul_i32 s2, s5, s3
	v_add_u32_e32 v0, s2, v0
	v_ashrrev_i32_e32 v1, 31, v0
	s_waitcnt lgkmcnt(0)
	v_lshl_add_u64 v[0:1], v[0:1], 2, s[0:1]
	global_store_dword v[0:1], v2, off
.LBB59_4:
	s_endpgm
	.section	.rodata,"a",@progbits
	.p2align	6, 0x0
	.amdhsa_kernel _ZN9rocsparseL42gtsv_transpose_and_pad_array_shared_kernelILj256ELj64EfEEviiiPKT1_PS1_S1_
		.amdhsa_group_segment_fixed_size 1024
		.amdhsa_private_segment_fixed_size 0
		.amdhsa_kernarg_size 36
		.amdhsa_user_sgpr_count 2
		.amdhsa_user_sgpr_dispatch_ptr 0
		.amdhsa_user_sgpr_queue_ptr 0
		.amdhsa_user_sgpr_kernarg_segment_ptr 1
		.amdhsa_user_sgpr_dispatch_id 0
		.amdhsa_user_sgpr_kernarg_preload_length 0
		.amdhsa_user_sgpr_kernarg_preload_offset 0
		.amdhsa_user_sgpr_private_segment_size 0
		.amdhsa_uses_dynamic_stack 0
		.amdhsa_enable_private_segment 0
		.amdhsa_system_sgpr_workgroup_id_x 1
		.amdhsa_system_sgpr_workgroup_id_y 1
		.amdhsa_system_sgpr_workgroup_id_z 0
		.amdhsa_system_sgpr_workgroup_info 0
		.amdhsa_system_vgpr_workitem_id 0
		.amdhsa_next_free_vgpr 5
		.amdhsa_next_free_sgpr 12
		.amdhsa_accum_offset 8
		.amdhsa_reserve_vcc 1
		.amdhsa_float_round_mode_32 0
		.amdhsa_float_round_mode_16_64 0
		.amdhsa_float_denorm_mode_32 3
		.amdhsa_float_denorm_mode_16_64 3
		.amdhsa_dx10_clamp 1
		.amdhsa_ieee_mode 1
		.amdhsa_fp16_overflow 0
		.amdhsa_tg_split 0
		.amdhsa_exception_fp_ieee_invalid_op 0
		.amdhsa_exception_fp_denorm_src 0
		.amdhsa_exception_fp_ieee_div_zero 0
		.amdhsa_exception_fp_ieee_overflow 0
		.amdhsa_exception_fp_ieee_underflow 0
		.amdhsa_exception_fp_ieee_inexact 0
		.amdhsa_exception_int_div_zero 0
	.end_amdhsa_kernel
	.section	.text._ZN9rocsparseL42gtsv_transpose_and_pad_array_shared_kernelILj256ELj64EfEEviiiPKT1_PS1_S1_,"axG",@progbits,_ZN9rocsparseL42gtsv_transpose_and_pad_array_shared_kernelILj256ELj64EfEEviiiPKT1_PS1_S1_,comdat
.Lfunc_end59:
	.size	_ZN9rocsparseL42gtsv_transpose_and_pad_array_shared_kernelILj256ELj64EfEEviiiPKT1_PS1_S1_, .Lfunc_end59-_ZN9rocsparseL42gtsv_transpose_and_pad_array_shared_kernelILj256ELj64EfEEviiiPKT1_PS1_S1_
                                        ; -- End function
	.set _ZN9rocsparseL42gtsv_transpose_and_pad_array_shared_kernelILj256ELj64EfEEviiiPKT1_PS1_S1_.num_vgpr, 5
	.set _ZN9rocsparseL42gtsv_transpose_and_pad_array_shared_kernelILj256ELj64EfEEviiiPKT1_PS1_S1_.num_agpr, 0
	.set _ZN9rocsparseL42gtsv_transpose_and_pad_array_shared_kernelILj256ELj64EfEEviiiPKT1_PS1_S1_.numbered_sgpr, 12
	.set _ZN9rocsparseL42gtsv_transpose_and_pad_array_shared_kernelILj256ELj64EfEEviiiPKT1_PS1_S1_.num_named_barrier, 0
	.set _ZN9rocsparseL42gtsv_transpose_and_pad_array_shared_kernelILj256ELj64EfEEviiiPKT1_PS1_S1_.private_seg_size, 0
	.set _ZN9rocsparseL42gtsv_transpose_and_pad_array_shared_kernelILj256ELj64EfEEviiiPKT1_PS1_S1_.uses_vcc, 1
	.set _ZN9rocsparseL42gtsv_transpose_and_pad_array_shared_kernelILj256ELj64EfEEviiiPKT1_PS1_S1_.uses_flat_scratch, 0
	.set _ZN9rocsparseL42gtsv_transpose_and_pad_array_shared_kernelILj256ELj64EfEEviiiPKT1_PS1_S1_.has_dyn_sized_stack, 0
	.set _ZN9rocsparseL42gtsv_transpose_and_pad_array_shared_kernelILj256ELj64EfEEviiiPKT1_PS1_S1_.has_recursion, 0
	.set _ZN9rocsparseL42gtsv_transpose_and_pad_array_shared_kernelILj256ELj64EfEEviiiPKT1_PS1_S1_.has_indirect_call, 0
	.section	.AMDGPU.csdata,"",@progbits
; Kernel info:
; codeLenInByte = 220
; TotalNumSgprs: 18
; NumVgprs: 5
; NumAgprs: 0
; TotalNumVgprs: 5
; ScratchSize: 0
; MemoryBound: 0
; FloatMode: 240
; IeeeMode: 1
; LDSByteSize: 1024 bytes/workgroup (compile time only)
; SGPRBlocks: 2
; VGPRBlocks: 0
; NumSGPRsForWavesPerEU: 18
; NumVGPRsForWavesPerEU: 5
; AccumOffset: 8
; Occupancy: 8
; WaveLimiterHint : 0
; COMPUTE_PGM_RSRC2:SCRATCH_EN: 0
; COMPUTE_PGM_RSRC2:USER_SGPR: 2
; COMPUTE_PGM_RSRC2:TRAP_HANDLER: 0
; COMPUTE_PGM_RSRC2:TGID_X_EN: 1
; COMPUTE_PGM_RSRC2:TGID_Y_EN: 1
; COMPUTE_PGM_RSRC2:TGID_Z_EN: 0
; COMPUTE_PGM_RSRC2:TIDIG_COMP_CNT: 0
; COMPUTE_PGM_RSRC3_GFX90A:ACCUM_OFFSET: 1
; COMPUTE_PGM_RSRC3_GFX90A:TG_SPLIT: 0
	.section	.text._ZN9rocsparseL18gtsv_LBM_wv_kernelILj256ELj64EfEEviiiPKT1_S3_S3_PS1_S4_S4_Pi,"axG",@progbits,_ZN9rocsparseL18gtsv_LBM_wv_kernelILj256ELj64EfEEviiiPKT1_S3_S3_PS1_S4_S4_Pi,comdat
	.globl	_ZN9rocsparseL18gtsv_LBM_wv_kernelILj256ELj64EfEEviiiPKT1_S3_S3_PS1_S4_S4_Pi ; -- Begin function _ZN9rocsparseL18gtsv_LBM_wv_kernelILj256ELj64EfEEviiiPKT1_S3_S3_PS1_S4_S4_Pi
	.p2align	8
	.type	_ZN9rocsparseL18gtsv_LBM_wv_kernelILj256ELj64EfEEviiiPKT1_S3_S3_PS1_S4_S4_Pi,@function
_ZN9rocsparseL18gtsv_LBM_wv_kernelILj256ELj64EfEEviiiPKT1_S3_S3_PS1_S4_S4_Pi: ; @_ZN9rocsparseL18gtsv_LBM_wv_kernelILj256ELj64EfEEviiiPKT1_S3_S3_PS1_S4_S4_Pi
; %bb.0:
	s_load_dword s27, s[0:1], 0x0
	v_lshl_or_b32 v0, s2, 8, v0
	s_waitcnt lgkmcnt(0)
	s_lshr_b32 s26, s27, 6
	v_cmp_gt_i32_e32 vcc, s26, v0
	s_and_saveexec_b64 s[2:3], vcc
	s_cbranch_execz .LBB60_30
; %bb.1:
	s_load_dwordx2 s[16:17], s[0:1], 0x10
	s_load_dwordx8 s[8:15], s[0:1], 0x20
	v_ashrrev_i32_e32 v1, 31, v0
	v_lshlrev_b64 v[2:3], 2, v[0:1]
	s_mul_i32 s28, s26, 63
	s_waitcnt lgkmcnt(0)
	v_lshl_add_u64 v[4:5], s[16:17], 0, v[2:3]
	global_load_dword v10, v[4:5], off
	v_add_u32_e32 v4, s28, v0
	v_mov_b32_e32 v5, 0
	v_lshlrev_b64 v[6:7], 2, v[4:5]
	v_lshl_add_u64 v[8:9], s[8:9], 0, v[6:7]
	global_load_dword v4, v[8:9], off
	s_load_dwordx2 s[6:7], s[0:1], 0x40
	v_lshl_add_u64 v[2:3], s[10:11], 0, v[2:3]
	s_cmp_lt_i32 s27, 1
	v_add_u32_e32 v13, s26, v0
	v_lshl_add_u64 v[6:7], s[12:13], 0, v[6:7]
	s_waitcnt vmcnt(1)
	global_store_dword v[2:3], v10, off
	s_waitcnt vmcnt(1)
	global_store_dword v[6:7], v4, off
	v_mov_b32_e32 v4, v5
	s_cbranch_scc1 .LBB60_23
; %bb.2:
	s_load_dwordx2 s[18:19], s[0:1], 0x18
	s_mov_b32 s22, 0x372fe950
	s_mul_i32 s29, s26, 62
	s_lshl_b32 s30, s26, 1
	s_mov_b64 s[20:21], 0
	s_waitcnt lgkmcnt(0)
	v_lshl_add_u64 v[4:5], v[0:1], 2, s[18:19]
	global_load_dword v6, v[4:5], off
	v_add_u32_e32 v1, s26, v13
	v_mov_b32_e32 v4, 0
	s_mov_b32 s23, 0x3fe3c6ef
	v_mov_b32_e32 v24, 2
	v_mov_b32_e32 v25, 1
	s_branch .LBB60_5
.LBB60_3:                               ;   in Loop: Header=BB60_5 Depth=1
	s_or_b64 exec, exec, s[4:5]
	v_fma_f32 v6, -v6, v27, v8
	v_mov_b32_e32 v5, s26
.LBB60_4:                               ;   in Loop: Header=BB60_5 Depth=1
	s_or_b64 exec, exec, s[2:3]
	v_add_u32_e32 v4, v5, v4
	v_cmp_le_i32_e32 vcc, s27, v4
	s_or_b64 s[20:21], vcc, s[20:21]
	s_andn2_b64 exec, exec, s[20:21]
	s_cbranch_execz .LBB60_22
.LBB60_5:                               ; =>This Inner Loop Header: Depth=1
	v_add_u32_e32 v10, v4, v0
	v_ashrrev_i32_e32 v11, 31, v10
	v_lshl_add_u64 v[8:9], v[10:11], 2, s[8:9]
	global_load_dword v9, v[8:9], off
	v_cmp_gt_u32_e64 s[0:1], s28, v4
	v_mov_b32_e32 v7, 0
	s_and_saveexec_b64 s[2:3], s[0:1]
	s_cbranch_execz .LBB60_7
; %bb.6:                                ;   in Loop: Header=BB60_5 Depth=1
	v_add_u32_e32 v14, v13, v4
	v_ashrrev_i32_e32 v15, 31, v14
	v_lshl_add_u64 v[14:15], v[14:15], 2, s[16:17]
	global_load_dword v7, v[14:15], off
.LBB60_7:                               ;   in Loop: Header=BB60_5 Depth=1
	s_or_b64 exec, exec, s[2:3]
	v_mov_b32_e32 v26, 0
	v_mov_b32_e32 v8, 0
	s_and_saveexec_b64 s[2:3], s[0:1]
	s_cbranch_execz .LBB60_9
; %bb.8:                                ;   in Loop: Header=BB60_5 Depth=1
	v_add_u32_e32 v14, v13, v4
	v_ashrrev_i32_e32 v15, 31, v14
	v_lshl_add_u64 v[14:15], v[14:15], 2, s[18:19]
	global_load_dword v8, v[14:15], off
.LBB60_9:                               ;   in Loop: Header=BB60_5 Depth=1
	s_or_b64 exec, exec, s[2:3]
	s_and_saveexec_b64 s[2:3], s[0:1]
	s_cbranch_execz .LBB60_11
; %bb.10:                               ;   in Loop: Header=BB60_5 Depth=1
	v_add_u32_e32 v14, v13, v4
	v_ashrrev_i32_e32 v15, 31, v14
	v_lshl_add_u64 v[14:15], v[14:15], 2, s[8:9]
	global_load_dword v26, v[14:15], off
.LBB60_11:                              ;   in Loop: Header=BB60_5 Depth=1
	s_or_b64 exec, exec, s[2:3]
	v_cmp_gt_u32_e64 s[2:3], s29, v4
	v_mov_b32_e32 v12, 0
	s_and_saveexec_b64 s[4:5], s[2:3]
	s_cbranch_execz .LBB60_13
; %bb.12:                               ;   in Loop: Header=BB60_5 Depth=1
	v_add_u32_e32 v14, v1, v4
	v_ashrrev_i32_e32 v15, 31, v14
	v_lshl_add_u64 v[14:15], v[14:15], 2, s[16:17]
	global_load_dword v12, v[14:15], off
.LBB60_13:                              ;   in Loop: Header=BB60_5 Depth=1
	s_or_b64 exec, exec, s[4:5]
	s_waitcnt vmcnt(0)
	v_cmp_gt_f32_e32 vcc, 0, v7
	v_mul_f32_e32 v27, v9, v7
	v_cmp_ne_u32_e64 s[4:5], s28, v4
	v_cndmask_b32_e64 v5, v7, -v7, vcc
	v_cmp_gt_f32_e32 vcc, 0, v12
	s_nop 1
	v_cndmask_b32_e64 v14, v12, -v12, vcc
	v_cmp_lt_f32_e32 vcc, v5, v14
	s_nop 1
	v_cndmask_b32_e32 v5, v5, v14, vcc
	v_cmp_gt_f32_e32 vcc, 0, v8
	s_nop 1
	v_cndmask_b32_e64 v14, v8, -v8, vcc
	v_cmp_lt_f32_e32 vcc, v14, v5
	s_nop 1
	v_cndmask_b32_e32 v5, v14, v5, vcc
	;; [unrolled: 6-line block ×4, first 2 shown]
	v_cmp_gt_f32_e32 vcc, 0, v6
	v_cvt_f64_f32_e32 v[14:15], v5
	s_nop 0
	v_cndmask_b32_e64 v5, v6, -v6, vcc
	v_cmp_gt_f32_e32 vcc, 0, v27
	v_cvt_f64_f32_e32 v[16:17], v5
	v_mul_f64 v[14:15], v[16:17], v[14:15]
	v_cndmask_b32_e64 v5, v27, -v27, vcc
	v_cvt_f64_f32_e32 v[16:17], v5
	v_mul_f64 v[16:17], v[16:17], s[22:23]
	v_cmp_nge_f64_e32 vcc, v[14:15], v[16:17]
	s_and_b64 s[4:5], s[4:5], vcc
	s_and_saveexec_b64 s[24:25], s[4:5]
	s_xor_b64 s[4:5], exec, s[24:25]
	s_cbranch_execz .LBB60_19
; %bb.14:                               ;   in Loop: Header=BB60_5 Depth=1
	v_add_u32_e32 v16, v13, v4
	v_ashrrev_i32_e32 v17, 31, v16
	v_ashrrev_i32_e32 v5, 31, v4
	v_lshlrev_b64 v[16:17], 2, v[16:17]
	v_lshl_add_u64 v[28:29], v[4:5], 2, v[2:3]
	v_lshl_add_u64 v[20:21], s[10:11], 0, v[16:17]
	v_lshlrev_b64 v[10:11], 2, v[10:11]
	global_load_dword v14, v[28:29], off
	global_load_dword v15, v[20:21], off
	v_lshl_add_u64 v[30:31], s[12:13], 0, v[10:11]
	v_lshl_add_u64 v[18:19], s[12:13], 0, v[16:17]
	global_load_dword v22, v[30:31], off
	global_load_dword v23, v[18:19], off
	v_fma_f32 v5, v6, v8, -v27
	v_div_scale_f32 v36, s[24:25], v5, v5, 1.0
	v_rcp_f32_e32 v37, v36
	v_lshl_add_u64 v[32:33], s[14:15], 0, v[10:11]
	v_lshl_add_u64 v[34:35], s[6:7], 0, v[10:11]
	v_div_scale_f32 v38, vcc, 1.0, v5, 1.0
	v_fma_f32 v10, -v36, v37, 1.0
	v_fmac_f32_e32 v37, v10, v37
	v_mul_f32_e32 v10, v38, v37
	v_fma_f32 v11, -v36, v10, v38
	v_fmac_f32_e32 v10, v11, v37
	v_fma_f32 v11, -v36, v10, v38
	v_div_fmas_f32 v10, v11, v37, v10
	v_mul_f32_e64 v27, v26, -v9
	v_div_fixup_f32 v10, v10, v5, 1.0
	v_mul_f32_e32 v5, v10, v27
	global_store_dword v[32:33], v5, off
	s_waitcnt vmcnt(3)
	v_pk_mul_f32 v[32:33], v[8:9], v[14:15]
	s_nop 0
	v_sub_f32_e32 v5, v32, v33
	v_mul_f32_e32 v5, v10, v5
	s_waitcnt vmcnt(1)
	v_pk_mul_f32 v[8:9], v[8:9], v[22:23]
	s_nop 0
	v_sub_f32_e32 v8, v8, v9
	v_mul_f32_e32 v8, v10, v8
	global_store_dword v[28:29], v5, off
	global_store_dword v[30:31], v8, off
	;; [unrolled: 1-line block ×3, first 2 shown]
	s_and_saveexec_b64 s[24:25], s[0:1]
	s_cbranch_execz .LBB60_16
; %bb.15:                               ;   in Loop: Header=BB60_5 Depth=1
	v_mov_b32_e32 v8, v15
	v_mov_b32_e32 v9, v14
	v_pk_mul_f32 v[8:9], v[6:7], v[8:9]
	s_nop 0
	v_sub_f32_e32 v5, v8, v9
	v_mov_b32_e32 v8, v23
	v_mov_b32_e32 v9, v22
	v_mul_f32_e32 v5, v10, v5
	v_pk_mul_f32 v[8:9], v[6:7], v[8:9]
	global_store_dword v[20:21], v5, off
	v_sub_f32_e32 v5, v8, v9
	v_mul_f32_e32 v5, v10, v5
	global_store_dword v[18:19], v5, off
	v_mul_f32_e32 v5, v6, v26
	v_mul_f32_e32 v5, v10, v5
	v_lshl_add_u64 v[8:9], s[14:15], 0, v[16:17]
	global_store_dword v[8:9], v5, off
	v_lshl_add_u64 v[8:9], s[6:7], 0, v[16:17]
	global_store_dword v[8:9], v24, off
.LBB60_16:                              ;   in Loop: Header=BB60_5 Depth=1
	s_or_b64 exec, exec, s[24:25]
	v_mov_b32_e32 v5, 0
	s_and_saveexec_b64 s[24:25], s[2:3]
	s_cbranch_execz .LBB60_18
; %bb.17:                               ;   in Loop: Header=BB60_5 Depth=1
	v_add_u32_e32 v8, v1, v4
	v_ashrrev_i32_e32 v9, 31, v8
	v_lshlrev_b64 v[8:9], 2, v[8:9]
	v_lshl_add_u64 v[16:17], s[10:11], 0, v[8:9]
	v_lshl_add_u64 v[8:9], s[18:19], 0, v[8:9]
	global_load_dword v11, v[8:9], off
	global_load_dword v5, v[16:17], off
	v_xor_b32_e32 v8, 0x80000000, v7
	v_mov_b32_e32 v9, v6
	v_pk_mul_f32 v[6:7], v[12:13], v[8:9] op_sel_hi:[0,1]
	v_mul_f32_e32 v12, v26, v7
	s_waitcnt vmcnt(1)
	v_pk_mul_f32 v[8:9], v[6:7], v[10:11] op_sel_hi:[1,0] neg_lo:[0,1]
	s_nop 0
	v_pk_mul_f32 v[6:7], v[8:9], v[14:15]
	s_nop 0
	v_sub_f32_e32 v6, v6, v7
	s_waitcnt vmcnt(0)
	v_add_f32_e32 v5, v6, v5
	global_store_dword v[16:17], v5, off
	v_fma_f32 v5, -v10, v12, v11
.LBB60_18:                              ;   in Loop: Header=BB60_5 Depth=1
	s_or_b64 exec, exec, s[24:25]
	v_mov_b32_e32 v6, v5
                                        ; implicit-def: $vgpr27
                                        ; implicit-def: $vgpr8
                                        ; implicit-def: $vgpr10_vgpr11
.LBB60_19:                              ;   in Loop: Header=BB60_5 Depth=1
	s_or_saveexec_b64 s[2:3], s[4:5]
	v_mov_b32_e32 v5, s30
	s_xor_b64 exec, exec, s[2:3]
	s_cbranch_execz .LBB60_4
; %bb.20:                               ;   in Loop: Header=BB60_5 Depth=1
	v_ashrrev_i32_e32 v5, 31, v4
	v_lshl_add_u64 v[14:15], v[4:5], 2, v[2:3]
	v_lshlrev_b64 v[10:11], 2, v[10:11]
	global_load_dword v5, v[14:15], off
	v_lshl_add_u64 v[16:17], s[12:13], 0, v[10:11]
	global_load_dword v12, v[16:17], off
	v_div_scale_f32 v20, s[4:5], v6, v6, 1.0
	v_rcp_f32_e32 v21, v20
	v_div_scale_f32 v22, vcc, 1.0, v6, 1.0
	v_lshl_add_u64 v[18:19], s[14:15], 0, v[10:11]
	v_fma_f32 v23, -v20, v21, 1.0
	v_fmac_f32_e32 v21, v23, v21
	v_mul_f32_e32 v23, v22, v21
	v_fma_f32 v26, -v20, v23, v22
	v_fmac_f32_e32 v23, v26, v21
	v_fma_f32 v20, -v20, v23, v22
	v_div_fmas_f32 v20, v20, v21, v23
	v_div_fixup_f32 v6, v20, v6, 1.0
	v_mul_f32_e32 v9, v6, v9
	global_store_dword v[18:19], v9, off
	v_lshl_add_u64 v[10:11], s[6:7], 0, v[10:11]
	s_waitcnt vmcnt(2)
	v_mul_f32_e32 v9, v6, v5
	s_waitcnt vmcnt(1)
	v_mul_f32_e32 v12, v6, v12
	global_store_dword v[14:15], v9, off
	global_store_dword v[16:17], v12, off
	;; [unrolled: 1-line block ×3, first 2 shown]
	s_and_saveexec_b64 s[4:5], s[0:1]
	s_cbranch_execz .LBB60_3
; %bb.21:                               ;   in Loop: Header=BB60_5 Depth=1
	v_add_u32_e32 v10, v13, v4
	v_ashrrev_i32_e32 v11, 31, v10
	v_lshl_add_u64 v[10:11], v[10:11], 2, s[10:11]
	global_load_dword v9, v[10:11], off
	v_mul_f32_e32 v7, v7, v6
	s_waitcnt vmcnt(0)
	v_fma_f32 v5, -v7, v5, v9
	global_store_dword v[10:11], v5, off
	s_branch .LBB60_3
.LBB60_22:
	s_or_b64 exec, exec, s[20:21]
.LBB60_23:
	v_subrev_u32_e32 v1, s26, v4
	v_add_u32_e32 v4, v1, v0
	v_ashrrev_i32_e32 v5, 31, v4
	s_waitcnt lgkmcnt(0)
	v_lshl_add_u64 v[4:5], v[4:5], 2, s[6:7]
	buffer_wbl2 sc1
	s_waitcnt vmcnt(0)
	buffer_inv sc1
	global_load_dword v4, v[4:5], off
	s_waitcnt vmcnt(0)
	v_mul_lo_u32 v4, v4, s26
	v_sub_u32_e32 v4, v1, v4
	v_cmp_lt_i32_e32 vcc, -1, v4
	s_and_b64 exec, exec, vcc
	s_cbranch_execz .LBB60_30
; %bb.24:
	v_subrev_u32_e32 v1, s26, v0
	s_lshl_b32 s4, s26, 1
	s_mov_b64 s[0:1], 0
	s_branch .LBB60_26
.LBB60_25:                              ;   in Loop: Header=BB60_26 Depth=1
	s_or_b64 exec, exec, s[2:3]
	v_sub_u32_e32 v4, v4, v5
	v_cmp_gt_i32_e32 vcc, 0, v4
	s_or_b64 s[0:1], vcc, s[0:1]
	s_andn2_b64 exec, exec, s[0:1]
	s_cbranch_execz .LBB60_30
.LBB60_26:                              ; =>This Inner Loop Header: Depth=1
	v_add_u32_e32 v6, v4, v0
	v_ashrrev_i32_e32 v7, 31, v6
	s_waitcnt vmcnt(0)
	v_lshlrev_b64 v[8:9], 2, v[6:7]
	v_lshl_add_u64 v[10:11], s[6:7], 0, v[8:9]
	global_load_dword v5, v[10:11], off
	v_lshl_add_u64 v[8:9], s[14:15], 0, v[8:9]
	global_load_dword v8, v[8:9], off
	s_waitcnt vmcnt(1)
	v_cmp_ne_u32_e32 vcc, 1, v5
	s_and_saveexec_b64 s[2:3], vcc
	s_xor_b64 s[2:3], exec, s[2:3]
	s_cbranch_execz .LBB60_28
; %bb.27:                               ;   in Loop: Header=BB60_26 Depth=1
	v_add_u32_e32 v10, v13, v4
	v_ashrrev_i32_e32 v11, 31, v10
	v_lshlrev_b64 v[10:11], 2, v[10:11]
	v_lshl_add_u64 v[14:15], s[10:11], 0, v[10:11]
	v_ashrrev_i32_e32 v5, 31, v4
	v_lshl_add_u64 v[16:17], v[4:5], 2, v[2:3]
	global_load_dword v5, v[14:15], off
	global_load_dword v9, v[16:17], off
	v_lshl_add_u64 v[10:11], s[12:13], 0, v[10:11]
	v_lshl_add_u64 v[6:7], v[6:7], 2, s[12:13]
	global_load_dword v12, v[10:11], off
	global_load_dword v24, v[6:7], off
	v_add_u32_e32 v18, v1, v4
	v_ashrrev_i32_e32 v19, 31, v18
	v_lshlrev_b64 v[18:19], 2, v[18:19]
	v_lshl_add_u64 v[20:21], s[14:15], 0, v[18:19]
	global_load_dword v20, v[20:21], off
	v_lshl_add_u64 v[22:23], s[10:11], 0, v[18:19]
	v_lshl_add_u64 v[18:19], s[12:13], 0, v[18:19]
	s_waitcnt vmcnt(3)
	v_fma_f32 v5, -v8, v5, v9
	s_waitcnt vmcnt(1)
	v_fma_f32 v8, -v8, v12, v24
	global_store_dword v[16:17], v5, off
	global_store_dword v[6:7], v8, off
	global_load_dword v5, v[14:15], off
	s_nop 0
	global_load_dword v6, v[22:23], off
	global_load_dword v7, v[10:11], off
	global_load_dword v8, v[18:19], off
	s_waitcnt vmcnt(2)
	v_fma_f32 v5, -v20, v5, v6
	s_waitcnt vmcnt(0)
	v_fma_f32 v6, -v20, v7, v8
	global_store_dword v[22:23], v5, off
	global_store_dword v[18:19], v6, off
                                        ; implicit-def: $vgpr8
                                        ; implicit-def: $vgpr6_vgpr7
.LBB60_28:                              ;   in Loop: Header=BB60_26 Depth=1
	s_or_saveexec_b64 s[2:3], s[2:3]
	v_mov_b32_e32 v5, s4
	s_xor_b64 exec, exec, s[2:3]
	s_cbranch_execz .LBB60_25
; %bb.29:                               ;   in Loop: Header=BB60_26 Depth=1
	v_add_u32_e32 v10, v13, v4
	v_ashrrev_i32_e32 v11, 31, v10
	v_lshlrev_b64 v[10:11], 2, v[10:11]
	v_lshl_add_u64 v[14:15], s[10:11], 0, v[10:11]
	v_ashrrev_i32_e32 v5, 31, v4
	v_lshl_add_u64 v[16:17], v[4:5], 2, v[2:3]
	global_load_dword v5, v[14:15], off
	global_load_dword v9, v[16:17], off
	v_lshl_add_u64 v[10:11], s[12:13], 0, v[10:11]
	v_lshl_add_u64 v[6:7], v[6:7], 2, s[12:13]
	global_load_dword v12, v[10:11], off
	global_load_dword v14, v[6:7], off
	s_waitcnt vmcnt(2)
	v_fma_f32 v5, -v8, v5, v9
	s_waitcnt vmcnt(0)
	v_fma_f32 v8, -v8, v12, v14
	global_store_dword v[16:17], v5, off
	global_store_dword v[6:7], v8, off
	v_mov_b32_e32 v5, s26
	s_branch .LBB60_25
.LBB60_30:
	s_endpgm
	.section	.rodata,"a",@progbits
	.p2align	6, 0x0
	.amdhsa_kernel _ZN9rocsparseL18gtsv_LBM_wv_kernelILj256ELj64EfEEviiiPKT1_S3_S3_PS1_S4_S4_Pi
		.amdhsa_group_segment_fixed_size 0
		.amdhsa_private_segment_fixed_size 0
		.amdhsa_kernarg_size 72
		.amdhsa_user_sgpr_count 2
		.amdhsa_user_sgpr_dispatch_ptr 0
		.amdhsa_user_sgpr_queue_ptr 0
		.amdhsa_user_sgpr_kernarg_segment_ptr 1
		.amdhsa_user_sgpr_dispatch_id 0
		.amdhsa_user_sgpr_kernarg_preload_length 0
		.amdhsa_user_sgpr_kernarg_preload_offset 0
		.amdhsa_user_sgpr_private_segment_size 0
		.amdhsa_uses_dynamic_stack 0
		.amdhsa_enable_private_segment 0
		.amdhsa_system_sgpr_workgroup_id_x 1
		.amdhsa_system_sgpr_workgroup_id_y 0
		.amdhsa_system_sgpr_workgroup_id_z 0
		.amdhsa_system_sgpr_workgroup_info 0
		.amdhsa_system_vgpr_workitem_id 0
		.amdhsa_next_free_vgpr 39
		.amdhsa_next_free_sgpr 31
		.amdhsa_accum_offset 40
		.amdhsa_reserve_vcc 1
		.amdhsa_float_round_mode_32 0
		.amdhsa_float_round_mode_16_64 0
		.amdhsa_float_denorm_mode_32 3
		.amdhsa_float_denorm_mode_16_64 3
		.amdhsa_dx10_clamp 1
		.amdhsa_ieee_mode 1
		.amdhsa_fp16_overflow 0
		.amdhsa_tg_split 0
		.amdhsa_exception_fp_ieee_invalid_op 0
		.amdhsa_exception_fp_denorm_src 0
		.amdhsa_exception_fp_ieee_div_zero 0
		.amdhsa_exception_fp_ieee_overflow 0
		.amdhsa_exception_fp_ieee_underflow 0
		.amdhsa_exception_fp_ieee_inexact 0
		.amdhsa_exception_int_div_zero 0
	.end_amdhsa_kernel
	.section	.text._ZN9rocsparseL18gtsv_LBM_wv_kernelILj256ELj64EfEEviiiPKT1_S3_S3_PS1_S4_S4_Pi,"axG",@progbits,_ZN9rocsparseL18gtsv_LBM_wv_kernelILj256ELj64EfEEviiiPKT1_S3_S3_PS1_S4_S4_Pi,comdat
.Lfunc_end60:
	.size	_ZN9rocsparseL18gtsv_LBM_wv_kernelILj256ELj64EfEEviiiPKT1_S3_S3_PS1_S4_S4_Pi, .Lfunc_end60-_ZN9rocsparseL18gtsv_LBM_wv_kernelILj256ELj64EfEEviiiPKT1_S3_S3_PS1_S4_S4_Pi
                                        ; -- End function
	.set _ZN9rocsparseL18gtsv_LBM_wv_kernelILj256ELj64EfEEviiiPKT1_S3_S3_PS1_S4_S4_Pi.num_vgpr, 39
	.set _ZN9rocsparseL18gtsv_LBM_wv_kernelILj256ELj64EfEEviiiPKT1_S3_S3_PS1_S4_S4_Pi.num_agpr, 0
	.set _ZN9rocsparseL18gtsv_LBM_wv_kernelILj256ELj64EfEEviiiPKT1_S3_S3_PS1_S4_S4_Pi.numbered_sgpr, 31
	.set _ZN9rocsparseL18gtsv_LBM_wv_kernelILj256ELj64EfEEviiiPKT1_S3_S3_PS1_S4_S4_Pi.num_named_barrier, 0
	.set _ZN9rocsparseL18gtsv_LBM_wv_kernelILj256ELj64EfEEviiiPKT1_S3_S3_PS1_S4_S4_Pi.private_seg_size, 0
	.set _ZN9rocsparseL18gtsv_LBM_wv_kernelILj256ELj64EfEEviiiPKT1_S3_S3_PS1_S4_S4_Pi.uses_vcc, 1
	.set _ZN9rocsparseL18gtsv_LBM_wv_kernelILj256ELj64EfEEviiiPKT1_S3_S3_PS1_S4_S4_Pi.uses_flat_scratch, 0
	.set _ZN9rocsparseL18gtsv_LBM_wv_kernelILj256ELj64EfEEviiiPKT1_S3_S3_PS1_S4_S4_Pi.has_dyn_sized_stack, 0
	.set _ZN9rocsparseL18gtsv_LBM_wv_kernelILj256ELj64EfEEviiiPKT1_S3_S3_PS1_S4_S4_Pi.has_recursion, 0
	.set _ZN9rocsparseL18gtsv_LBM_wv_kernelILj256ELj64EfEEviiiPKT1_S3_S3_PS1_S4_S4_Pi.has_indirect_call, 0
	.section	.AMDGPU.csdata,"",@progbits
; Kernel info:
; codeLenInByte = 2120
; TotalNumSgprs: 37
; NumVgprs: 39
; NumAgprs: 0
; TotalNumVgprs: 39
; ScratchSize: 0
; MemoryBound: 0
; FloatMode: 240
; IeeeMode: 1
; LDSByteSize: 0 bytes/workgroup (compile time only)
; SGPRBlocks: 4
; VGPRBlocks: 4
; NumSGPRsForWavesPerEU: 37
; NumVGPRsForWavesPerEU: 39
; AccumOffset: 40
; Occupancy: 8
; WaveLimiterHint : 0
; COMPUTE_PGM_RSRC2:SCRATCH_EN: 0
; COMPUTE_PGM_RSRC2:USER_SGPR: 2
; COMPUTE_PGM_RSRC2:TRAP_HANDLER: 0
; COMPUTE_PGM_RSRC2:TGID_X_EN: 1
; COMPUTE_PGM_RSRC2:TGID_Y_EN: 0
; COMPUTE_PGM_RSRC2:TGID_Z_EN: 0
; COMPUTE_PGM_RSRC2:TIDIG_COMP_CNT: 0
; COMPUTE_PGM_RSRC3_GFX90A:ACCUM_OFFSET: 9
; COMPUTE_PGM_RSRC3_GFX90A:TG_SPLIT: 0
	.section	.text._ZN9rocsparseL19gtsv_LBM_rhs_kernelILj256ELj64ELj8EfEEviiiPKT2_S3_S3_PS1_S3_PKi,"axG",@progbits,_ZN9rocsparseL19gtsv_LBM_rhs_kernelILj256ELj64ELj8EfEEviiiPKT2_S3_S3_PS1_S3_PKi,comdat
	.globl	_ZN9rocsparseL19gtsv_LBM_rhs_kernelILj256ELj64ELj8EfEEviiiPKT2_S3_S3_PS1_S3_PKi ; -- Begin function _ZN9rocsparseL19gtsv_LBM_rhs_kernelILj256ELj64ELj8EfEEviiiPKT2_S3_S3_PS1_S3_PKi
	.p2align	8
	.type	_ZN9rocsparseL19gtsv_LBM_rhs_kernelILj256ELj64ELj8EfEEviiiPKT2_S3_S3_PS1_S3_PKi,@function
_ZN9rocsparseL19gtsv_LBM_rhs_kernelILj256ELj64ELj8EfEEviiiPKT2_S3_S3_PS1_S3_PKi: ; @_ZN9rocsparseL19gtsv_LBM_rhs_kernelILj256ELj64ELj8EfEEviiiPKT2_S3_S3_PS1_S3_PKi
; %bb.0:
	s_load_dword s23, s[0:1], 0x0
	v_lshl_or_b32 v0, s2, 8, v0
	s_waitcnt lgkmcnt(0)
	s_lshr_b32 s22, s23, 6
	v_cmp_gt_i32_e32 vcc, s22, v0
	s_and_saveexec_b64 s[4:5], vcc
	s_cbranch_execz .LBB61_29
; %bb.1:
	s_load_dwordx4 s[8:11], s[0:1], 0x28
	s_load_dwordx2 s[6:7], s[0:1], 0x38
	s_cmp_lt_i32 s23, 1
	v_add_u32_e32 v20, s22, v0
	s_mul_i32 s24, s3, s23
	s_cbranch_scc1 .LBB61_21
; %bb.2:
	s_load_dwordx4 s[12:15], s[0:1], 0x10
	s_load_dwordx2 s[16:17], s[0:1], 0x20
	v_ashrrev_i32_e32 v1, 31, v0
	s_lshl_b32 s28, s24, 3
	s_add_i32 s29, s28, s23
	s_waitcnt lgkmcnt(0)
	v_lshl_add_u64 v[2:3], v[0:1], 2, s[14:15]
	global_load_dword v23, v[2:3], off
	s_add_i32 s30, s29, s23
	s_add_i32 s31, s30, s23
	;; [unrolled: 1-line block ×5, first 2 shown]
	s_mul_i32 s25, s22, 63
	s_mul_i32 s26, s22, 62
	s_lshl_b32 s27, s22, 1
	v_add_u32_e32 v1, s22, v20
	s_add_i32 s36, s35, s23
	v_mov_b32_e32 v3, 0
	s_mov_b64 s[18:19], 0
	v_mov_b32_e32 v21, 0
	s_branch .LBB61_5
.LBB61_3:                               ;   in Loop: Header=BB61_5 Depth=1
	s_or_b64 exec, exec, s[4:5]
	v_fma_f32 v23, -v23, v28, v24
	v_mov_b32_e32 v2, s22
.LBB61_4:                               ;   in Loop: Header=BB61_5 Depth=1
	s_or_b64 exec, exec, s[2:3]
	v_add_u32_e32 v21, v2, v21
	v_cmp_le_i32_e32 vcc, s23, v21
	s_or_b64 s[18:19], vcc, s[18:19]
	s_andn2_b64 exec, exec, s[18:19]
	s_cbranch_execz .LBB61_20
.LBB61_5:                               ; =>This Inner Loop Header: Depth=1
	v_add_u32_e32 v18, v21, v0
	v_ashrrev_i32_e32 v19, 31, v18
	v_lshl_add_u64 v[4:5], v[18:19], 2, s[16:17]
	global_load_dword v26, v[4:5], off
	v_cmp_gt_u32_e64 s[0:1], s25, v21
	v_mov_b32_e32 v22, 0
	s_and_saveexec_b64 s[2:3], s[0:1]
	s_cbranch_execz .LBB61_7
; %bb.6:                                ;   in Loop: Header=BB61_5 Depth=1
	v_add_u32_e32 v4, v20, v21
	v_ashrrev_i32_e32 v5, 31, v4
	v_lshl_add_u64 v[4:5], v[4:5], 2, s[12:13]
	global_load_dword v22, v[4:5], off
.LBB61_7:                               ;   in Loop: Header=BB61_5 Depth=1
	s_or_b64 exec, exec, s[2:3]
	v_mov_b32_e32 v25, 0
	v_mov_b32_e32 v24, 0
	s_and_saveexec_b64 s[2:3], s[0:1]
	s_cbranch_execz .LBB61_9
; %bb.8:                                ;   in Loop: Header=BB61_5 Depth=1
	v_add_u32_e32 v4, v20, v21
	v_ashrrev_i32_e32 v5, 31, v4
	v_lshl_add_u64 v[4:5], v[4:5], 2, s[14:15]
	global_load_dword v24, v[4:5], off
.LBB61_9:                               ;   in Loop: Header=BB61_5 Depth=1
	s_or_b64 exec, exec, s[2:3]
	s_and_saveexec_b64 s[2:3], s[0:1]
	s_cbranch_execz .LBB61_11
; %bb.10:                               ;   in Loop: Header=BB61_5 Depth=1
	v_add_u32_e32 v4, v20, v21
	v_ashrrev_i32_e32 v5, 31, v4
	v_lshl_add_u64 v[4:5], v[4:5], 2, s[16:17]
	global_load_dword v25, v[4:5], off
.LBB61_11:                              ;   in Loop: Header=BB61_5 Depth=1
	s_or_b64 exec, exec, s[2:3]
	v_cmp_gt_u32_e64 s[2:3], s26, v21
	v_mov_b32_e32 v27, 0
	s_and_saveexec_b64 s[4:5], s[2:3]
	s_cbranch_execz .LBB61_13
; %bb.12:                               ;   in Loop: Header=BB61_5 Depth=1
	v_add_u32_e32 v4, v1, v21
	v_ashrrev_i32_e32 v5, 31, v4
	v_lshl_add_u64 v[4:5], v[4:5], 2, s[12:13]
	global_load_dword v27, v[4:5], off
.LBB61_13:                              ;   in Loop: Header=BB61_5 Depth=1
	s_or_b64 exec, exec, s[4:5]
	v_add_u32_e32 v2, s28, v18
	v_lshl_add_u64 v[16:17], v[2:3], 2, s[8:9]
	v_add_u32_e32 v2, s29, v18
	v_lshl_add_u64 v[4:5], v[18:19], 2, s[6:7]
	v_lshl_add_u64 v[12:13], v[2:3], 2, s[8:9]
	v_add_u32_e32 v2, s30, v18
	global_load_dword v28, v[4:5], off
	v_lshl_add_u64 v[4:5], v[2:3], 2, s[8:9]
	v_add_u32_e32 v2, s31, v18
	v_lshl_add_u64 v[6:7], v[2:3], 2, s[8:9]
	v_add_u32_e32 v2, s33, v18
	;; [unrolled: 2-line block ×5, first 2 shown]
	v_lshl_add_u64 v[18:19], v[2:3], 2, s[8:9]
	global_load_dword v29, v[16:17], off
	global_load_dword v30, v[12:13], off
	global_load_dword v31, v[4:5], off
	global_load_dword v32, v[6:7], off
	global_load_dword v33, v[8:9], off
	global_load_dword v34, v[10:11], off
	global_load_dword v35, v[14:15], off
	global_load_dword v36, v[18:19], off
	v_cmp_ne_u32_e64 s[4:5], s25, v21
	s_waitcnt vmcnt(8)
	v_cmp_ne_u32_e32 vcc, 1, v28
	s_and_b64 s[4:5], s[4:5], vcc
	v_mul_f32_e32 v28, v26, v22
	s_and_saveexec_b64 s[20:21], s[4:5]
	s_xor_b64 s[4:5], exec, s[20:21]
	s_cbranch_execz .LBB61_17
; %bb.14:                               ;   in Loop: Header=BB61_5 Depth=1
	v_fma_f32 v28, v23, v24, -v28
	v_div_scale_f32 v37, s[20:21], v28, v28, 1.0
	v_rcp_f32_e32 v38, v37
	v_add_u32_e32 v39, v20, v21
	v_add_u32_e32 v2, s28, v39
	v_lshl_add_u64 v[40:41], v[2:3], 2, s[8:9]
	global_load_dword v56, v[40:41], off
	v_fma_f32 v2, -v37, v38, 1.0
	v_fmac_f32_e32 v38, v2, v38
	v_add_u32_e32 v2, s29, v39
	v_lshl_add_u64 v[42:43], v[2:3], 2, s[8:9]
	v_add_u32_e32 v2, s30, v39
	global_load_dword v57, v[42:43], off
	v_lshl_add_u64 v[44:45], v[2:3], 2, s[8:9]
	v_add_u32_e32 v2, s31, v39
	v_div_scale_f32 v54, vcc, 1.0, v28, 1.0
	v_lshl_add_u64 v[46:47], v[2:3], 2, s[8:9]
	v_add_u32_e32 v2, s33, v39
	global_load_dword v58, v[44:45], off
	global_load_dword v59, v[46:47], off
	v_lshl_add_u64 v[48:49], v[2:3], 2, s[8:9]
	v_mul_f32_e32 v61, v54, v38
	v_add_u32_e32 v2, s34, v39
	v_lshl_add_u64 v[50:51], v[2:3], 2, s[8:9]
	v_fma_f32 v2, -v37, v61, v54
	global_load_dword v60, v[48:49], off
	global_load_dword v62, v[50:51], off
	v_fmac_f32_e32 v61, v2, v38
	v_add_u32_e32 v2, s35, v39
	v_lshl_add_u64 v[52:53], v[2:3], 2, s[8:9]
	v_add_u32_e32 v2, s36, v39
	global_load_dword v63, v[52:53], off
	v_fma_f32 v37, -v37, v61, v54
	v_lshl_add_u64 v[54:55], v[2:3], 2, s[8:9]
	global_load_dword v2, v[54:55], off
	v_div_fmas_f32 v37, v37, v38, v61
	v_div_fixup_f32 v28, v37, v28, 1.0
	s_waitcnt vmcnt(14)
	v_mul_f32_e32 v37, v28, v30
	s_waitcnt vmcnt(9)
	v_mul_f32_e32 v30, v28, v35
	v_mul_f32_e32 v39, v28, v29
	;; [unrolled: 1-line block ×7, first 2 shown]
	s_waitcnt vmcnt(8)
	v_mul_f32_e32 v29, v28, v36
	v_mul_f32_e32 v36, v22, v37
	s_waitcnt vmcnt(7)
	v_mul_f32_e32 v35, v28, v56
	v_mul_f32_e32 v56, v26, v35
	v_fma_f32 v56, v24, v39, -v56
	global_store_dword v[16:17], v56, off
	v_fma_f32 v61, v23, v35, -v34
	v_mul_f32_e32 v16, v22, v38
	s_waitcnt vmcnt(7)
	v_mul_f32_e32 v17, v28, v57
	v_mul_f32_e32 v57, v26, v17
	v_fma_f32 v57, v24, v37, -v57
	global_store_dword v[12:13], v57, off
	v_mul_f32_e32 v56, v22, v32
	v_mul_f32_e32 v57, v22, v33
	v_fma_f32 v36, v23, v17, -v36
	s_waitcnt vmcnt(7)
	v_mul_f32_e32 v34, v28, v58
	s_waitcnt vmcnt(6)
	v_mul_f32_e32 v13, v28, v59
	v_mul_f32_e32 v12, v26, v34
	v_fma_f32 v58, v23, v34, -v16
	v_fma_f32 v59, v24, v38, -v12
	global_store_dword v[4:5], v59, off
	v_fma_f32 v56, v23, v13, -v56
	s_waitcnt vmcnt(6)
	v_mul_f32_e32 v16, v28, v60
	v_mul_f32_e32 v60, v26, v13
	s_waitcnt vmcnt(5)
	v_mul_f32_e32 v12, v28, v62
	v_fma_f32 v4, v24, v32, -v60
	v_mul_f32_e32 v59, v26, v16
	global_store_dword v[6:7], v4, off
	s_waitcnt vmcnt(5)
	v_mul_f32_e32 v5, v28, v63
	v_fma_f32 v6, v24, v33, -v59
	v_mul_f32_e32 v7, v26, v12
	s_waitcnt vmcnt(4)
	v_mul_f32_e32 v4, v28, v2
	global_store_dword v[8:9], v6, off
	v_fma_f32 v2, v24, v31, -v7
	v_mul_f32_e32 v6, v26, v5
	global_store_dword v[10:11], v2, off
	v_fma_f32 v2, v24, v30, -v6
	v_mul_f32_e32 v6, v26, v4
	global_store_dword v[14:15], v2, off
	v_fma_f32 v2, v24, v29, -v6
	v_fma_f32 v57, v23, v16, -v57
	global_store_dword v[18:19], v2, off
	global_store_dword v[40:41], v61, off
	;; [unrolled: 1-line block ×6, first 2 shown]
	v_mul_f32_e32 v2, v22, v31
	v_fma_f32 v2, v23, v12, -v2
	global_store_dword v[50:51], v2, off
	v_mul_f32_e32 v2, v22, v30
	v_fma_f32 v2, v23, v5, -v2
	global_store_dword v[52:53], v2, off
	;; [unrolled: 3-line block ×3, first 2 shown]
	v_mov_b32_e32 v2, 0
	s_and_saveexec_b64 s[20:21], s[2:3]
	s_cbranch_execz .LBB61_16
; %bb.15:                               ;   in Loop: Header=BB61_5 Depth=1
	v_add_u32_e32 v6, v1, v21
	v_add_u32_e32 v2, s28, v6
	v_lshl_add_u64 v[8:9], v[2:3], 2, s[8:9]
	global_load_dword v7, v[8:9], off
	v_mul_f32_e32 v23, v23, v27
	v_mul_f32_e32 v22, v22, v27
	;; [unrolled: 1-line block ×3, first 2 shown]
	v_fma_f32 v18, v22, v39, -v2
	v_add_u32_e32 v2, s29, v6
	v_lshl_add_u64 v[10:11], v[2:3], 2, s[8:9]
	v_add_u32_e32 v2, s30, v6
	global_load_dword v24, v[10:11], off
	v_lshl_add_u64 v[14:15], v[2:3], 2, s[8:9]
	v_mul_f32_e32 v4, v23, v4
	v_fma_f32 v4, v22, v29, -v4
	s_waitcnt vmcnt(1)
	v_add_f32_e32 v2, v18, v7
	global_store_dword v[8:9], v2, off
	global_load_dword v7, v[14:15], off
	v_mul_f32_e32 v2, v23, v17
	v_mul_f32_e32 v8, v23, v34
	v_fma_f32 v17, v22, v37, -v2
	v_add_u32_e32 v2, s31, v6
	v_fma_f32 v26, v22, v38, -v8
	v_lshl_add_u64 v[8:9], v[2:3], 2, s[8:9]
	v_add_u32_e32 v2, s33, v6
	v_lshl_add_u64 v[18:19], v[2:3], 2, s[8:9]
	s_waitcnt vmcnt(2)
	v_add_f32_e32 v2, v17, v24
	global_store_dword v[10:11], v2, off
	global_load_dword v17, v[8:9], off
	v_mul_f32_e32 v10, v23, v16
	s_waitcnt vmcnt(2)
	v_add_f32_e32 v2, v26, v7
	global_store_dword v[14:15], v2, off
	global_load_dword v7, v[18:19], off
	v_mul_f32_e32 v2, v23, v13
	v_fma_f32 v13, v22, v32, -v2
	v_add_u32_e32 v2, s34, v6
	v_fma_f32 v14, v22, v33, -v10
	v_lshl_add_u64 v[10:11], v[2:3], 2, s[8:9]
	s_waitcnt vmcnt(2)
	v_add_f32_e32 v2, v13, v17
	global_store_dword v[8:9], v2, off
	s_waitcnt vmcnt(1)
	v_add_f32_e32 v2, v14, v7
	global_store_dword v[18:19], v2, off
	global_load_dword v7, v[10:11], off
	v_mul_f32_e32 v2, v23, v12
	v_fma_f32 v12, v22, v31, -v2
	v_add_u32_e32 v2, s35, v6
	v_lshl_add_u64 v[8:9], v[2:3], 2, s[8:9]
	s_waitcnt vmcnt(0)
	v_add_f32_e32 v2, v12, v7
	global_store_dword v[10:11], v2, off
	global_load_dword v12, v[8:9], off
	v_mul_f32_e32 v2, v23, v5
	v_fma_f32 v5, v22, v30, -v2
	v_add_u32_e32 v2, s36, v6
	v_lshl_add_u64 v[10:11], v[2:3], 2, s[8:9]
	v_ashrrev_i32_e32 v7, 31, v6
	v_lshl_add_u64 v[6:7], v[6:7], 2, s[14:15]
	s_waitcnt vmcnt(0)
	v_add_f32_e32 v2, v5, v12
	global_store_dword v[8:9], v2, off
	global_load_dword v2, v[10:11], off
	s_waitcnt vmcnt(0)
	v_add_f32_e32 v2, v4, v2
	global_load_dword v5, v[6:7], off
	v_mul_f32_e32 v6, v25, v23
	global_store_dword v[10:11], v2, off
	s_waitcnt vmcnt(1)
	v_fma_f32 v2, -v28, v6, v5
.LBB61_16:                              ;   in Loop: Header=BB61_5 Depth=1
	s_or_b64 exec, exec, s[20:21]
	v_mov_b32_e32 v23, v2
                                        ; implicit-def: $vgpr22
                                        ; implicit-def: $vgpr24
                                        ; implicit-def: $vgpr28
                                        ; implicit-def: $vgpr16_vgpr17
                                        ; implicit-def: $vgpr29
                                        ; implicit-def: $vgpr12_vgpr13
                                        ; implicit-def: $vgpr30
                                        ; implicit-def: $vgpr4_vgpr5
                                        ; implicit-def: $vgpr31
                                        ; implicit-def: $vgpr6_vgpr7
                                        ; implicit-def: $vgpr32
                                        ; implicit-def: $vgpr8_vgpr9
                                        ; implicit-def: $vgpr33
                                        ; implicit-def: $vgpr10_vgpr11
                                        ; implicit-def: $vgpr34
                                        ; implicit-def: $vgpr14_vgpr15
                                        ; implicit-def: $vgpr35
                                        ; implicit-def: $vgpr18_vgpr19
                                        ; implicit-def: $vgpr36
.LBB61_17:                              ;   in Loop: Header=BB61_5 Depth=1
	s_or_saveexec_b64 s[2:3], s[4:5]
	v_mov_b32_e32 v2, s27
	s_xor_b64 exec, exec, s[2:3]
	s_cbranch_execz .LBB61_4
; %bb.18:                               ;   in Loop: Header=BB61_5 Depth=1
	v_div_scale_f32 v2, s[4:5], v23, v23, 1.0
	v_rcp_f32_e32 v25, v2
	v_div_scale_f32 v26, vcc, 1.0, v23, 1.0
	v_fma_f32 v27, -v2, v25, 1.0
	v_fmac_f32_e32 v25, v27, v25
	v_mul_f32_e32 v27, v26, v25
	v_fma_f32 v37, -v2, v27, v26
	v_fmac_f32_e32 v27, v37, v25
	v_fma_f32 v2, -v2, v27, v26
	v_div_fmas_f32 v2, v2, v25, v27
	v_div_fixup_f32 v23, v2, v23, 1.0
	s_waitcnt vmcnt(7)
	v_mul_f32_e32 v38, v23, v29
	s_waitcnt vmcnt(6)
	v_mul_f32_e32 v37, v23, v30
	;; [unrolled: 2-line block ×8, first 2 shown]
	global_store_dword v[16:17], v38, off
	global_store_dword v[12:13], v37, off
	;; [unrolled: 1-line block ×8, first 2 shown]
	s_and_saveexec_b64 s[4:5], s[0:1]
	s_cbranch_execz .LBB61_3
; %bb.19:                               ;   in Loop: Header=BB61_5 Depth=1
	v_add_u32_e32 v12, v20, v21
	v_add_u32_e32 v2, s28, v12
	v_lshl_add_u64 v[4:5], v[2:3], 2, s[8:9]
	global_load_dword v10, v[4:5], off
	v_add_u32_e32 v2, s29, v12
	v_lshl_add_u64 v[6:7], v[2:3], 2, s[8:9]
	v_add_u32_e32 v2, s30, v12
	global_load_dword v13, v[6:7], off
	v_lshl_add_u64 v[8:9], v[2:3], 2, s[8:9]
	s_waitcnt vmcnt(1)
	v_fma_f32 v2, -v22, v38, v10
	global_store_dword v[4:5], v2, off
	global_load_dword v14, v[8:9], off
	v_add_u32_e32 v2, s31, v12
	v_lshl_add_u64 v[4:5], v[2:3], 2, s[8:9]
	v_add_u32_e32 v2, s33, v12
	v_lshl_add_u64 v[10:11], v[2:3], 2, s[8:9]
	s_waitcnt vmcnt(2)
	v_fma_f32 v2, -v22, v37, v13
	global_store_dword v[6:7], v2, off
	global_load_dword v13, v[4:5], off
	s_waitcnt vmcnt(2)
	v_fma_f32 v2, -v22, v31, v14
	global_store_dword v[8:9], v2, off
	global_load_dword v8, v[10:11], off
	v_add_u32_e32 v2, s34, v12
	v_lshl_add_u64 v[6:7], v[2:3], 2, s[8:9]
	s_waitcnt vmcnt(2)
	v_fma_f32 v2, -v22, v30, v13
	global_store_dword v[4:5], v2, off
	s_waitcnt vmcnt(1)
	v_fma_f32 v2, -v22, v29, v8
	global_store_dword v[10:11], v2, off
	global_load_dword v8, v[6:7], off
	v_add_u32_e32 v2, s35, v12
	v_lshl_add_u64 v[4:5], v[2:3], 2, s[8:9]
	s_waitcnt vmcnt(0)
	v_fma_f32 v2, -v22, v27, v8
	global_store_dword v[6:7], v2, off
	global_load_dword v6, v[4:5], off
	v_add_u32_e32 v2, s36, v12
	s_waitcnt vmcnt(0)
	v_fma_f32 v6, -v22, v26, v6
	global_store_dword v[4:5], v6, off
	v_lshl_add_u64 v[4:5], v[2:3], 2, s[8:9]
	global_load_dword v2, v[4:5], off
	s_waitcnt vmcnt(0)
	v_fma_f32 v2, -v22, v25, v2
	global_store_dword v[4:5], v2, off
	s_branch .LBB61_3
.LBB61_20:
	s_or_b64 exec, exec, s[18:19]
	s_branch .LBB61_22
.LBB61_21:
	v_mov_b32_e32 v21, 0
.LBB61_22:
	v_subrev_u32_e32 v1, s22, v21
	v_add_u32_e32 v2, v1, v0
	v_ashrrev_i32_e32 v3, 31, v2
	s_waitcnt lgkmcnt(0)
	v_lshl_add_u64 v[2:3], v[2:3], 2, s[6:7]
	buffer_wbl2 sc1
	s_waitcnt vmcnt(0)
	buffer_inv sc1
	global_load_dword v2, v[2:3], off
	s_waitcnt vmcnt(0)
	v_mul_lo_u32 v2, v2, s22
	v_sub_u32_e32 v1, v1, v2
	v_cmp_lt_i32_e32 vcc, -1, v1
	s_and_b64 exec, exec, vcc
	s_cbranch_execz .LBB61_29
; %bb.23:
	s_lshl_b32 s4, s24, 3
	s_add_i32 s5, s4, s23
	s_add_i32 s12, s5, s23
	;; [unrolled: 1-line block ×7, first 2 shown]
	s_lshl_b32 s18, s22, 1
	s_mov_b64 s[0:1], 0
	v_mov_b32_e32 v3, 0
	s_branch .LBB61_25
.LBB61_24:                              ;   in Loop: Header=BB61_25 Depth=1
	s_or_b64 exec, exec, s[2:3]
	v_sub_u32_e32 v1, v1, v2
	v_cmp_gt_i32_e32 vcc, 0, v1
	s_or_b64 s[0:1], vcc, s[0:1]
	s_andn2_b64 exec, exec, s[0:1]
	s_cbranch_execz .LBB61_29
.LBB61_25:                              ; =>This Inner Loop Header: Depth=1
	v_add_u32_e32 v4, v1, v0
	s_waitcnt vmcnt(0)
	v_ashrrev_i32_e32 v5, 31, v4
	v_lshlrev_b64 v[6:7], 2, v[4:5]
	v_lshl_add_u64 v[8:9], s[6:7], 0, v[6:7]
	global_load_dword v2, v[8:9], off
	v_lshl_add_u64 v[6:7], s[10:11], 0, v[6:7]
	global_load_dword v5, v[6:7], off
	s_waitcnt vmcnt(1)
	v_cmp_ne_u32_e32 vcc, 1, v2
	s_and_saveexec_b64 s[2:3], vcc
	s_xor_b64 s[2:3], exec, s[2:3]
	s_cbranch_execz .LBB61_27
; %bb.26:                               ;   in Loop: Header=BB61_25 Depth=1
	v_add_u32_e32 v21, v20, v1
	v_add_u32_e32 v2, s4, v21
	v_lshl_add_u64 v[6:7], v[2:3], 2, s[8:9]
	v_add_u32_e32 v2, s5, v21
	v_lshl_add_u64 v[8:9], v[2:3], 2, s[8:9]
	v_add_u32_e32 v2, s12, v21
	v_lshl_add_u64 v[10:11], v[2:3], 2, s[8:9]
	v_add_u32_e32 v2, s13, v21
	v_lshl_add_u64 v[12:13], v[2:3], 2, s[8:9]
	v_add_u32_e32 v2, s14, v21
	v_lshl_add_u64 v[14:15], v[2:3], 2, s[8:9]
	v_add_u32_e32 v2, s15, v21
	v_lshl_add_u64 v[16:17], v[2:3], 2, s[8:9]
	v_add_u32_e32 v2, s16, v21
	v_lshl_add_u64 v[18:19], v[2:3], 2, s[8:9]
	v_add_u32_e32 v2, s17, v21
	v_lshl_add_u64 v[22:23], v[2:3], 2, s[8:9]
	v_add_u32_e32 v2, s4, v4
	v_lshl_add_u64 v[24:25], v[2:3], 2, s[8:9]
	global_load_dword v21, v[24:25], off
	global_load_dword v26, v[6:7], off
	;; [unrolled: 1-line block ×9, first 2 shown]
	v_add_u32_e32 v2, s5, v4
	v_lshl_add_u64 v[6:7], v[2:3], 2, s[8:9]
	s_waitcnt vmcnt(7)
	v_fma_f32 v2, -v5, v26, v21
	global_store_dword v[24:25], v2, off
	global_load_dword v10, v[6:7], off
	v_add_u32_e32 v2, s12, v4
	v_lshl_add_u64 v[8:9], v[2:3], 2, s[8:9]
	s_waitcnt vmcnt(0)
	v_fma_f32 v2, -v5, v27, v10
	global_store_dword v[6:7], v2, off
	global_load_dword v10, v[8:9], off
	;; [unrolled: 6-line block ×7, first 2 shown]
	v_subrev_u32_e32 v2, s22, v1
	v_add_u32_e32 v8, v2, v0
	v_ashrrev_i32_e32 v9, 31, v8
	v_lshl_add_u64 v[10:11], v[8:9], 2, s[10:11]
	v_add_u32_e32 v2, s4, v8
	global_load_dword v9, v[10:11], off
	v_lshl_add_u64 v[10:11], v[2:3], 2, s[8:9]
	s_waitcnt vmcnt(1)
	v_fma_f32 v2, -v5, v33, v4
	global_store_dword v[6:7], v2, off
	global_load_dword v6, v[10:11], off
	v_add_u32_e32 v2, s5, v8
	v_lshl_add_u64 v[4:5], v[2:3], 2, s[8:9]
	s_waitcnt vmcnt(0)
	v_fma_f32 v2, -v9, v26, v6
	global_store_dword v[10:11], v2, off
	global_load_dword v10, v[4:5], off
	v_add_u32_e32 v2, s12, v8
	;; [unrolled: 6-line block ×7, first 2 shown]
	s_waitcnt vmcnt(0)
	v_fma_f32 v4, -v9, v32, v4
	global_store_dword v[6:7], v4, off
	v_lshl_add_u64 v[4:5], v[2:3], 2, s[8:9]
	global_load_dword v2, v[4:5], off
	s_waitcnt vmcnt(0)
	v_fma_f32 v2, -v9, v33, v2
	global_store_dword v[4:5], v2, off
                                        ; implicit-def: $vgpr4
                                        ; implicit-def: $vgpr5
.LBB61_27:                              ;   in Loop: Header=BB61_25 Depth=1
	s_or_saveexec_b64 s[2:3], s[2:3]
	v_mov_b32_e32 v2, s18
	s_xor_b64 exec, exec, s[2:3]
	s_cbranch_execz .LBB61_24
; %bb.28:                               ;   in Loop: Header=BB61_25 Depth=1
	v_add_u32_e32 v12, v20, v1
	v_add_u32_e32 v2, s4, v12
	v_lshl_add_u64 v[6:7], v[2:3], 2, s[8:9]
	v_add_u32_e32 v2, s4, v4
	v_lshl_add_u64 v[8:9], v[2:3], 2, s[8:9]
	global_load_dword v13, v[6:7], off
	global_load_dword v14, v[8:9], off
	v_add_u32_e32 v2, s5, v12
	v_lshl_add_u64 v[6:7], v[2:3], 2, s[8:9]
	v_add_u32_e32 v2, s5, v4
	v_lshl_add_u64 v[10:11], v[2:3], 2, s[8:9]
	s_waitcnt vmcnt(0)
	v_fma_f32 v2, -v5, v13, v14
	global_store_dword v[8:9], v2, off
	global_load_dword v13, v[6:7], off
	global_load_dword v14, v[10:11], off
	v_add_u32_e32 v2, s12, v12
	v_lshl_add_u64 v[6:7], v[2:3], 2, s[8:9]
	v_add_u32_e32 v2, s12, v4
	v_lshl_add_u64 v[8:9], v[2:3], 2, s[8:9]
	s_waitcnt vmcnt(0)
	v_fma_f32 v2, -v5, v13, v14
	global_store_dword v[10:11], v2, off
	;; [unrolled: 9-line block ×7, first 2 shown]
	global_load_dword v2, v[6:7], off
	s_nop 0
	global_load_dword v4, v[10:11], off
	s_waitcnt vmcnt(0)
	v_fma_f32 v2, -v5, v2, v4
	global_store_dword v[10:11], v2, off
	v_mov_b32_e32 v2, s22
	s_branch .LBB61_24
.LBB61_29:
	s_endpgm
	.section	.rodata,"a",@progbits
	.p2align	6, 0x0
	.amdhsa_kernel _ZN9rocsparseL19gtsv_LBM_rhs_kernelILj256ELj64ELj8EfEEviiiPKT2_S3_S3_PS1_S3_PKi
		.amdhsa_group_segment_fixed_size 0
		.amdhsa_private_segment_fixed_size 0
		.amdhsa_kernarg_size 64
		.amdhsa_user_sgpr_count 2
		.amdhsa_user_sgpr_dispatch_ptr 0
		.amdhsa_user_sgpr_queue_ptr 0
		.amdhsa_user_sgpr_kernarg_segment_ptr 1
		.amdhsa_user_sgpr_dispatch_id 0
		.amdhsa_user_sgpr_kernarg_preload_length 0
		.amdhsa_user_sgpr_kernarg_preload_offset 0
		.amdhsa_user_sgpr_private_segment_size 0
		.amdhsa_uses_dynamic_stack 0
		.amdhsa_enable_private_segment 0
		.amdhsa_system_sgpr_workgroup_id_x 1
		.amdhsa_system_sgpr_workgroup_id_y 1
		.amdhsa_system_sgpr_workgroup_id_z 0
		.amdhsa_system_sgpr_workgroup_info 0
		.amdhsa_system_vgpr_workitem_id 0
		.amdhsa_next_free_vgpr 64
		.amdhsa_next_free_sgpr 37
		.amdhsa_accum_offset 64
		.amdhsa_reserve_vcc 1
		.amdhsa_float_round_mode_32 0
		.amdhsa_float_round_mode_16_64 0
		.amdhsa_float_denorm_mode_32 3
		.amdhsa_float_denorm_mode_16_64 3
		.amdhsa_dx10_clamp 1
		.amdhsa_ieee_mode 1
		.amdhsa_fp16_overflow 0
		.amdhsa_tg_split 0
		.amdhsa_exception_fp_ieee_invalid_op 0
		.amdhsa_exception_fp_denorm_src 0
		.amdhsa_exception_fp_ieee_div_zero 0
		.amdhsa_exception_fp_ieee_overflow 0
		.amdhsa_exception_fp_ieee_underflow 0
		.amdhsa_exception_fp_ieee_inexact 0
		.amdhsa_exception_int_div_zero 0
	.end_amdhsa_kernel
	.section	.text._ZN9rocsparseL19gtsv_LBM_rhs_kernelILj256ELj64ELj8EfEEviiiPKT2_S3_S3_PS1_S3_PKi,"axG",@progbits,_ZN9rocsparseL19gtsv_LBM_rhs_kernelILj256ELj64ELj8EfEEviiiPKT2_S3_S3_PS1_S3_PKi,comdat
.Lfunc_end61:
	.size	_ZN9rocsparseL19gtsv_LBM_rhs_kernelILj256ELj64ELj8EfEEviiiPKT2_S3_S3_PS1_S3_PKi, .Lfunc_end61-_ZN9rocsparseL19gtsv_LBM_rhs_kernelILj256ELj64ELj8EfEEviiiPKT2_S3_S3_PS1_S3_PKi
                                        ; -- End function
	.set _ZN9rocsparseL19gtsv_LBM_rhs_kernelILj256ELj64ELj8EfEEviiiPKT2_S3_S3_PS1_S3_PKi.num_vgpr, 64
	.set _ZN9rocsparseL19gtsv_LBM_rhs_kernelILj256ELj64ELj8EfEEviiiPKT2_S3_S3_PS1_S3_PKi.num_agpr, 0
	.set _ZN9rocsparseL19gtsv_LBM_rhs_kernelILj256ELj64ELj8EfEEviiiPKT2_S3_S3_PS1_S3_PKi.numbered_sgpr, 37
	.set _ZN9rocsparseL19gtsv_LBM_rhs_kernelILj256ELj64ELj8EfEEviiiPKT2_S3_S3_PS1_S3_PKi.num_named_barrier, 0
	.set _ZN9rocsparseL19gtsv_LBM_rhs_kernelILj256ELj64ELj8EfEEviiiPKT2_S3_S3_PS1_S3_PKi.private_seg_size, 0
	.set _ZN9rocsparseL19gtsv_LBM_rhs_kernelILj256ELj64ELj8EfEEviiiPKT2_S3_S3_PS1_S3_PKi.uses_vcc, 1
	.set _ZN9rocsparseL19gtsv_LBM_rhs_kernelILj256ELj64ELj8EfEEviiiPKT2_S3_S3_PS1_S3_PKi.uses_flat_scratch, 0
	.set _ZN9rocsparseL19gtsv_LBM_rhs_kernelILj256ELj64ELj8EfEEviiiPKT2_S3_S3_PS1_S3_PKi.has_dyn_sized_stack, 0
	.set _ZN9rocsparseL19gtsv_LBM_rhs_kernelILj256ELj64ELj8EfEEviiiPKT2_S3_S3_PS1_S3_PKi.has_recursion, 0
	.set _ZN9rocsparseL19gtsv_LBM_rhs_kernelILj256ELj64ELj8EfEEviiiPKT2_S3_S3_PS1_S3_PKi.has_indirect_call, 0
	.section	.AMDGPU.csdata,"",@progbits
; Kernel info:
; codeLenInByte = 3884
; TotalNumSgprs: 43
; NumVgprs: 64
; NumAgprs: 0
; TotalNumVgprs: 64
; ScratchSize: 0
; MemoryBound: 0
; FloatMode: 240
; IeeeMode: 1
; LDSByteSize: 0 bytes/workgroup (compile time only)
; SGPRBlocks: 5
; VGPRBlocks: 7
; NumSGPRsForWavesPerEU: 43
; NumVGPRsForWavesPerEU: 64
; AccumOffset: 64
; Occupancy: 8
; WaveLimiterHint : 0
; COMPUTE_PGM_RSRC2:SCRATCH_EN: 0
; COMPUTE_PGM_RSRC2:USER_SGPR: 2
; COMPUTE_PGM_RSRC2:TRAP_HANDLER: 0
; COMPUTE_PGM_RSRC2:TGID_X_EN: 1
; COMPUTE_PGM_RSRC2:TGID_Y_EN: 1
; COMPUTE_PGM_RSRC2:TGID_Z_EN: 0
; COMPUTE_PGM_RSRC2:TIDIG_COMP_CNT: 0
; COMPUTE_PGM_RSRC3_GFX90A:ACCUM_OFFSET: 15
; COMPUTE_PGM_RSRC3_GFX90A:TG_SPLIT: 0
	.section	.text._ZN9rocsparseL19gtsv_LBM_rhs_kernelILj256ELj64ELj4EfEEviiiPKT2_S3_S3_PS1_S3_PKi,"axG",@progbits,_ZN9rocsparseL19gtsv_LBM_rhs_kernelILj256ELj64ELj4EfEEviiiPKT2_S3_S3_PS1_S3_PKi,comdat
	.globl	_ZN9rocsparseL19gtsv_LBM_rhs_kernelILj256ELj64ELj4EfEEviiiPKT2_S3_S3_PS1_S3_PKi ; -- Begin function _ZN9rocsparseL19gtsv_LBM_rhs_kernelILj256ELj64ELj4EfEEviiiPKT2_S3_S3_PS1_S3_PKi
	.p2align	8
	.type	_ZN9rocsparseL19gtsv_LBM_rhs_kernelILj256ELj64ELj4EfEEviiiPKT2_S3_S3_PS1_S3_PKi,@function
_ZN9rocsparseL19gtsv_LBM_rhs_kernelILj256ELj64ELj4EfEEviiiPKT2_S3_S3_PS1_S3_PKi: ; @_ZN9rocsparseL19gtsv_LBM_rhs_kernelILj256ELj64ELj4EfEEviiiPKT2_S3_S3_PS1_S3_PKi
; %bb.0:
	s_load_dword s23, s[0:1], 0x0
	v_lshl_or_b32 v0, s2, 8, v0
	s_waitcnt lgkmcnt(0)
	s_lshr_b32 s22, s23, 6
	v_cmp_gt_i32_e32 vcc, s22, v0
	s_and_saveexec_b64 s[4:5], vcc
	s_cbranch_execz .LBB62_29
; %bb.1:
	s_load_dwordx4 s[8:11], s[0:1], 0x28
	s_load_dwordx2 s[6:7], s[0:1], 0x38
	s_cmp_lt_i32 s23, 1
	v_add_u32_e32 v12, s22, v0
	s_mul_i32 s24, s3, s23
	s_cbranch_scc1 .LBB62_21
; %bb.2:
	s_load_dwordx4 s[12:15], s[0:1], 0x10
	s_load_dwordx2 s[16:17], s[0:1], 0x20
	v_ashrrev_i32_e32 v1, 31, v0
	s_lshl_b32 s28, s24, 2
	s_add_i32 s29, s28, s23
	s_waitcnt lgkmcnt(0)
	v_lshl_add_u64 v[2:3], v[0:1], 2, s[14:15]
	global_load_dword v14, v[2:3], off
	s_add_i32 s30, s29, s23
	s_mul_i32 s25, s22, 63
	s_mul_i32 s26, s22, 62
	s_lshl_b32 s27, s22, 1
	v_add_u32_e32 v13, s22, v12
	s_add_i32 s31, s30, s23
	v_mov_b32_e32 v3, 0
	s_mov_b64 s[18:19], 0
	v_mov_b32_e32 v1, 0
	s_branch .LBB62_5
.LBB62_3:                               ;   in Loop: Header=BB62_5 Depth=1
	s_or_b64 exec, exec, s[4:5]
	v_fma_f32 v14, -v14, v20, v16
	v_mov_b32_e32 v2, s22
.LBB62_4:                               ;   in Loop: Header=BB62_5 Depth=1
	s_or_b64 exec, exec, s[2:3]
	v_add_u32_e32 v1, v2, v1
	v_cmp_le_i32_e32 vcc, s23, v1
	s_or_b64 s[18:19], vcc, s[18:19]
	s_andn2_b64 exec, exec, s[18:19]
	s_cbranch_execz .LBB62_20
.LBB62_5:                               ; =>This Inner Loop Header: Depth=1
	v_add_u32_e32 v10, v1, v0
	v_ashrrev_i32_e32 v11, 31, v10
	v_lshl_add_u64 v[4:5], v[10:11], 2, s[16:17]
	global_load_dword v18, v[4:5], off
	v_cmp_gt_u32_e64 s[0:1], s25, v1
	v_mov_b32_e32 v15, 0
	s_and_saveexec_b64 s[2:3], s[0:1]
	s_cbranch_execz .LBB62_7
; %bb.6:                                ;   in Loop: Header=BB62_5 Depth=1
	v_add_u32_e32 v4, v12, v1
	v_ashrrev_i32_e32 v5, 31, v4
	v_lshl_add_u64 v[4:5], v[4:5], 2, s[12:13]
	global_load_dword v15, v[4:5], off
.LBB62_7:                               ;   in Loop: Header=BB62_5 Depth=1
	s_or_b64 exec, exec, s[2:3]
	v_mov_b32_e32 v17, 0
	v_mov_b32_e32 v16, 0
	s_and_saveexec_b64 s[2:3], s[0:1]
	s_cbranch_execz .LBB62_9
; %bb.8:                                ;   in Loop: Header=BB62_5 Depth=1
	v_add_u32_e32 v4, v12, v1
	v_ashrrev_i32_e32 v5, 31, v4
	v_lshl_add_u64 v[4:5], v[4:5], 2, s[14:15]
	global_load_dword v16, v[4:5], off
.LBB62_9:                               ;   in Loop: Header=BB62_5 Depth=1
	s_or_b64 exec, exec, s[2:3]
	s_and_saveexec_b64 s[2:3], s[0:1]
	s_cbranch_execz .LBB62_11
; %bb.10:                               ;   in Loop: Header=BB62_5 Depth=1
	v_add_u32_e32 v4, v12, v1
	v_ashrrev_i32_e32 v5, 31, v4
	v_lshl_add_u64 v[4:5], v[4:5], 2, s[16:17]
	global_load_dword v17, v[4:5], off
.LBB62_11:                              ;   in Loop: Header=BB62_5 Depth=1
	s_or_b64 exec, exec, s[2:3]
	v_cmp_gt_u32_e64 s[2:3], s26, v1
	v_mov_b32_e32 v19, 0
	s_and_saveexec_b64 s[4:5], s[2:3]
	s_cbranch_execz .LBB62_13
; %bb.12:                               ;   in Loop: Header=BB62_5 Depth=1
	v_add_u32_e32 v4, v13, v1
	v_ashrrev_i32_e32 v5, 31, v4
	v_lshl_add_u64 v[4:5], v[4:5], 2, s[12:13]
	global_load_dword v19, v[4:5], off
.LBB62_13:                              ;   in Loop: Header=BB62_5 Depth=1
	s_or_b64 exec, exec, s[4:5]
	v_lshl_add_u64 v[4:5], v[10:11], 2, s[6:7]
	v_add_u32_e32 v2, s28, v10
	global_load_dword v20, v[4:5], off
	v_lshl_add_u64 v[4:5], v[2:3], 2, s[8:9]
	v_add_u32_e32 v2, s29, v10
	v_lshl_add_u64 v[6:7], v[2:3], 2, s[8:9]
	v_add_u32_e32 v2, s30, v10
	v_lshl_add_u64 v[8:9], v[2:3], 2, s[8:9]
	v_add_u32_e32 v2, s31, v10
	v_lshl_add_u64 v[10:11], v[2:3], 2, s[8:9]
	global_load_dword v21, v[4:5], off
	global_load_dword v22, v[6:7], off
	;; [unrolled: 1-line block ×4, first 2 shown]
	v_cmp_ne_u32_e64 s[4:5], s25, v1
	s_waitcnt vmcnt(4)
	v_cmp_ne_u32_e32 vcc, 1, v20
	s_and_b64 s[4:5], s[4:5], vcc
	v_mul_f32_e32 v20, v18, v15
	s_and_saveexec_b64 s[20:21], s[4:5]
	s_xor_b64 s[4:5], exec, s[20:21]
	s_cbranch_execz .LBB62_17
; %bb.14:                               ;   in Loop: Header=BB62_5 Depth=1
	v_add_u32_e32 v25, v12, v1
	v_add_u32_e32 v2, s28, v25
	v_lshl_add_u64 v[30:31], v[2:3], 2, s[8:9]
	v_add_u32_e32 v2, s29, v25
	v_lshl_add_u64 v[32:33], v[2:3], 2, s[8:9]
	v_add_u32_e32 v2, s30, v25
	global_load_dword v27, v[30:31], off
	global_load_dword v28, v[32:33], off
	v_lshl_add_u64 v[34:35], v[2:3], 2, s[8:9]
	v_add_u32_e32 v2, s31, v25
	global_load_dword v29, v[34:35], off
	v_lshl_add_u64 v[36:37], v[2:3], 2, s[8:9]
	global_load_dword v2, v[36:37], off
	v_fma_f32 v20, v14, v16, -v20
	v_div_scale_f32 v25, s[20:21], v20, v20, 1.0
	v_rcp_f32_e32 v26, v25
	v_div_scale_f32 v38, vcc, 1.0, v20, 1.0
	v_fma_f32 v39, -v25, v26, 1.0
	v_fmac_f32_e32 v26, v39, v26
	v_mul_f32_e32 v39, v38, v26
	v_fma_f32 v40, -v25, v39, v38
	v_fmac_f32_e32 v39, v40, v26
	v_fma_f32 v25, -v25, v39, v38
	v_div_fmas_f32 v25, v25, v26, v39
	v_div_fixup_f32 v20, v25, v20, 1.0
	s_waitcnt vmcnt(7)
	v_mul_f32_e32 v25, v20, v21
	s_waitcnt vmcnt(6)
	v_mul_f32_e32 v26, v20, v22
	;; [unrolled: 2-line block ×3, first 2 shown]
	v_mul_f32_e32 v23, v15, v25
	s_waitcnt vmcnt(4)
	v_mul_f32_e32 v22, v20, v24
	v_mul_f32_e32 v24, v15, v26
	;; [unrolled: 1-line block ×4, first 2 shown]
	s_waitcnt vmcnt(3)
	v_mul_f32_e32 v27, v20, v27
	s_waitcnt vmcnt(2)
	v_mul_f32_e32 v28, v20, v28
	v_mul_f32_e32 v40, v18, v27
	v_fma_f32 v41, v14, v27, -v23
	s_waitcnt vmcnt(1)
	v_mul_f32_e32 v23, v20, v29
	v_fma_f32 v29, v16, v25, -v40
	v_mul_f32_e32 v40, v18, v28
	v_fma_f32 v42, v14, v28, -v24
	s_waitcnt vmcnt(0)
	v_mul_f32_e32 v24, v20, v2
	global_store_dword v[4:5], v29, off
	v_fma_f32 v2, v16, v26, -v40
	v_mul_f32_e32 v4, v18, v23
	global_store_dword v[6:7], v2, off
	v_fma_f32 v2, v16, v21, -v4
	;; [unrolled: 3-line block ×3, first 2 shown]
	v_fma_f32 v5, v14, v23, -v38
	v_fma_f32 v6, v14, v24, -v39
	global_store_dword v[10:11], v2, off
	global_store_dword v[30:31], v41, off
	;; [unrolled: 1-line block ×5, first 2 shown]
	v_mov_b32_e32 v2, 0
	s_and_saveexec_b64 s[20:21], s[2:3]
	s_cbranch_execz .LBB62_16
; %bb.15:                               ;   in Loop: Header=BB62_5 Depth=1
	v_add_u32_e32 v4, v13, v1
	v_add_u32_e32 v2, s28, v4
	v_lshl_add_u64 v[6:7], v[2:3], 2, s[8:9]
	v_add_u32_e32 v2, s29, v4
	global_load_dword v16, v[6:7], off
	v_lshl_add_u64 v[8:9], v[2:3], 2, s[8:9]
	global_load_dword v18, v[8:9], off
	v_mul_f32_e32 v29, v15, v19
	v_mul_f32_e32 v19, v14, v19
	;; [unrolled: 1-line block ×4, first 2 shown]
	v_fma_f32 v25, v29, v25, -v2
	v_add_u32_e32 v2, s30, v4
	v_fma_f32 v26, v29, v26, -v10
	v_lshl_add_u64 v[10:11], v[2:3], 2, s[8:9]
	v_add_u32_e32 v2, s31, v4
	v_lshl_add_u64 v[14:15], v[2:3], 2, s[8:9]
	v_ashrrev_i32_e32 v5, 31, v4
	v_lshl_add_u64 v[4:5], v[4:5], 2, s[14:15]
	global_load_dword v4, v[4:5], off
	v_mul_f32_e32 v5, v19, v23
	v_fma_f32 v5, v29, v21, -v5
	s_waitcnt vmcnt(2)
	v_add_f32_e32 v2, v25, v16
	global_store_dword v[6:7], v2, off
	s_waitcnt vmcnt(2)
	v_add_f32_e32 v2, v26, v18
	global_store_dword v[8:9], v2, off
	global_load_dword v6, v[10:11], off
	v_mul_f32_e32 v7, v19, v24
	global_load_dword v2, v[14:15], off
	v_fma_f32 v7, v29, v22, -v7
	v_mul_f32_e32 v8, v17, v19
	s_waitcnt vmcnt(1)
	v_add_f32_e32 v5, v5, v6
	global_store_dword v[10:11], v5, off
	s_waitcnt vmcnt(1)
	v_add_f32_e32 v2, v7, v2
	global_store_dword v[14:15], v2, off
	v_fma_f32 v2, -v20, v8, v4
.LBB62_16:                              ;   in Loop: Header=BB62_5 Depth=1
	s_or_b64 exec, exec, s[20:21]
	v_mov_b32_e32 v14, v2
                                        ; implicit-def: $vgpr15
                                        ; implicit-def: $vgpr16
                                        ; implicit-def: $vgpr20
                                        ; implicit-def: $vgpr4_vgpr5
                                        ; implicit-def: $vgpr21
                                        ; implicit-def: $vgpr6_vgpr7
                                        ; implicit-def: $vgpr22
                                        ; implicit-def: $vgpr8_vgpr9
                                        ; implicit-def: $vgpr23
                                        ; implicit-def: $vgpr10_vgpr11
                                        ; implicit-def: $vgpr24
.LBB62_17:                              ;   in Loop: Header=BB62_5 Depth=1
	s_or_saveexec_b64 s[2:3], s[4:5]
	v_mov_b32_e32 v2, s27
	s_xor_b64 exec, exec, s[2:3]
	s_cbranch_execz .LBB62_4
; %bb.18:                               ;   in Loop: Header=BB62_5 Depth=1
	v_div_scale_f32 v2, s[4:5], v14, v14, 1.0
	v_rcp_f32_e32 v17, v2
	v_div_scale_f32 v18, vcc, 1.0, v14, 1.0
	v_fma_f32 v19, -v2, v17, 1.0
	v_fmac_f32_e32 v17, v19, v17
	v_mul_f32_e32 v19, v18, v17
	v_fma_f32 v25, -v2, v19, v18
	v_fmac_f32_e32 v19, v25, v17
	v_fma_f32 v2, -v2, v19, v18
	v_div_fmas_f32 v2, v2, v17, v19
	v_div_fixup_f32 v14, v2, v14, 1.0
	s_waitcnt vmcnt(3)
	v_mul_f32_e32 v21, v14, v21
	s_waitcnt vmcnt(2)
	v_mul_f32_e32 v19, v14, v22
	;; [unrolled: 2-line block ×4, first 2 shown]
	global_store_dword v[4:5], v21, off
	global_store_dword v[6:7], v19, off
	global_store_dword v[8:9], v18, off
	global_store_dword v[10:11], v17, off
	s_and_saveexec_b64 s[4:5], s[0:1]
	s_cbranch_execz .LBB62_3
; %bb.19:                               ;   in Loop: Header=BB62_5 Depth=1
	v_add_u32_e32 v10, v12, v1
	v_add_u32_e32 v2, s28, v10
	v_lshl_add_u64 v[4:5], v[2:3], 2, s[8:9]
	v_add_u32_e32 v2, s29, v10
	global_load_dword v22, v[4:5], off
	v_lshl_add_u64 v[6:7], v[2:3], 2, s[8:9]
	global_load_dword v23, v[6:7], off
	v_add_u32_e32 v2, s30, v10
	v_lshl_add_u64 v[8:9], v[2:3], 2, s[8:9]
	v_add_u32_e32 v2, s31, v10
	v_lshl_add_u64 v[10:11], v[2:3], 2, s[8:9]
	s_waitcnt vmcnt(1)
	v_fma_f32 v2, -v15, v21, v22
	global_store_dword v[4:5], v2, off
	s_waitcnt vmcnt(1)
	v_fma_f32 v2, -v15, v19, v23
	global_store_dword v[6:7], v2, off
	global_load_dword v4, v[8:9], off
	s_nop 0
	global_load_dword v2, v[10:11], off
	s_waitcnt vmcnt(1)
	v_fma_f32 v4, -v15, v18, v4
	global_store_dword v[8:9], v4, off
	s_waitcnt vmcnt(1)
	v_fma_f32 v2, -v15, v17, v2
	global_store_dword v[10:11], v2, off
	s_branch .LBB62_3
.LBB62_20:
	s_or_b64 exec, exec, s[18:19]
	s_branch .LBB62_22
.LBB62_21:
	v_mov_b32_e32 v1, 0
.LBB62_22:
	v_subrev_u32_e32 v1, s22, v1
	v_add_u32_e32 v2, v1, v0
	v_ashrrev_i32_e32 v3, 31, v2
	s_waitcnt lgkmcnt(0)
	v_lshl_add_u64 v[2:3], v[2:3], 2, s[6:7]
	buffer_wbl2 sc1
	s_waitcnt vmcnt(0)
	buffer_inv sc1
	global_load_dword v2, v[2:3], off
	s_waitcnt vmcnt(0)
	v_mul_lo_u32 v2, v2, s22
	v_sub_u32_e32 v1, v1, v2
	v_cmp_lt_i32_e32 vcc, -1, v1
	s_and_b64 exec, exec, vcc
	s_cbranch_execz .LBB62_29
; %bb.23:
	s_lshl_b32 s4, s24, 2
	s_add_i32 s5, s4, s23
	s_add_i32 s12, s5, s23
	;; [unrolled: 1-line block ×3, first 2 shown]
	s_lshl_b32 s14, s22, 1
	s_mov_b64 s[0:1], 0
	v_mov_b32_e32 v3, 0
	s_branch .LBB62_25
.LBB62_24:                              ;   in Loop: Header=BB62_25 Depth=1
	s_or_b64 exec, exec, s[2:3]
	v_sub_u32_e32 v1, v1, v2
	v_cmp_gt_i32_e32 vcc, 0, v1
	s_or_b64 s[0:1], vcc, s[0:1]
	s_andn2_b64 exec, exec, s[0:1]
	s_cbranch_execz .LBB62_29
.LBB62_25:                              ; =>This Inner Loop Header: Depth=1
	v_add_u32_e32 v4, v1, v0
	s_waitcnt vmcnt(0)
	v_ashrrev_i32_e32 v5, 31, v4
	v_lshlrev_b64 v[6:7], 2, v[4:5]
	v_lshl_add_u64 v[8:9], s[6:7], 0, v[6:7]
	global_load_dword v2, v[8:9], off
	v_lshl_add_u64 v[6:7], s[10:11], 0, v[6:7]
	global_load_dword v5, v[6:7], off
	s_waitcnt vmcnt(1)
	v_cmp_ne_u32_e32 vcc, 1, v2
	s_and_saveexec_b64 s[2:3], vcc
	s_xor_b64 s[2:3], exec, s[2:3]
	s_cbranch_execz .LBB62_27
; %bb.26:                               ;   in Loop: Header=BB62_25 Depth=1
	v_add_u32_e32 v13, v12, v1
	v_add_u32_e32 v2, s4, v13
	v_lshl_add_u64 v[6:7], v[2:3], 2, s[8:9]
	v_add_u32_e32 v2, s5, v13
	v_lshl_add_u64 v[8:9], v[2:3], 2, s[8:9]
	;; [unrolled: 2-line block ×5, first 2 shown]
	global_load_dword v13, v[6:7], off
	global_load_dword v18, v[16:17], off
	;; [unrolled: 1-line block ×5, first 2 shown]
	v_add_u32_e32 v2, s5, v4
	v_lshl_add_u64 v[6:7], v[2:3], 2, s[8:9]
	s_waitcnt vmcnt(3)
	v_fma_f32 v2, -v5, v13, v18
	global_store_dword v[16:17], v2, off
	global_load_dword v10, v[6:7], off
	v_add_u32_e32 v2, s12, v4
	v_lshl_add_u64 v[8:9], v[2:3], 2, s[8:9]
	s_waitcnt vmcnt(0)
	v_fma_f32 v2, -v5, v19, v10
	global_store_dword v[6:7], v2, off
	global_load_dword v10, v[8:9], off
	;; [unrolled: 6-line block ×3, first 2 shown]
	v_subrev_u32_e32 v2, s22, v1
	v_add_u32_e32 v8, v2, v0
	v_ashrrev_i32_e32 v9, 31, v8
	v_lshl_add_u64 v[10:11], v[8:9], 2, s[10:11]
	v_add_u32_e32 v2, s4, v8
	global_load_dword v9, v[10:11], off
	v_lshl_add_u64 v[10:11], v[2:3], 2, s[8:9]
	s_waitcnt vmcnt(1)
	v_fma_f32 v2, -v5, v21, v4
	global_store_dword v[6:7], v2, off
	global_load_dword v6, v[10:11], off
	v_add_u32_e32 v2, s5, v8
	v_lshl_add_u64 v[4:5], v[2:3], 2, s[8:9]
	s_waitcnt vmcnt(0)
	v_fma_f32 v2, -v9, v13, v6
	global_store_dword v[10:11], v2, off
	global_load_dword v10, v[4:5], off
	v_add_u32_e32 v2, s12, v8
	;; [unrolled: 6-line block ×3, first 2 shown]
	s_waitcnt vmcnt(0)
	v_fma_f32 v4, -v9, v20, v4
	global_store_dword v[6:7], v4, off
	v_lshl_add_u64 v[4:5], v[2:3], 2, s[8:9]
	global_load_dword v2, v[4:5], off
	s_waitcnt vmcnt(0)
	v_fma_f32 v2, -v9, v21, v2
	global_store_dword v[4:5], v2, off
                                        ; implicit-def: $vgpr4
                                        ; implicit-def: $vgpr5
.LBB62_27:                              ;   in Loop: Header=BB62_25 Depth=1
	s_or_saveexec_b64 s[2:3], s[2:3]
	v_mov_b32_e32 v2, s14
	s_xor_b64 exec, exec, s[2:3]
	s_cbranch_execz .LBB62_24
; %bb.28:                               ;   in Loop: Header=BB62_25 Depth=1
	v_add_u32_e32 v13, v12, v1
	v_add_u32_e32 v2, s4, v13
	v_lshl_add_u64 v[6:7], v[2:3], 2, s[8:9]
	v_add_u32_e32 v2, s4, v4
	v_lshl_add_u64 v[8:9], v[2:3], 2, s[8:9]
	global_load_dword v14, v[6:7], off
	global_load_dword v15, v[8:9], off
	v_add_u32_e32 v2, s5, v13
	v_lshl_add_u64 v[6:7], v[2:3], 2, s[8:9]
	v_add_u32_e32 v2, s5, v4
	v_lshl_add_u64 v[10:11], v[2:3], 2, s[8:9]
	s_waitcnt vmcnt(0)
	v_fma_f32 v2, -v5, v14, v15
	global_store_dword v[8:9], v2, off
	global_load_dword v14, v[6:7], off
	global_load_dword v15, v[10:11], off
	v_add_u32_e32 v2, s12, v13
	v_lshl_add_u64 v[6:7], v[2:3], 2, s[8:9]
	v_add_u32_e32 v2, s12, v4
	v_lshl_add_u64 v[8:9], v[2:3], 2, s[8:9]
	s_waitcnt vmcnt(0)
	v_fma_f32 v2, -v5, v14, v15
	global_store_dword v[10:11], v2, off
	;; [unrolled: 9-line block ×3, first 2 shown]
	global_load_dword v2, v[6:7], off
	s_nop 0
	global_load_dword v4, v[10:11], off
	s_waitcnt vmcnt(0)
	v_fma_f32 v2, -v5, v2, v4
	global_store_dword v[10:11], v2, off
	v_mov_b32_e32 v2, s22
	s_branch .LBB62_24
.LBB62_29:
	s_endpgm
	.section	.rodata,"a",@progbits
	.p2align	6, 0x0
	.amdhsa_kernel _ZN9rocsparseL19gtsv_LBM_rhs_kernelILj256ELj64ELj4EfEEviiiPKT2_S3_S3_PS1_S3_PKi
		.amdhsa_group_segment_fixed_size 0
		.amdhsa_private_segment_fixed_size 0
		.amdhsa_kernarg_size 64
		.amdhsa_user_sgpr_count 2
		.amdhsa_user_sgpr_dispatch_ptr 0
		.amdhsa_user_sgpr_queue_ptr 0
		.amdhsa_user_sgpr_kernarg_segment_ptr 1
		.amdhsa_user_sgpr_dispatch_id 0
		.amdhsa_user_sgpr_kernarg_preload_length 0
		.amdhsa_user_sgpr_kernarg_preload_offset 0
		.amdhsa_user_sgpr_private_segment_size 0
		.amdhsa_uses_dynamic_stack 0
		.amdhsa_enable_private_segment 0
		.amdhsa_system_sgpr_workgroup_id_x 1
		.amdhsa_system_sgpr_workgroup_id_y 1
		.amdhsa_system_sgpr_workgroup_id_z 0
		.amdhsa_system_sgpr_workgroup_info 0
		.amdhsa_system_vgpr_workitem_id 0
		.amdhsa_next_free_vgpr 43
		.amdhsa_next_free_sgpr 32
		.amdhsa_accum_offset 44
		.amdhsa_reserve_vcc 1
		.amdhsa_float_round_mode_32 0
		.amdhsa_float_round_mode_16_64 0
		.amdhsa_float_denorm_mode_32 3
		.amdhsa_float_denorm_mode_16_64 3
		.amdhsa_dx10_clamp 1
		.amdhsa_ieee_mode 1
		.amdhsa_fp16_overflow 0
		.amdhsa_tg_split 0
		.amdhsa_exception_fp_ieee_invalid_op 0
		.amdhsa_exception_fp_denorm_src 0
		.amdhsa_exception_fp_ieee_div_zero 0
		.amdhsa_exception_fp_ieee_overflow 0
		.amdhsa_exception_fp_ieee_underflow 0
		.amdhsa_exception_fp_ieee_inexact 0
		.amdhsa_exception_int_div_zero 0
	.end_amdhsa_kernel
	.section	.text._ZN9rocsparseL19gtsv_LBM_rhs_kernelILj256ELj64ELj4EfEEviiiPKT2_S3_S3_PS1_S3_PKi,"axG",@progbits,_ZN9rocsparseL19gtsv_LBM_rhs_kernelILj256ELj64ELj4EfEEviiiPKT2_S3_S3_PS1_S3_PKi,comdat
.Lfunc_end62:
	.size	_ZN9rocsparseL19gtsv_LBM_rhs_kernelILj256ELj64ELj4EfEEviiiPKT2_S3_S3_PS1_S3_PKi, .Lfunc_end62-_ZN9rocsparseL19gtsv_LBM_rhs_kernelILj256ELj64ELj4EfEEviiiPKT2_S3_S3_PS1_S3_PKi
                                        ; -- End function
	.set _ZN9rocsparseL19gtsv_LBM_rhs_kernelILj256ELj64ELj4EfEEviiiPKT2_S3_S3_PS1_S3_PKi.num_vgpr, 43
	.set _ZN9rocsparseL19gtsv_LBM_rhs_kernelILj256ELj64ELj4EfEEviiiPKT2_S3_S3_PS1_S3_PKi.num_agpr, 0
	.set _ZN9rocsparseL19gtsv_LBM_rhs_kernelILj256ELj64ELj4EfEEviiiPKT2_S3_S3_PS1_S3_PKi.numbered_sgpr, 32
	.set _ZN9rocsparseL19gtsv_LBM_rhs_kernelILj256ELj64ELj4EfEEviiiPKT2_S3_S3_PS1_S3_PKi.num_named_barrier, 0
	.set _ZN9rocsparseL19gtsv_LBM_rhs_kernelILj256ELj64ELj4EfEEviiiPKT2_S3_S3_PS1_S3_PKi.private_seg_size, 0
	.set _ZN9rocsparseL19gtsv_LBM_rhs_kernelILj256ELj64ELj4EfEEviiiPKT2_S3_S3_PS1_S3_PKi.uses_vcc, 1
	.set _ZN9rocsparseL19gtsv_LBM_rhs_kernelILj256ELj64ELj4EfEEviiiPKT2_S3_S3_PS1_S3_PKi.uses_flat_scratch, 0
	.set _ZN9rocsparseL19gtsv_LBM_rhs_kernelILj256ELj64ELj4EfEEviiiPKT2_S3_S3_PS1_S3_PKi.has_dyn_sized_stack, 0
	.set _ZN9rocsparseL19gtsv_LBM_rhs_kernelILj256ELj64ELj4EfEEviiiPKT2_S3_S3_PS1_S3_PKi.has_recursion, 0
	.set _ZN9rocsparseL19gtsv_LBM_rhs_kernelILj256ELj64ELj4EfEEviiiPKT2_S3_S3_PS1_S3_PKi.has_indirect_call, 0
	.section	.AMDGPU.csdata,"",@progbits
; Kernel info:
; codeLenInByte = 2432
; TotalNumSgprs: 38
; NumVgprs: 43
; NumAgprs: 0
; TotalNumVgprs: 43
; ScratchSize: 0
; MemoryBound: 0
; FloatMode: 240
; IeeeMode: 1
; LDSByteSize: 0 bytes/workgroup (compile time only)
; SGPRBlocks: 4
; VGPRBlocks: 5
; NumSGPRsForWavesPerEU: 38
; NumVGPRsForWavesPerEU: 43
; AccumOffset: 44
; Occupancy: 8
; WaveLimiterHint : 0
; COMPUTE_PGM_RSRC2:SCRATCH_EN: 0
; COMPUTE_PGM_RSRC2:USER_SGPR: 2
; COMPUTE_PGM_RSRC2:TRAP_HANDLER: 0
; COMPUTE_PGM_RSRC2:TGID_X_EN: 1
; COMPUTE_PGM_RSRC2:TGID_Y_EN: 1
; COMPUTE_PGM_RSRC2:TGID_Z_EN: 0
; COMPUTE_PGM_RSRC2:TIDIG_COMP_CNT: 0
; COMPUTE_PGM_RSRC3_GFX90A:ACCUM_OFFSET: 10
; COMPUTE_PGM_RSRC3_GFX90A:TG_SPLIT: 0
	.section	.text._ZN9rocsparseL19gtsv_LBM_rhs_kernelILj256ELj64ELj2EfEEviiiPKT2_S3_S3_PS1_S3_PKi,"axG",@progbits,_ZN9rocsparseL19gtsv_LBM_rhs_kernelILj256ELj64ELj2EfEEviiiPKT2_S3_S3_PS1_S3_PKi,comdat
	.globl	_ZN9rocsparseL19gtsv_LBM_rhs_kernelILj256ELj64ELj2EfEEviiiPKT2_S3_S3_PS1_S3_PKi ; -- Begin function _ZN9rocsparseL19gtsv_LBM_rhs_kernelILj256ELj64ELj2EfEEviiiPKT2_S3_S3_PS1_S3_PKi
	.p2align	8
	.type	_ZN9rocsparseL19gtsv_LBM_rhs_kernelILj256ELj64ELj2EfEEviiiPKT2_S3_S3_PS1_S3_PKi,@function
_ZN9rocsparseL19gtsv_LBM_rhs_kernelILj256ELj64ELj2EfEEviiiPKT2_S3_S3_PS1_S3_PKi: ; @_ZN9rocsparseL19gtsv_LBM_rhs_kernelILj256ELj64ELj2EfEEviiiPKT2_S3_S3_PS1_S3_PKi
; %bb.0:
	s_load_dword s23, s[0:1], 0x0
	v_lshl_or_b32 v0, s2, 8, v0
	s_waitcnt lgkmcnt(0)
	s_lshr_b32 s22, s23, 6
	v_cmp_gt_i32_e32 vcc, s22, v0
	s_and_saveexec_b64 s[4:5], vcc
	s_cbranch_execz .LBB63_29
; %bb.1:
	s_load_dwordx4 s[8:11], s[0:1], 0x28
	s_load_dwordx2 s[6:7], s[0:1], 0x38
	s_cmp_lt_i32 s23, 1
	v_add_u32_e32 v8, s22, v0
	s_mul_i32 s24, s3, s23
	s_cbranch_scc1 .LBB63_21
; %bb.2:
	s_load_dwordx4 s[12:15], s[0:1], 0x10
	s_load_dwordx2 s[16:17], s[0:1], 0x20
	v_ashrrev_i32_e32 v1, 31, v0
	s_lshl_b32 s28, s24, 1
	s_mul_i32 s25, s22, 63
	s_waitcnt lgkmcnt(0)
	v_lshl_add_u64 v[2:3], v[0:1], 2, s[14:15]
	global_load_dword v10, v[2:3], off
	s_mul_i32 s26, s22, 62
	s_lshl_b32 s27, s22, 1
	v_add_u32_e32 v9, s22, v8
	s_add_i32 s29, s28, s23
	v_mov_b32_e32 v3, 0
	s_mov_b64 s[18:19], 0
	v_mov_b32_e32 v1, 0
	s_branch .LBB63_5
.LBB63_3:                               ;   in Loop: Header=BB63_5 Depth=1
	s_or_b64 exec, exec, s[4:5]
	v_fma_f32 v10, -v10, v16, v12
	v_mov_b32_e32 v2, s22
.LBB63_4:                               ;   in Loop: Header=BB63_5 Depth=1
	s_or_b64 exec, exec, s[2:3]
	v_add_u32_e32 v1, v2, v1
	v_cmp_le_i32_e32 vcc, s23, v1
	s_or_b64 s[18:19], vcc, s[18:19]
	s_andn2_b64 exec, exec, s[18:19]
	s_cbranch_execz .LBB63_20
.LBB63_5:                               ; =>This Inner Loop Header: Depth=1
	v_add_u32_e32 v6, v1, v0
	v_ashrrev_i32_e32 v7, 31, v6
	v_lshl_add_u64 v[4:5], v[6:7], 2, s[16:17]
	global_load_dword v14, v[4:5], off
	v_cmp_gt_u32_e64 s[0:1], s25, v1
	v_mov_b32_e32 v11, 0
	s_and_saveexec_b64 s[2:3], s[0:1]
	s_cbranch_execz .LBB63_7
; %bb.6:                                ;   in Loop: Header=BB63_5 Depth=1
	v_add_u32_e32 v4, v8, v1
	v_ashrrev_i32_e32 v5, 31, v4
	v_lshl_add_u64 v[4:5], v[4:5], 2, s[12:13]
	global_load_dword v11, v[4:5], off
.LBB63_7:                               ;   in Loop: Header=BB63_5 Depth=1
	s_or_b64 exec, exec, s[2:3]
	v_mov_b32_e32 v13, 0
	v_mov_b32_e32 v12, 0
	s_and_saveexec_b64 s[2:3], s[0:1]
	s_cbranch_execz .LBB63_9
; %bb.8:                                ;   in Loop: Header=BB63_5 Depth=1
	v_add_u32_e32 v4, v8, v1
	v_ashrrev_i32_e32 v5, 31, v4
	v_lshl_add_u64 v[4:5], v[4:5], 2, s[14:15]
	global_load_dword v12, v[4:5], off
.LBB63_9:                               ;   in Loop: Header=BB63_5 Depth=1
	s_or_b64 exec, exec, s[2:3]
	s_and_saveexec_b64 s[2:3], s[0:1]
	s_cbranch_execz .LBB63_11
; %bb.10:                               ;   in Loop: Header=BB63_5 Depth=1
	v_add_u32_e32 v4, v8, v1
	v_ashrrev_i32_e32 v5, 31, v4
	v_lshl_add_u64 v[4:5], v[4:5], 2, s[16:17]
	global_load_dword v13, v[4:5], off
.LBB63_11:                              ;   in Loop: Header=BB63_5 Depth=1
	s_or_b64 exec, exec, s[2:3]
	v_cmp_gt_u32_e64 s[2:3], s26, v1
	v_mov_b32_e32 v15, 0
	s_and_saveexec_b64 s[4:5], s[2:3]
	s_cbranch_execz .LBB63_13
; %bb.12:                               ;   in Loop: Header=BB63_5 Depth=1
	v_add_u32_e32 v4, v9, v1
	v_ashrrev_i32_e32 v5, 31, v4
	v_lshl_add_u64 v[4:5], v[4:5], 2, s[12:13]
	global_load_dword v15, v[4:5], off
.LBB63_13:                              ;   in Loop: Header=BB63_5 Depth=1
	s_or_b64 exec, exec, s[4:5]
	v_lshl_add_u64 v[4:5], v[6:7], 2, s[6:7]
	global_load_dword v16, v[4:5], off
	v_add_u32_e32 v2, s28, v6
	v_lshl_add_u64 v[4:5], v[2:3], 2, s[8:9]
	v_add_u32_e32 v2, s29, v6
	v_lshl_add_u64 v[6:7], v[2:3], 2, s[8:9]
	global_load_dword v17, v[4:5], off
	global_load_dword v18, v[6:7], off
	v_cmp_ne_u32_e32 vcc, s25, v1
	s_waitcnt vmcnt(2)
	v_cmp_ne_u32_e64 s[4:5], 1, v16
	s_and_b64 s[4:5], vcc, s[4:5]
	v_mul_f32_e32 v16, v14, v11
	s_and_saveexec_b64 s[20:21], s[4:5]
	s_xor_b64 s[4:5], exec, s[20:21]
	s_cbranch_execz .LBB63_17
; %bb.14:                               ;   in Loop: Header=BB63_5 Depth=1
	v_add_u32_e32 v19, v8, v1
	v_add_u32_e32 v2, s28, v19
	v_lshl_add_u64 v[22:23], v[2:3], 2, s[8:9]
	v_add_u32_e32 v2, s29, v19
	v_lshl_add_u64 v[24:25], v[2:3], 2, s[8:9]
	global_load_dword v2, v[22:23], off
	global_load_dword v20, v[24:25], off
	v_fma_f32 v16, v10, v12, -v16
	v_div_scale_f32 v19, s[20:21], v16, v16, 1.0
	v_rcp_f32_e32 v21, v19
	v_div_scale_f32 v26, vcc, 1.0, v16, 1.0
	v_fma_f32 v27, -v19, v21, 1.0
	v_fmac_f32_e32 v21, v27, v21
	v_mul_f32_e32 v27, v26, v21
	v_fma_f32 v28, -v19, v27, v26
	v_fmac_f32_e32 v27, v28, v21
	v_fma_f32 v19, -v19, v27, v26
	v_div_fmas_f32 v19, v19, v21, v27
	v_div_fixup_f32 v16, v19, v16, 1.0
	s_waitcnt vmcnt(3)
	v_mul_f32_e32 v17, v16, v17
	s_waitcnt vmcnt(2)
	v_mul_f32_e32 v18, v16, v18
	v_mul_f32_e32 v21, v11, v17
	;; [unrolled: 1-line block ×3, first 2 shown]
	s_waitcnt vmcnt(1)
	v_mul_f32_e32 v19, v16, v2
	s_waitcnt vmcnt(0)
	v_mul_f32_e32 v20, v16, v20
	v_mul_f32_e32 v2, v14, v19
	v_fma_f32 v2, v12, v17, -v2
	v_mul_f32_e32 v14, v14, v20
	global_store_dword v[4:5], v2, off
	v_fma_f32 v2, v12, v18, -v14
	v_fma_f32 v21, v10, v19, -v21
	;; [unrolled: 1-line block ×3, first 2 shown]
	global_store_dword v[6:7], v2, off
	global_store_dword v[22:23], v21, off
	;; [unrolled: 1-line block ×3, first 2 shown]
	v_mov_b32_e32 v2, 0
	s_and_saveexec_b64 s[20:21], s[2:3]
	s_cbranch_execz .LBB63_16
; %bb.15:                               ;   in Loop: Header=BB63_5 Depth=1
	v_add_u32_e32 v4, v9, v1
	v_add_u32_e32 v2, s28, v4
	v_lshl_add_u64 v[6:7], v[2:3], 2, s[8:9]
	v_add_u32_e32 v2, s29, v4
	v_ashrrev_i32_e32 v5, 31, v4
	v_lshl_add_u64 v[22:23], v[2:3], 2, s[8:9]
	global_load_dword v2, v[6:7], off
	global_load_dword v12, v[22:23], off
	v_lshl_add_u64 v[4:5], v[4:5], 2, s[14:15]
	global_load_dword v4, v[4:5], off
	v_mul_f32_e32 v10, v10, v15
	v_mul_f32_e32 v5, v11, v15
	;; [unrolled: 1-line block ×4, first 2 shown]
	v_fma_f32 v11, v5, v17, -v11
	v_fma_f32 v5, v5, v18, -v14
	v_mul_f32_e32 v10, v13, v10
	s_waitcnt vmcnt(2)
	v_add_f32_e32 v2, v11, v2
	global_store_dword v[6:7], v2, off
	s_waitcnt vmcnt(2)
	v_add_f32_e32 v2, v5, v12
	global_store_dword v[22:23], v2, off
	s_waitcnt vmcnt(2)
	v_fma_f32 v2, -v16, v10, v4
.LBB63_16:                              ;   in Loop: Header=BB63_5 Depth=1
	s_or_b64 exec, exec, s[20:21]
	v_mov_b32_e32 v10, v2
                                        ; implicit-def: $vgpr16
                                        ; implicit-def: $vgpr12
                                        ; implicit-def: $vgpr17
                                        ; implicit-def: $vgpr18
                                        ; implicit-def: $vgpr4_vgpr5
                                        ; implicit-def: $vgpr6_vgpr7
                                        ; implicit-def: $vgpr11
.LBB63_17:                              ;   in Loop: Header=BB63_5 Depth=1
	s_or_saveexec_b64 s[2:3], s[4:5]
	v_mov_b32_e32 v2, s27
	s_xor_b64 exec, exec, s[2:3]
	s_cbranch_execz .LBB63_4
; %bb.18:                               ;   in Loop: Header=BB63_5 Depth=1
	v_div_scale_f32 v2, s[4:5], v10, v10, 1.0
	v_rcp_f32_e32 v13, v2
	v_div_scale_f32 v14, vcc, 1.0, v10, 1.0
	v_fma_f32 v15, -v2, v13, 1.0
	v_fmac_f32_e32 v13, v15, v13
	v_mul_f32_e32 v15, v14, v13
	v_fma_f32 v19, -v2, v15, v14
	v_fmac_f32_e32 v15, v19, v13
	v_fma_f32 v2, -v2, v15, v14
	v_div_fmas_f32 v2, v2, v13, v15
	v_div_fixup_f32 v10, v2, v10, 1.0
	s_waitcnt vmcnt(1)
	v_mul_f32_e32 v14, v10, v17
	s_waitcnt vmcnt(0)
	v_mul_f32_e32 v13, v10, v18
	global_store_dword v[4:5], v14, off
	global_store_dword v[6:7], v13, off
	s_and_saveexec_b64 s[4:5], s[0:1]
	s_cbranch_execz .LBB63_3
; %bb.19:                               ;   in Loop: Header=BB63_5 Depth=1
	v_add_u32_e32 v6, v8, v1
	v_add_u32_e32 v2, s28, v6
	v_lshl_add_u64 v[4:5], v[2:3], 2, s[8:9]
	v_add_u32_e32 v2, s29, v6
	v_lshl_add_u64 v[6:7], v[2:3], 2, s[8:9]
	global_load_dword v15, v[4:5], off
	global_load_dword v2, v[6:7], off
	s_waitcnt vmcnt(1)
	v_fma_f32 v14, -v11, v14, v15
	s_waitcnt vmcnt(0)
	v_fma_f32 v2, -v11, v13, v2
	global_store_dword v[4:5], v14, off
	global_store_dword v[6:7], v2, off
	s_branch .LBB63_3
.LBB63_20:
	s_or_b64 exec, exec, s[18:19]
	s_branch .LBB63_22
.LBB63_21:
	v_mov_b32_e32 v1, 0
.LBB63_22:
	v_subrev_u32_e32 v1, s22, v1
	v_add_u32_e32 v2, v1, v0
	v_ashrrev_i32_e32 v3, 31, v2
	s_waitcnt lgkmcnt(0)
	v_lshl_add_u64 v[2:3], v[2:3], 2, s[6:7]
	buffer_wbl2 sc1
	s_waitcnt vmcnt(0)
	buffer_inv sc1
	global_load_dword v2, v[2:3], off
	s_waitcnt vmcnt(0)
	v_mul_lo_u32 v2, v2, s22
	v_sub_u32_e32 v1, v1, v2
	v_cmp_lt_i32_e32 vcc, -1, v1
	s_and_b64 exec, exec, vcc
	s_cbranch_execz .LBB63_29
; %bb.23:
	s_lshl_b32 s4, s24, 1
	s_add_i32 s5, s4, s23
	s_lshl_b32 s12, s22, 1
	s_mov_b64 s[0:1], 0
	v_mov_b32_e32 v3, 0
	s_branch .LBB63_25
.LBB63_24:                              ;   in Loop: Header=BB63_25 Depth=1
	s_or_b64 exec, exec, s[2:3]
	v_sub_u32_e32 v1, v1, v2
	v_cmp_gt_i32_e32 vcc, 0, v1
	s_or_b64 s[0:1], vcc, s[0:1]
	s_andn2_b64 exec, exec, s[0:1]
	s_cbranch_execz .LBB63_29
.LBB63_25:                              ; =>This Inner Loop Header: Depth=1
	v_add_u32_e32 v4, v1, v0
	s_waitcnt vmcnt(0)
	v_ashrrev_i32_e32 v5, 31, v4
	v_lshlrev_b64 v[6:7], 2, v[4:5]
	v_lshl_add_u64 v[10:11], s[6:7], 0, v[6:7]
	global_load_dword v2, v[10:11], off
	v_lshl_add_u64 v[6:7], s[10:11], 0, v[6:7]
	global_load_dword v5, v[6:7], off
	s_waitcnt vmcnt(1)
	v_cmp_ne_u32_e32 vcc, 1, v2
	s_and_saveexec_b64 s[2:3], vcc
	s_xor_b64 s[2:3], exec, s[2:3]
	s_cbranch_execz .LBB63_27
; %bb.26:                               ;   in Loop: Header=BB63_25 Depth=1
	v_add_u32_e32 v9, v8, v1
	v_add_u32_e32 v2, s4, v9
	v_lshl_add_u64 v[6:7], v[2:3], 2, s[8:9]
	v_add_u32_e32 v2, s5, v9
	v_lshl_add_u64 v[10:11], v[2:3], 2, s[8:9]
	;; [unrolled: 2-line block ×3, first 2 shown]
	global_load_dword v9, v[6:7], off
	global_load_dword v14, v[12:13], off
	;; [unrolled: 1-line block ×3, first 2 shown]
	v_add_u32_e32 v2, s5, v4
	v_lshl_add_u64 v[6:7], v[2:3], 2, s[8:9]
	s_waitcnt vmcnt(1)
	v_fma_f32 v2, -v5, v9, v14
	global_store_dword v[12:13], v2, off
	global_load_dword v4, v[6:7], off
	v_subrev_u32_e32 v2, s22, v1
	v_add_u32_e32 v10, v2, v0
	v_ashrrev_i32_e32 v11, 31, v10
	v_lshl_add_u64 v[12:13], v[10:11], 2, s[10:11]
	v_add_u32_e32 v2, s4, v10
	global_load_dword v11, v[12:13], off
	v_lshl_add_u64 v[12:13], v[2:3], 2, s[8:9]
	s_waitcnt vmcnt(1)
	v_fma_f32 v2, -v5, v15, v4
	global_store_dword v[6:7], v2, off
	global_load_dword v4, v[12:13], off
	v_add_u32_e32 v2, s5, v10
	s_waitcnt vmcnt(0)
	v_fma_f32 v4, -v11, v9, v4
	global_store_dword v[12:13], v4, off
	v_lshl_add_u64 v[4:5], v[2:3], 2, s[8:9]
	global_load_dword v2, v[4:5], off
	s_waitcnt vmcnt(0)
	v_fma_f32 v2, -v11, v15, v2
	global_store_dword v[4:5], v2, off
                                        ; implicit-def: $vgpr4
                                        ; implicit-def: $vgpr5
.LBB63_27:                              ;   in Loop: Header=BB63_25 Depth=1
	s_or_saveexec_b64 s[2:3], s[2:3]
	v_mov_b32_e32 v2, s12
	s_xor_b64 exec, exec, s[2:3]
	s_cbranch_execz .LBB63_24
; %bb.28:                               ;   in Loop: Header=BB63_25 Depth=1
	v_add_u32_e32 v9, v8, v1
	v_add_u32_e32 v2, s4, v9
	v_lshl_add_u64 v[6:7], v[2:3], 2, s[8:9]
	v_add_u32_e32 v2, s4, v4
	v_lshl_add_u64 v[10:11], v[2:3], 2, s[8:9]
	global_load_dword v14, v[6:7], off
	global_load_dword v15, v[10:11], off
	v_add_u32_e32 v2, s5, v9
	v_lshl_add_u64 v[6:7], v[2:3], 2, s[8:9]
	v_add_u32_e32 v2, s5, v4
	v_lshl_add_u64 v[12:13], v[2:3], 2, s[8:9]
	s_waitcnt vmcnt(0)
	v_fma_f32 v2, -v5, v14, v15
	global_store_dword v[10:11], v2, off
	global_load_dword v2, v[6:7], off
	s_nop 0
	global_load_dword v4, v[12:13], off
	s_waitcnt vmcnt(0)
	v_fma_f32 v2, -v5, v2, v4
	global_store_dword v[12:13], v2, off
	v_mov_b32_e32 v2, s22
	s_branch .LBB63_24
.LBB63_29:
	s_endpgm
	.section	.rodata,"a",@progbits
	.p2align	6, 0x0
	.amdhsa_kernel _ZN9rocsparseL19gtsv_LBM_rhs_kernelILj256ELj64ELj2EfEEviiiPKT2_S3_S3_PS1_S3_PKi
		.amdhsa_group_segment_fixed_size 0
		.amdhsa_private_segment_fixed_size 0
		.amdhsa_kernarg_size 64
		.amdhsa_user_sgpr_count 2
		.amdhsa_user_sgpr_dispatch_ptr 0
		.amdhsa_user_sgpr_queue_ptr 0
		.amdhsa_user_sgpr_kernarg_segment_ptr 1
		.amdhsa_user_sgpr_dispatch_id 0
		.amdhsa_user_sgpr_kernarg_preload_length 0
		.amdhsa_user_sgpr_kernarg_preload_offset 0
		.amdhsa_user_sgpr_private_segment_size 0
		.amdhsa_uses_dynamic_stack 0
		.amdhsa_enable_private_segment 0
		.amdhsa_system_sgpr_workgroup_id_x 1
		.amdhsa_system_sgpr_workgroup_id_y 1
		.amdhsa_system_sgpr_workgroup_id_z 0
		.amdhsa_system_sgpr_workgroup_info 0
		.amdhsa_system_vgpr_workitem_id 0
		.amdhsa_next_free_vgpr 29
		.amdhsa_next_free_sgpr 30
		.amdhsa_accum_offset 32
		.amdhsa_reserve_vcc 1
		.amdhsa_float_round_mode_32 0
		.amdhsa_float_round_mode_16_64 0
		.amdhsa_float_denorm_mode_32 3
		.amdhsa_float_denorm_mode_16_64 3
		.amdhsa_dx10_clamp 1
		.amdhsa_ieee_mode 1
		.amdhsa_fp16_overflow 0
		.amdhsa_tg_split 0
		.amdhsa_exception_fp_ieee_invalid_op 0
		.amdhsa_exception_fp_denorm_src 0
		.amdhsa_exception_fp_ieee_div_zero 0
		.amdhsa_exception_fp_ieee_overflow 0
		.amdhsa_exception_fp_ieee_underflow 0
		.amdhsa_exception_fp_ieee_inexact 0
		.amdhsa_exception_int_div_zero 0
	.end_amdhsa_kernel
	.section	.text._ZN9rocsparseL19gtsv_LBM_rhs_kernelILj256ELj64ELj2EfEEviiiPKT2_S3_S3_PS1_S3_PKi,"axG",@progbits,_ZN9rocsparseL19gtsv_LBM_rhs_kernelILj256ELj64ELj2EfEEviiiPKT2_S3_S3_PS1_S3_PKi,comdat
.Lfunc_end63:
	.size	_ZN9rocsparseL19gtsv_LBM_rhs_kernelILj256ELj64ELj2EfEEviiiPKT2_S3_S3_PS1_S3_PKi, .Lfunc_end63-_ZN9rocsparseL19gtsv_LBM_rhs_kernelILj256ELj64ELj2EfEEviiiPKT2_S3_S3_PS1_S3_PKi
                                        ; -- End function
	.set _ZN9rocsparseL19gtsv_LBM_rhs_kernelILj256ELj64ELj2EfEEviiiPKT2_S3_S3_PS1_S3_PKi.num_vgpr, 29
	.set _ZN9rocsparseL19gtsv_LBM_rhs_kernelILj256ELj64ELj2EfEEviiiPKT2_S3_S3_PS1_S3_PKi.num_agpr, 0
	.set _ZN9rocsparseL19gtsv_LBM_rhs_kernelILj256ELj64ELj2EfEEviiiPKT2_S3_S3_PS1_S3_PKi.numbered_sgpr, 30
	.set _ZN9rocsparseL19gtsv_LBM_rhs_kernelILj256ELj64ELj2EfEEviiiPKT2_S3_S3_PS1_S3_PKi.num_named_barrier, 0
	.set _ZN9rocsparseL19gtsv_LBM_rhs_kernelILj256ELj64ELj2EfEEviiiPKT2_S3_S3_PS1_S3_PKi.private_seg_size, 0
	.set _ZN9rocsparseL19gtsv_LBM_rhs_kernelILj256ELj64ELj2EfEEviiiPKT2_S3_S3_PS1_S3_PKi.uses_vcc, 1
	.set _ZN9rocsparseL19gtsv_LBM_rhs_kernelILj256ELj64ELj2EfEEviiiPKT2_S3_S3_PS1_S3_PKi.uses_flat_scratch, 0
	.set _ZN9rocsparseL19gtsv_LBM_rhs_kernelILj256ELj64ELj2EfEEviiiPKT2_S3_S3_PS1_S3_PKi.has_dyn_sized_stack, 0
	.set _ZN9rocsparseL19gtsv_LBM_rhs_kernelILj256ELj64ELj2EfEEviiiPKT2_S3_S3_PS1_S3_PKi.has_recursion, 0
	.set _ZN9rocsparseL19gtsv_LBM_rhs_kernelILj256ELj64ELj2EfEEviiiPKT2_S3_S3_PS1_S3_PKi.has_indirect_call, 0
	.section	.AMDGPU.csdata,"",@progbits
; Kernel info:
; codeLenInByte = 1696
; TotalNumSgprs: 36
; NumVgprs: 29
; NumAgprs: 0
; TotalNumVgprs: 29
; ScratchSize: 0
; MemoryBound: 0
; FloatMode: 240
; IeeeMode: 1
; LDSByteSize: 0 bytes/workgroup (compile time only)
; SGPRBlocks: 4
; VGPRBlocks: 3
; NumSGPRsForWavesPerEU: 36
; NumVGPRsForWavesPerEU: 29
; AccumOffset: 32
; Occupancy: 8
; WaveLimiterHint : 0
; COMPUTE_PGM_RSRC2:SCRATCH_EN: 0
; COMPUTE_PGM_RSRC2:USER_SGPR: 2
; COMPUTE_PGM_RSRC2:TRAP_HANDLER: 0
; COMPUTE_PGM_RSRC2:TGID_X_EN: 1
; COMPUTE_PGM_RSRC2:TGID_Y_EN: 1
; COMPUTE_PGM_RSRC2:TGID_Z_EN: 0
; COMPUTE_PGM_RSRC2:TIDIG_COMP_CNT: 0
; COMPUTE_PGM_RSRC3_GFX90A:ACCUM_OFFSET: 7
; COMPUTE_PGM_RSRC3_GFX90A:TG_SPLIT: 0
	.section	.text._ZN9rocsparseL19gtsv_LBM_rhs_kernelILj256ELj64ELj1EfEEviiiPKT2_S3_S3_PS1_S3_PKi,"axG",@progbits,_ZN9rocsparseL19gtsv_LBM_rhs_kernelILj256ELj64ELj1EfEEviiiPKT2_S3_S3_PS1_S3_PKi,comdat
	.globl	_ZN9rocsparseL19gtsv_LBM_rhs_kernelILj256ELj64ELj1EfEEviiiPKT2_S3_S3_PS1_S3_PKi ; -- Begin function _ZN9rocsparseL19gtsv_LBM_rhs_kernelILj256ELj64ELj1EfEEviiiPKT2_S3_S3_PS1_S3_PKi
	.p2align	8
	.type	_ZN9rocsparseL19gtsv_LBM_rhs_kernelILj256ELj64ELj1EfEEviiiPKT2_S3_S3_PS1_S3_PKi,@function
_ZN9rocsparseL19gtsv_LBM_rhs_kernelILj256ELj64ELj1EfEEviiiPKT2_S3_S3_PS1_S3_PKi: ; @_ZN9rocsparseL19gtsv_LBM_rhs_kernelILj256ELj64ELj1EfEEviiiPKT2_S3_S3_PS1_S3_PKi
; %bb.0:
	s_load_dword s24, s[0:1], 0x0
	v_lshl_or_b32 v0, s2, 8, v0
	s_waitcnt lgkmcnt(0)
	s_lshr_b32 s22, s24, 6
	v_cmp_gt_i32_e32 vcc, s22, v0
	s_and_saveexec_b64 s[4:5], vcc
	s_cbranch_execz .LBB64_29
; %bb.1:
	s_load_dwordx4 s[8:11], s[0:1], 0x28
	s_load_dwordx2 s[6:7], s[0:1], 0x38
	s_cmp_lt_i32 s24, 1
	s_mul_i32 s23, s24, s3
	s_cbranch_scc1 .LBB64_21
; %bb.2:
	s_load_dwordx4 s[12:15], s[0:1], 0x10
	s_load_dwordx2 s[16:17], s[0:1], 0x20
	v_ashrrev_i32_e32 v1, 31, v0
	v_add_u32_e32 v13, s22, v0
	s_mul_i32 s25, s22, 63
	s_waitcnt lgkmcnt(0)
	v_lshl_add_u64 v[2:3], v[0:1], 2, s[14:15]
	global_load_dword v5, v[2:3], off
	s_mul_i32 s26, s22, 62
	s_lshl_b32 s27, s22, 1
	v_add_u32_e32 v14, s22, v13
	v_add_u32_e32 v15, s23, v13
	v_mov_b32_e32 v3, 0
	s_mov_b64 s[18:19], 0
	v_mov_b32_e32 v1, 0
	s_branch .LBB64_5
.LBB64_3:                               ;   in Loop: Header=BB64_5 Depth=1
	s_or_b64 exec, exec, s[4:5]
	v_fma_f32 v5, -v5, v7, v16
	v_mov_b32_e32 v2, s22
.LBB64_4:                               ;   in Loop: Header=BB64_5 Depth=1
	s_or_b64 exec, exec, s[2:3]
	v_add_u32_e32 v1, v2, v1
	v_cmp_le_i32_e32 vcc, s24, v1
	s_or_b64 s[18:19], vcc, s[18:19]
	s_andn2_b64 exec, exec, s[18:19]
	s_cbranch_execz .LBB64_20
.LBB64_5:                               ; =>This Inner Loop Header: Depth=1
	v_add_u32_e32 v8, v1, v0
	v_ashrrev_i32_e32 v9, 31, v8
	v_lshl_add_u64 v[6:7], v[8:9], 2, s[16:17]
	global_load_dword v18, v[6:7], off
	v_cmp_gt_u32_e64 s[0:1], s25, v1
	v_add_u32_e32 v6, v13, v1
	v_mov_b32_e32 v4, 0
	s_and_saveexec_b64 s[2:3], s[0:1]
	s_cbranch_execz .LBB64_7
; %bb.6:                                ;   in Loop: Header=BB64_5 Depth=1
	v_ashrrev_i32_e32 v7, 31, v6
	s_waitcnt vmcnt(1)
	v_lshl_add_u64 v[10:11], v[6:7], 2, s[12:13]
	global_load_dword v4, v[10:11], off
.LBB64_7:                               ;   in Loop: Header=BB64_5 Depth=1
	s_or_b64 exec, exec, s[2:3]
	v_mov_b32_e32 v17, 0
	v_mov_b32_e32 v16, 0
	s_and_saveexec_b64 s[2:3], s[0:1]
	s_cbranch_execz .LBB64_9
; %bb.8:                                ;   in Loop: Header=BB64_5 Depth=1
	v_ashrrev_i32_e32 v7, 31, v6
	s_waitcnt vmcnt(1)
	v_lshl_add_u64 v[10:11], v[6:7], 2, s[14:15]
	global_load_dword v16, v[10:11], off
.LBB64_9:                               ;   in Loop: Header=BB64_5 Depth=1
	s_or_b64 exec, exec, s[2:3]
	s_and_saveexec_b64 s[2:3], s[0:1]
	s_cbranch_execz .LBB64_11
; %bb.10:                               ;   in Loop: Header=BB64_5 Depth=1
	v_ashrrev_i32_e32 v7, 31, v6
	v_lshl_add_u64 v[6:7], v[6:7], 2, s[16:17]
	global_load_dword v17, v[6:7], off
.LBB64_11:                              ;   in Loop: Header=BB64_5 Depth=1
	s_or_b64 exec, exec, s[2:3]
	v_cmp_gt_u32_e64 s[2:3], s26, v1
	v_mov_b32_e32 v6, 0
	s_and_saveexec_b64 s[4:5], s[2:3]
	s_cbranch_execz .LBB64_13
; %bb.12:                               ;   in Loop: Header=BB64_5 Depth=1
	v_add_u32_e32 v6, v14, v1
	v_ashrrev_i32_e32 v7, 31, v6
	v_lshl_add_u64 v[6:7], v[6:7], 2, s[12:13]
	global_load_dword v6, v[6:7], off
.LBB64_13:                              ;   in Loop: Header=BB64_5 Depth=1
	s_or_b64 exec, exec, s[4:5]
	s_waitcnt vmcnt(1)
	v_lshl_add_u64 v[10:11], v[8:9], 2, s[6:7]
	global_load_dword v7, v[10:11], off
	v_add_u32_e32 v2, s23, v8
	v_lshl_add_u64 v[8:9], v[2:3], 2, s[8:9]
	global_load_dword v10, v[8:9], off
	v_cmp_ne_u32_e32 vcc, s25, v1
	s_waitcnt vmcnt(1)
	v_cmp_ne_u32_e64 s[4:5], 1, v7
	s_and_b64 s[4:5], vcc, s[4:5]
	v_mul_f32_e32 v7, v18, v4
	s_and_saveexec_b64 s[20:21], s[4:5]
	s_xor_b64 s[4:5], exec, s[20:21]
	s_cbranch_execz .LBB64_17
; %bb.14:                               ;   in Loop: Header=BB64_5 Depth=1
	v_add_u32_e32 v2, v15, v1
	v_lshl_add_u64 v[20:21], v[2:3], 2, s[8:9]
	global_load_dword v11, v[20:21], off
	v_fma_f32 v2, v5, v16, -v7
	v_div_scale_f32 v7, s[20:21], v2, v2, 1.0
	v_rcp_f32_e32 v12, v7
	v_div_scale_f32 v19, vcc, 1.0, v2, 1.0
	v_fma_f32 v22, -v7, v12, 1.0
	v_fmac_f32_e32 v12, v22, v12
	v_mul_f32_e32 v22, v19, v12
	v_fma_f32 v23, -v7, v22, v19
	v_fmac_f32_e32 v22, v23, v12
	v_fma_f32 v7, -v7, v22, v19
	v_div_fmas_f32 v7, v7, v12, v22
	v_div_fixup_f32 v12, v7, v2, 1.0
	s_waitcnt vmcnt(0)
	v_pk_mul_f32 v[10:11], v[12:13], v[10:11] op_sel_hi:[0,1]
	v_mul_f32_e32 v2, v18, v11
	v_mul_f32_e32 v7, v4, v10
	v_fma_f32 v2, v16, v10, -v2
	v_fma_f32 v7, v5, v11, -v7
	global_store_dword v[8:9], v2, off
	global_store_dword v[20:21], v7, off
	v_mov_b32_e32 v2, 0
	s_and_saveexec_b64 s[20:21], s[2:3]
	s_cbranch_execz .LBB64_16
; %bb.15:                               ;   in Loop: Header=BB64_5 Depth=1
	v_add_u32_e32 v8, v14, v1
	v_add_u32_e32 v2, s23, v8
	v_lshl_add_u64 v[18:19], v[2:3], 2, s[8:9]
	v_ashrrev_i32_e32 v9, 31, v8
	global_load_dword v2, v[18:19], off
	v_lshl_add_u64 v[8:9], v[8:9], 2, s[14:15]
	global_load_dword v8, v[8:9], off
	v_pk_mul_f32 v[4:5], v[4:5], v[6:7] op_sel_hi:[1,0]
	s_nop 0
	v_pk_mul_f32 v[6:7], v[4:5], v[10:11]
	v_mul_f32_e32 v4, v17, v5
	v_sub_f32_e32 v5, v6, v7
	s_waitcnt vmcnt(1)
	v_add_f32_e32 v2, v5, v2
	global_store_dword v[18:19], v2, off
	s_waitcnt vmcnt(1)
	v_fma_f32 v2, -v12, v4, v8
.LBB64_16:                              ;   in Loop: Header=BB64_5 Depth=1
	s_or_b64 exec, exec, s[20:21]
	v_mov_b32_e32 v5, v2
                                        ; implicit-def: $vgpr7
                                        ; implicit-def: $vgpr16
                                        ; implicit-def: $vgpr10
                                        ; implicit-def: $vgpr8_vgpr9
.LBB64_17:                              ;   in Loop: Header=BB64_5 Depth=1
	s_or_saveexec_b64 s[2:3], s[4:5]
	v_mov_b32_e32 v2, s27
	s_xor_b64 exec, exec, s[2:3]
	s_cbranch_execz .LBB64_4
; %bb.18:                               ;   in Loop: Header=BB64_5 Depth=1
	v_div_scale_f32 v2, s[4:5], v5, v5, 1.0
	v_rcp_f32_e32 v6, v2
	v_div_scale_f32 v11, vcc, 1.0, v5, 1.0
	v_fma_f32 v12, -v2, v6, 1.0
	v_fmac_f32_e32 v6, v12, v6
	v_mul_f32_e32 v12, v11, v6
	v_fma_f32 v17, -v2, v12, v11
	v_fmac_f32_e32 v12, v17, v6
	v_fma_f32 v2, -v2, v12, v11
	v_div_fmas_f32 v2, v2, v6, v12
	v_div_fixup_f32 v5, v2, v5, 1.0
	s_waitcnt vmcnt(0)
	v_mul_f32_e32 v6, v5, v10
	global_store_dword v[8:9], v6, off
	s_and_saveexec_b64 s[4:5], s[0:1]
	s_cbranch_execz .LBB64_3
; %bb.19:                               ;   in Loop: Header=BB64_5 Depth=1
	v_add_u32_e32 v2, v15, v1
	v_lshl_add_u64 v[8:9], v[2:3], 2, s[8:9]
	global_load_dword v2, v[8:9], off
	s_waitcnt vmcnt(0)
	v_fma_f32 v2, -v4, v6, v2
	global_store_dword v[8:9], v2, off
	s_branch .LBB64_3
.LBB64_20:
	s_or_b64 exec, exec, s[18:19]
	s_branch .LBB64_22
.LBB64_21:
	v_mov_b32_e32 v1, 0
.LBB64_22:
	v_subrev_u32_e32 v1, s22, v1
	v_add_u32_e32 v2, v1, v0
	v_ashrrev_i32_e32 v3, 31, v2
	s_waitcnt lgkmcnt(0)
	v_lshl_add_u64 v[2:3], v[2:3], 2, s[6:7]
	buffer_wbl2 sc1
	s_waitcnt vmcnt(0)
	buffer_inv sc1
	global_load_dword v2, v[2:3], off
	s_waitcnt vmcnt(0)
	v_mul_lo_u32 v2, v2, s22
	v_sub_u32_e32 v1, v1, v2
	v_cmp_lt_i32_e32 vcc, -1, v1
	s_and_b64 exec, exec, vcc
	s_cbranch_execz .LBB64_29
; %bb.23:
	s_add_i32 s0, s23, s22
	v_add_u32_e32 v6, s0, v0
	s_lshl_b32 s4, s22, 1
	s_mov_b64 s[0:1], 0
	v_mov_b32_e32 v3, 0
	s_branch .LBB64_25
.LBB64_24:                              ;   in Loop: Header=BB64_25 Depth=1
	s_or_b64 exec, exec, s[2:3]
	v_sub_u32_e32 v1, v1, v2
	v_cmp_gt_i32_e32 vcc, 0, v1
	s_or_b64 s[0:1], vcc, s[0:1]
	s_andn2_b64 exec, exec, s[0:1]
	s_cbranch_execz .LBB64_29
.LBB64_25:                              ; =>This Inner Loop Header: Depth=1
	v_add_u32_e32 v4, v1, v0
	s_waitcnt vmcnt(0)
	v_ashrrev_i32_e32 v5, 31, v4
	v_lshlrev_b64 v[8:9], 2, v[4:5]
	v_lshl_add_u64 v[10:11], s[6:7], 0, v[8:9]
	global_load_dword v2, v[10:11], off
	v_lshl_add_u64 v[8:9], s[10:11], 0, v[8:9]
	global_load_dword v5, v[8:9], off
	s_waitcnt vmcnt(1)
	v_cmp_ne_u32_e32 vcc, 1, v2
	s_and_saveexec_b64 s[2:3], vcc
	s_xor_b64 s[2:3], exec, s[2:3]
	s_cbranch_execz .LBB64_27
; %bb.26:                               ;   in Loop: Header=BB64_25 Depth=1
	v_add_u32_e32 v2, v6, v1
	v_lshl_add_u64 v[8:9], v[2:3], 2, s[8:9]
	v_add_u32_e32 v2, s23, v4
	v_lshl_add_u64 v[10:11], v[2:3], 2, s[8:9]
	global_load_dword v7, v[8:9], off
	global_load_dword v4, v[10:11], off
	v_subrev_u32_e32 v2, s22, v1
	v_add_u32_e32 v8, v2, v0
	v_ashrrev_i32_e32 v9, 31, v8
	v_add_u32_e32 v2, s23, v8
	v_lshl_add_u64 v[8:9], v[8:9], 2, s[10:11]
	global_load_dword v8, v[8:9], off
	s_waitcnt vmcnt(1)
	v_fma_f32 v4, -v5, v7, v4
	global_store_dword v[10:11], v4, off
	v_lshl_add_u64 v[4:5], v[2:3], 2, s[8:9]
	global_load_dword v2, v[4:5], off
	s_waitcnt vmcnt(0)
	v_fma_f32 v2, -v8, v7, v2
	global_store_dword v[4:5], v2, off
                                        ; implicit-def: $vgpr4
                                        ; implicit-def: $vgpr5
.LBB64_27:                              ;   in Loop: Header=BB64_25 Depth=1
	s_or_saveexec_b64 s[2:3], s[2:3]
	v_mov_b32_e32 v2, s4
	s_xor_b64 exec, exec, s[2:3]
	s_cbranch_execz .LBB64_24
; %bb.28:                               ;   in Loop: Header=BB64_25 Depth=1
	v_add_u32_e32 v2, v6, v1
	v_lshl_add_u64 v[8:9], v[2:3], 2, s[8:9]
	v_add_u32_e32 v2, s23, v4
	v_lshl_add_u64 v[10:11], v[2:3], 2, s[8:9]
	global_load_dword v2, v[8:9], off
	global_load_dword v4, v[10:11], off
	s_waitcnt vmcnt(0)
	v_fma_f32 v2, -v5, v2, v4
	global_store_dword v[10:11], v2, off
	v_mov_b32_e32 v2, s22
	s_branch .LBB64_24
.LBB64_29:
	s_endpgm
	.section	.rodata,"a",@progbits
	.p2align	6, 0x0
	.amdhsa_kernel _ZN9rocsparseL19gtsv_LBM_rhs_kernelILj256ELj64ELj1EfEEviiiPKT2_S3_S3_PS1_S3_PKi
		.amdhsa_group_segment_fixed_size 0
		.amdhsa_private_segment_fixed_size 0
		.amdhsa_kernarg_size 64
		.amdhsa_user_sgpr_count 2
		.amdhsa_user_sgpr_dispatch_ptr 0
		.amdhsa_user_sgpr_queue_ptr 0
		.amdhsa_user_sgpr_kernarg_segment_ptr 1
		.amdhsa_user_sgpr_dispatch_id 0
		.amdhsa_user_sgpr_kernarg_preload_length 0
		.amdhsa_user_sgpr_kernarg_preload_offset 0
		.amdhsa_user_sgpr_private_segment_size 0
		.amdhsa_uses_dynamic_stack 0
		.amdhsa_enable_private_segment 0
		.amdhsa_system_sgpr_workgroup_id_x 1
		.amdhsa_system_sgpr_workgroup_id_y 1
		.amdhsa_system_sgpr_workgroup_id_z 0
		.amdhsa_system_sgpr_workgroup_info 0
		.amdhsa_system_vgpr_workitem_id 0
		.amdhsa_next_free_vgpr 24
		.amdhsa_next_free_sgpr 28
		.amdhsa_accum_offset 24
		.amdhsa_reserve_vcc 1
		.amdhsa_float_round_mode_32 0
		.amdhsa_float_round_mode_16_64 0
		.amdhsa_float_denorm_mode_32 3
		.amdhsa_float_denorm_mode_16_64 3
		.amdhsa_dx10_clamp 1
		.amdhsa_ieee_mode 1
		.amdhsa_fp16_overflow 0
		.amdhsa_tg_split 0
		.amdhsa_exception_fp_ieee_invalid_op 0
		.amdhsa_exception_fp_denorm_src 0
		.amdhsa_exception_fp_ieee_div_zero 0
		.amdhsa_exception_fp_ieee_overflow 0
		.amdhsa_exception_fp_ieee_underflow 0
		.amdhsa_exception_fp_ieee_inexact 0
		.amdhsa_exception_int_div_zero 0
	.end_amdhsa_kernel
	.section	.text._ZN9rocsparseL19gtsv_LBM_rhs_kernelILj256ELj64ELj1EfEEviiiPKT2_S3_S3_PS1_S3_PKi,"axG",@progbits,_ZN9rocsparseL19gtsv_LBM_rhs_kernelILj256ELj64ELj1EfEEviiiPKT2_S3_S3_PS1_S3_PKi,comdat
.Lfunc_end64:
	.size	_ZN9rocsparseL19gtsv_LBM_rhs_kernelILj256ELj64ELj1EfEEviiiPKT2_S3_S3_PS1_S3_PKi, .Lfunc_end64-_ZN9rocsparseL19gtsv_LBM_rhs_kernelILj256ELj64ELj1EfEEviiiPKT2_S3_S3_PS1_S3_PKi
                                        ; -- End function
	.set _ZN9rocsparseL19gtsv_LBM_rhs_kernelILj256ELj64ELj1EfEEviiiPKT2_S3_S3_PS1_S3_PKi.num_vgpr, 24
	.set _ZN9rocsparseL19gtsv_LBM_rhs_kernelILj256ELj64ELj1EfEEviiiPKT2_S3_S3_PS1_S3_PKi.num_agpr, 0
	.set _ZN9rocsparseL19gtsv_LBM_rhs_kernelILj256ELj64ELj1EfEEviiiPKT2_S3_S3_PS1_S3_PKi.numbered_sgpr, 28
	.set _ZN9rocsparseL19gtsv_LBM_rhs_kernelILj256ELj64ELj1EfEEviiiPKT2_S3_S3_PS1_S3_PKi.num_named_barrier, 0
	.set _ZN9rocsparseL19gtsv_LBM_rhs_kernelILj256ELj64ELj1EfEEviiiPKT2_S3_S3_PS1_S3_PKi.private_seg_size, 0
	.set _ZN9rocsparseL19gtsv_LBM_rhs_kernelILj256ELj64ELj1EfEEviiiPKT2_S3_S3_PS1_S3_PKi.uses_vcc, 1
	.set _ZN9rocsparseL19gtsv_LBM_rhs_kernelILj256ELj64ELj1EfEEviiiPKT2_S3_S3_PS1_S3_PKi.uses_flat_scratch, 0
	.set _ZN9rocsparseL19gtsv_LBM_rhs_kernelILj256ELj64ELj1EfEEviiiPKT2_S3_S3_PS1_S3_PKi.has_dyn_sized_stack, 0
	.set _ZN9rocsparseL19gtsv_LBM_rhs_kernelILj256ELj64ELj1EfEEviiiPKT2_S3_S3_PS1_S3_PKi.has_recursion, 0
	.set _ZN9rocsparseL19gtsv_LBM_rhs_kernelILj256ELj64ELj1EfEEviiiPKT2_S3_S3_PS1_S3_PKi.has_indirect_call, 0
	.section	.AMDGPU.csdata,"",@progbits
; Kernel info:
; codeLenInByte = 1316
; TotalNumSgprs: 34
; NumVgprs: 24
; NumAgprs: 0
; TotalNumVgprs: 24
; ScratchSize: 0
; MemoryBound: 0
; FloatMode: 240
; IeeeMode: 1
; LDSByteSize: 0 bytes/workgroup (compile time only)
; SGPRBlocks: 4
; VGPRBlocks: 2
; NumSGPRsForWavesPerEU: 34
; NumVGPRsForWavesPerEU: 24
; AccumOffset: 24
; Occupancy: 8
; WaveLimiterHint : 0
; COMPUTE_PGM_RSRC2:SCRATCH_EN: 0
; COMPUTE_PGM_RSRC2:USER_SGPR: 2
; COMPUTE_PGM_RSRC2:TRAP_HANDLER: 0
; COMPUTE_PGM_RSRC2:TGID_X_EN: 1
; COMPUTE_PGM_RSRC2:TGID_Y_EN: 1
; COMPUTE_PGM_RSRC2:TGID_Z_EN: 0
; COMPUTE_PGM_RSRC2:TIDIG_COMP_CNT: 0
; COMPUTE_PGM_RSRC3_GFX90A:ACCUM_OFFSET: 5
; COMPUTE_PGM_RSRC3_GFX90A:TG_SPLIT: 0
	.section	.text._ZN9rocsparseL29gtsv_spike_block_level_kernelILj256ELj64EfEEviiiPT1_PKS1_S4_S2_S2_S2_S2_S2_,"axG",@progbits,_ZN9rocsparseL29gtsv_spike_block_level_kernelILj256ELj64EfEEviiiPT1_PKS1_S4_S2_S2_S2_S2_S2_,comdat
	.globl	_ZN9rocsparseL29gtsv_spike_block_level_kernelILj256ELj64EfEEviiiPT1_PKS1_S4_S2_S2_S2_S2_S2_ ; -- Begin function _ZN9rocsparseL29gtsv_spike_block_level_kernelILj256ELj64EfEEviiiPT1_PKS1_S4_S2_S2_S2_S2_S2_
	.p2align	8
	.type	_ZN9rocsparseL29gtsv_spike_block_level_kernelILj256ELj64EfEEviiiPT1_PKS1_S4_S2_S2_S2_S2_S2_,@function
_ZN9rocsparseL29gtsv_spike_block_level_kernelILj256ELj64EfEEviiiPT1_PKS1_S4_S2_S2_S2_S2_S2_: ; @_ZN9rocsparseL29gtsv_spike_block_level_kernelILj256ELj64EfEEviiiPT1_PKS1_S4_S2_S2_S2_S2_S2_
; %bb.0:
	s_load_dword s14, s[0:1], 0x0
	s_load_dwordx2 s[8:9], s[0:1], 0x18
	v_lshl_or_b32 v2, s2, 8, v0
	v_mov_b32_e32 v4, 0
	v_mov_b32_e32 v3, 0
	s_waitcnt lgkmcnt(0)
	s_lshr_b32 s18, s14, 6
	v_cmp_gt_i32_e64 s[4:5], s18, v2
	s_and_saveexec_b64 s[6:7], s[4:5]
	s_cbranch_execz .LBB65_2
; %bb.1:
	v_ashrrev_i32_e32 v3, 31, v2
	v_lshl_add_u64 v[6:7], v[2:3], 2, s[8:9]
	global_load_dword v3, v[6:7], off
.LBB65_2:
	s_or_b64 exec, exec, s[6:7]
	s_load_dwordx2 s[6:7], s[0:1], 0x20
	v_lshlrev_b32_e32 v1, 2, v0
	v_or_b32_e32 v6, 0x800, v1
	s_waitcnt vmcnt(0)
	ds_write_b32 v1, v3 offset:2048
	s_and_saveexec_b64 s[10:11], s[4:5]
	s_cbranch_execz .LBB65_4
; %bb.3:
	v_mad_u64_u32 v[4:5], s[12:13], s18, 63, v[2:3]
	v_mov_b32_e32 v5, 0
	v_lshl_add_u64 v[4:5], v[4:5], 2, s[8:9]
	global_load_dword v4, v[4:5], off
.LBB65_4:
	s_or_b64 exec, exec, s[10:11]
	s_waitcnt vmcnt(0)
	ds_write_b32 v6, v4 offset:1024
	v_mov_b32_e32 v4, 0
	v_mov_b32_e32 v3, 0
	s_and_saveexec_b64 s[8:9], s[4:5]
	s_cbranch_execz .LBB65_6
; %bb.5:
	v_ashrrev_i32_e32 v3, 31, v2
	s_waitcnt lgkmcnt(0)
	v_lshl_add_u64 v[8:9], v[2:3], 2, s[6:7]
	global_load_dword v3, v[8:9], off
.LBB65_6:
	s_or_b64 exec, exec, s[8:9]
	s_load_dwordx2 s[12:13], s[0:1], 0x10
	s_waitcnt vmcnt(0)
	ds_write_b32 v1, v3
	s_and_saveexec_b64 s[8:9], s[4:5]
	s_cbranch_execz .LBB65_8
; %bb.7:
	v_mad_u64_u32 v[4:5], s[10:11], s18, 63, v[2:3]
	v_mov_b32_e32 v5, 0
	s_waitcnt lgkmcnt(0)
	v_lshl_add_u64 v[4:5], v[4:5], 2, s[6:7]
	global_load_dword v4, v[4:5], off
.LBB65_8:
	s_or_b64 exec, exec, s[8:9]
	s_mul_i32 s14, s14, s3
	s_waitcnt vmcnt(0)
	ds_write_b32 v1, v4 offset:1024
	v_mov_b32_e32 v3, 0
	v_add_u32_e32 v4, s14, v2
	v_mov_b32_e32 v7, 0
	s_waitcnt lgkmcnt(0)
	s_and_saveexec_b64 s[6:7], s[4:5]
	s_cbranch_execz .LBB65_10
; %bb.9:
	v_ashrrev_i32_e32 v5, 31, v4
	v_lshl_add_u64 v[8:9], v[4:5], 2, s[12:13]
	global_load_dword v7, v[8:9], off
.LBB65_10:
	s_or_b64 exec, exec, s[6:7]
	v_or_b32_e32 v5, 0x1000, v1
	s_mul_i32 s19, s18, 63
	s_waitcnt vmcnt(0)
	ds_write_b32 v1, v7 offset:4096
	s_and_saveexec_b64 s[6:7], s[4:5]
	s_cbranch_execz .LBB65_12
; %bb.11:
	s_mul_i32 s8, s18, 63
	s_add_i32 s8, s8, s14
	v_add_u32_e32 v8, s8, v2
	v_mov_b32_e32 v9, 0
	v_lshl_add_u64 v[8:9], v[8:9], 2, s[12:13]
	global_load_dword v3, v[8:9], off
.LBB65_12:
	s_or_b64 exec, exec, s[6:7]
	s_movk_i32 s6, 0x80
	v_cmp_gt_u32_e32 vcc, s6, v0
	s_waitcnt vmcnt(0)
	ds_write_b32 v5, v3 offset:1024
	s_waitcnt lgkmcnt(0)
	s_barrier
	s_and_saveexec_b64 s[6:7], vcc
	s_cbranch_execz .LBB65_14
; %bb.13:
	v_add_u32_e32 v3, v6, v1
	v_add_u32_e32 v7, v1, v1
	ds_read2st64_b64 v[8:11], v3 offset1:2
	ds_read2st64_b64 v[12:15], v7 offset1:2
	v_add_u32_e32 v22, v5, v1
	ds_read2st64_b64 v[16:19], v22 offset1:2
	s_waitcnt lgkmcnt(1)
	v_fma_f32 v20, -v9, v14, 1.0
	v_div_scale_f32 v21, s[8:9], v20, v20, 1.0
	v_rcp_f32_e32 v23, v21
	v_div_scale_f32 v24, vcc, 1.0, v20, 1.0
	v_fma_f32 v25, -v21, v23, 1.0
	v_fmac_f32_e32 v23, v25, v23
	v_mul_f32_e32 v25, v24, v23
	v_fma_f32 v26, -v21, v25, v24
	v_fmac_f32_e32 v25, v26, v23
	v_fma_f32 v21, -v21, v25, v24
	v_div_fmas_f32 v21, v21, v23, v25
	v_div_fixup_f32 v23, v21, v20, 1.0
	s_waitcnt lgkmcnt(0)
	v_fma_f32 v20, -v14, v17, v18
	v_fma_f32 v17, -v9, v18, v17
	v_mul_f32_e32 v14, v14, v13
	v_mul_f32_e32 v9, v9, v10
	;; [unrolled: 1-line block ×4, first 2 shown]
	v_mul_f32_e64 v14, v14, -v23
	v_mul_f32_e32 v13, v23, v13
	v_mul_f32_e64 v9, v9, -v23
	v_mul_f32_e32 v10, v23, v10
	v_fma_f32 v16, -v17, v12, v16
	v_fma_f32 v21, -v11, v20, v19
	;; [unrolled: 1-line block ×3, first 2 shown]
	v_mul_f32_e64 v12, v13, -v12
	v_fma_f32 v15, -v14, v11, v15
	v_mul_f32_e64 v11, v10, -v11
	ds_write2st64_b64 v22, v[16:17], v[20:21] offset1:2
	ds_write2st64_b64 v7, v[12:13], v[14:15] offset1:2
	;; [unrolled: 1-line block ×3, first 2 shown]
.LBB65_14:
	s_or_b64 exec, exec, s[6:7]
	v_cmp_gt_u32_e32 vcc, 64, v0
	s_waitcnt lgkmcnt(0)
	s_barrier
	s_and_saveexec_b64 s[6:7], vcc
	s_cbranch_execz .LBB65_16
; %bb.15:
	v_lshlrev_b32_e32 v3, 4, v0
	v_add_u32_e32 v7, 0x800, v3
	v_add_u32_e32 v20, 0x400, v3
	ds_read2_b32 v[8:9], v7 offset1:2
	ds_read2_b32 v[10:11], v20 offset0:1 offset1:3
	v_mad_u32_u24 v21, v0, 12, v5
	v_add_u32_e32 v22, 0x400, v21
	v_add_u32_e32 v25, 0xc00, v3
	s_waitcnt lgkmcnt(0)
	v_fma_f32 v16, -v9, v10, 1.0
	v_div_scale_f32 v17, s[8:9], v16, v16, 1.0
	v_rcp_f32_e32 v18, v17
	v_div_scale_f32 v19, vcc, 1.0, v16, 1.0
	v_fma_f32 v12, -v17, v18, 1.0
	v_fmac_f32_e32 v18, v12, v18
	v_mul_f32_e32 v23, v19, v18
	v_fma_f32 v12, -v17, v23, v19
	v_fmac_f32_e32 v23, v12, v18
	ds_read2_b32 v[12:13], v22 offset0:1 offset1:3
	ds_read2_b32 v[14:15], v21 offset1:2
	v_fma_f32 v17, -v17, v23, v19
	v_div_fmas_f32 v17, v17, v18, v23
	v_div_fixup_f32 v23, v17, v16, 1.0
	ds_read2_b32 v[18:19], v25 offset0:1 offset1:3
	s_waitcnt lgkmcnt(1)
	v_fma_f32 v16, -v10, v15, v12
	v_mul_f32_e32 v24, v23, v16
	ds_read2_b32 v[16:17], v3 offset1:2
	v_fma_f32 v12, -v9, v12, v15
	v_mul_f32_e32 v12, v12, v23
	s_waitcnt lgkmcnt(1)
	v_mul_f32_e32 v9, v9, v18
	v_mul_f32_e64 v9, v9, -v23
	s_waitcnt lgkmcnt(0)
	v_fma_f32 v14, -v12, v16, v14
	ds_write2_b32 v21, v14, v12 offset1:2
	v_fma_f32 v12, -v19, v24, v13
	ds_write2_b32 v22, v24, v12 offset0:1 offset1:3
	v_mul_f32_e32 v10, v10, v17
	v_mul_f32_e32 v12, v23, v17
	v_fma_f32 v8, -v9, v16, v8
	v_mul_f32_e64 v10, v10, -v23
	ds_write2_b32 v7, v8, v9 offset1:2
	v_mul_f32_e64 v7, v12, -v16
	v_mul_f32_e32 v13, v23, v18
	ds_write2_b32 v3, v7, v12 offset1:2
	v_fma_f32 v3, -v10, v19, v11
	ds_write2_b32 v20, v10, v3 offset0:1 offset1:3
	v_mul_f32_e64 v3, v13, -v19
	ds_write2_b32 v25, v13, v3 offset0:1 offset1:3
.LBB65_16:
	s_or_b64 exec, exec, s[6:7]
	v_cmp_gt_u32_e32 vcc, 32, v0
	s_waitcnt lgkmcnt(0)
	s_barrier
	s_and_saveexec_b64 s[6:7], vcc
	s_cbranch_execz .LBB65_18
; %bb.17:
	v_lshlrev_b32_e32 v3, 5, v0
	v_add_u32_e32 v7, 0x800, v3
	v_add_u32_e32 v20, 0x400, v3
	ds_read2_b32 v[8:9], v7 offset1:4
	ds_read2_b32 v[10:11], v20 offset0:3 offset1:7
	v_add_u32_e32 v21, 0x1400, v3
	v_add_u32_e32 v23, 0x1000, v3
	ds_read2_b32 v[12:13], v21 offset0:3 offset1:7
	v_add_u32_e32 v25, 0xc00, v3
	s_waitcnt lgkmcnt(1)
	v_fma_f32 v16, -v9, v10, 1.0
	v_div_scale_f32 v17, s[8:9], v16, v16, 1.0
	v_rcp_f32_e32 v18, v17
	v_div_scale_f32 v19, vcc, 1.0, v16, 1.0
	v_fma_f32 v14, -v17, v18, 1.0
	v_fmac_f32_e32 v18, v14, v18
	v_mul_f32_e32 v22, v19, v18
	v_fma_f32 v14, -v17, v22, v19
	v_fmac_f32_e32 v22, v14, v18
	ds_read2_b32 v[14:15], v23 offset1:4
	v_fma_f32 v17, -v17, v22, v19
	v_div_fmas_f32 v17, v17, v18, v22
	v_div_fixup_f32 v22, v17, v16, 1.0
	ds_read2_b32 v[18:19], v25 offset0:3 offset1:7
	s_waitcnt lgkmcnt(1)
	v_fma_f32 v16, -v10, v15, v12
	v_mul_f32_e32 v24, v22, v16
	ds_read2_b32 v[16:17], v3 offset1:4
	v_fma_f32 v12, -v9, v12, v15
	v_mul_f32_e32 v12, v12, v22
	s_waitcnt lgkmcnt(1)
	v_mul_f32_e32 v9, v9, v18
	v_mul_f32_e64 v9, v9, -v22
	s_waitcnt lgkmcnt(0)
	v_fma_f32 v14, -v12, v16, v14
	ds_write2_b32 v23, v14, v12 offset1:4
	v_fma_f32 v12, -v19, v24, v13
	ds_write2_b32 v21, v24, v12 offset0:3 offset1:7
	v_mul_f32_e32 v10, v10, v17
	v_mul_f32_e32 v12, v22, v17
	v_fma_f32 v8, -v9, v16, v8
	v_mul_f32_e64 v10, v10, -v22
	ds_write2_b32 v7, v8, v9 offset1:4
	v_mul_f32_e64 v7, v12, -v16
	v_mul_f32_e32 v13, v22, v18
	ds_write2_b32 v3, v7, v12 offset1:4
	v_fma_f32 v3, -v10, v19, v11
	ds_write2_b32 v20, v10, v3 offset0:3 offset1:7
	v_mul_f32_e64 v3, v13, -v19
	ds_write2_b32 v25, v13, v3 offset0:3 offset1:7
.LBB65_18:
	s_or_b64 exec, exec, s[6:7]
	v_cmp_gt_u32_e32 vcc, 16, v0
	s_waitcnt lgkmcnt(0)
	s_barrier
	s_and_saveexec_b64 s[6:7], vcc
	s_cbranch_execz .LBB65_20
; %bb.19:
	v_lshlrev_b32_e32 v3, 6, v0
	v_add_u32_e32 v7, 0x800, v3
	v_add_u32_e32 v20, 0x400, v3
	ds_read2_b32 v[8:9], v7 offset1:8
	ds_read2_b32 v[10:11], v20 offset0:7 offset1:15
	v_add_u32_e32 v21, 0x1400, v3
	v_add_u32_e32 v23, 0x1000, v3
	ds_read2_b32 v[12:13], v21 offset0:7 offset1:15
	v_add_u32_e32 v25, 0xc00, v3
	s_waitcnt lgkmcnt(1)
	v_fma_f32 v16, -v9, v10, 1.0
	v_div_scale_f32 v17, s[8:9], v16, v16, 1.0
	v_rcp_f32_e32 v18, v17
	v_div_scale_f32 v19, vcc, 1.0, v16, 1.0
	v_fma_f32 v14, -v17, v18, 1.0
	v_fmac_f32_e32 v18, v14, v18
	v_mul_f32_e32 v22, v19, v18
	v_fma_f32 v14, -v17, v22, v19
	v_fmac_f32_e32 v22, v14, v18
	ds_read2_b32 v[14:15], v23 offset1:8
	v_fma_f32 v17, -v17, v22, v19
	v_div_fmas_f32 v17, v17, v18, v22
	v_div_fixup_f32 v22, v17, v16, 1.0
	ds_read2_b32 v[18:19], v25 offset0:7 offset1:15
	s_waitcnt lgkmcnt(1)
	v_fma_f32 v16, -v10, v15, v12
	v_mul_f32_e32 v24, v22, v16
	ds_read2_b32 v[16:17], v3 offset1:8
	v_fma_f32 v12, -v9, v12, v15
	v_mul_f32_e32 v12, v12, v22
	s_waitcnt lgkmcnt(1)
	v_mul_f32_e32 v9, v9, v18
	v_mul_f32_e64 v9, v9, -v22
	s_waitcnt lgkmcnt(0)
	v_fma_f32 v14, -v12, v16, v14
	ds_write2_b32 v23, v14, v12 offset1:8
	v_fma_f32 v12, -v19, v24, v13
	ds_write2_b32 v21, v24, v12 offset0:7 offset1:15
	v_mul_f32_e32 v10, v10, v17
	v_mul_f32_e32 v12, v22, v17
	v_fma_f32 v8, -v9, v16, v8
	v_mul_f32_e64 v10, v10, -v22
	ds_write2_b32 v7, v8, v9 offset1:8
	v_mul_f32_e64 v7, v12, -v16
	v_mul_f32_e32 v13, v22, v18
	ds_write2_b32 v3, v7, v12 offset1:8
	v_fma_f32 v3, -v10, v19, v11
	ds_write2_b32 v20, v10, v3 offset0:7 offset1:15
	v_mul_f32_e64 v3, v13, -v19
	ds_write2_b32 v25, v13, v3 offset0:7 offset1:15
.LBB65_20:
	;; [unrolled: 58-line block ×4, first 2 shown]
	s_or_b64 exec, exec, s[6:7]
	v_cmp_gt_u32_e32 vcc, 2, v0
	s_waitcnt lgkmcnt(0)
	s_barrier
	s_and_saveexec_b64 s[6:7], vcc
	s_cbranch_execz .LBB65_26
; %bb.25:
	v_lshlrev_b32_e32 v3, 9, v0
	v_add_u32_e32 v7, 0xfc, v3
	ds_read2st64_b32 v[8:9], v7 offset0:4 offset1:5
	ds_read2st64_b32 v[10:11], v3 offset0:8 offset1:9
	;; [unrolled: 1-line block ×3, first 2 shown]
	ds_read2st64_b32 v[14:15], v3 offset1:1
	ds_read2st64_b32 v[16:17], v7 offset0:12 offset1:13
	ds_read2st64_b32 v[18:19], v7 offset0:20 offset1:21
	s_waitcnt lgkmcnt(4)
	v_fma_f32 v20, -v11, v8, 1.0
	v_div_scale_f32 v21, s[8:9], v20, v20, 1.0
	v_rcp_f32_e32 v22, v21
	s_nop 0
	v_fma_f32 v23, -v21, v22, 1.0
	v_fmac_f32_e32 v22, v23, v22
	v_div_scale_f32 v23, vcc, 1.0, v20, 1.0
	v_mul_f32_e32 v24, v23, v22
	v_fma_f32 v25, -v21, v24, v23
	v_fmac_f32_e32 v24, v25, v22
	v_fma_f32 v21, -v21, v24, v23
	v_div_fmas_f32 v21, v21, v22, v24
	v_div_fixup_f32 v20, v21, v20, 1.0
	s_waitcnt lgkmcnt(0)
	v_fma_f32 v21, -v8, v13, v18
	v_fma_f32 v13, -v11, v18, v13
	v_mul_f32_e32 v13, v13, v20
	v_mul_f32_e32 v21, v20, v21
	v_fma_f32 v12, -v13, v14, v12
	v_mul_f32_e32 v11, v11, v16
	ds_write2st64_b32 v3, v12, v13 offset0:16 offset1:17
	v_fma_f32 v12, -v17, v21, v19
	v_mul_f32_e64 v11, v11, -v20
	ds_write2st64_b32 v7, v21, v12 offset0:20 offset1:21
	v_mul_f32_e32 v8, v8, v15
	v_mul_f32_e32 v12, v20, v15
	v_fma_f32 v10, -v11, v14, v10
	v_mul_f32_e64 v8, v8, -v20
	ds_write2st64_b32 v3, v10, v11 offset0:8 offset1:9
	v_mul_f32_e64 v10, v12, -v14
	v_mul_f32_e32 v13, v20, v16
	ds_write2st64_b32 v3, v10, v12 offset1:1
	v_fma_f32 v3, -v8, v17, v9
	ds_write2st64_b32 v7, v8, v3 offset0:4 offset1:5
	v_mul_f32_e64 v3, v13, -v17
	ds_write2st64_b32 v7, v13, v3 offset0:12 offset1:13
.LBB65_26:
	s_or_b64 exec, exec, s[6:7]
	v_cmp_eq_u32_e64 s[6:7], 0, v0
	s_waitcnt lgkmcnt(0)
	s_barrier
	s_and_saveexec_b64 s[8:9], s[6:7]
	s_cbranch_execz .LBB65_28
; %bb.27:
	s_movk_i32 s10, 0xa00
	v_add_u32_e64 v3, s10, 0
	v_mov_b32_e32 v0, 0
	ds_read2_b32 v[8:9], v3 offset1:255
	ds_read_b32 v7, v0 offset:1532
	v_mov_b32_e32 v18, 0x7fc
	ds_read2_b32 v[10:11], v18 offset1:1
	ds_read_b32 v19, v0 offset:6140
	v_mov_b32_e32 v21, 0xffc
	ds_read2_b32 v[12:13], v21 offset1:1
	s_waitcnt lgkmcnt(3)
	v_fma_f32 v16, -v8, v7, 1.0
	v_div_scale_f32 v17, s[10:11], v16, v16, 1.0
	v_rcp_f32_e32 v20, v17
	v_div_scale_f32 v22, vcc, 1.0, v16, 1.0
	s_movk_i32 s10, 0x1200
	v_fma_f32 v14, -v17, v20, 1.0
	v_fmac_f32_e32 v20, v14, v20
	v_mul_f32_e32 v23, v22, v20
	v_fma_f32 v14, -v17, v23, v22
	v_fmac_f32_e32 v23, v14, v20
	v_add_u32_e64 v24, s10, 0
	ds_read2_b32 v[14:15], v24 offset1:255
	v_fma_f32 v17, -v17, v23, v22
	v_div_fmas_f32 v17, v17, v20, v23
	v_div_fixup_f32 v20, v17, v16, 1.0
	ds_read2st64_b32 v[16:17], v0 offset1:2
	s_waitcnt lgkmcnt(1)
	v_fma_f32 v22, -v7, v14, v15
	v_fma_f32 v14, -v8, v15, v14
	v_mul_f32_e32 v22, v20, v22
	v_mul_f32_e32 v14, v14, v20
	ds_write2_b32 v24, v14, v22 offset1:255
	s_waitcnt lgkmcnt(1)
	v_fma_f32 v13, -v14, v16, v13
	v_fma_f32 v14, -v12, v22, v19
	v_mul_f32_e32 v8, v8, v9
	ds_write_b32 v0, v14 offset:6140
	v_mul_f32_e32 v7, v7, v17
	v_mul_f32_e32 v14, v20, v17
	v_mul_f32_e64 v8, v8, -v20
	v_mul_f32_e32 v9, v20, v9
	v_mul_f32_e64 v7, v7, -v20
	ds_write2_b32 v3, v8, v9 offset1:255
	v_fma_f32 v3, -v8, v16, v11
	v_mul_f32_e64 v8, v14, -v16
	ds_write_b32 v0, v7 offset:1532
	ds_write2st64_b32 v0, v8, v14 offset1:2
	v_fma_f32 v0, -v7, v12, v10
	ds_write2_b32 v18, v0, v3 offset1:1
	v_mul_f32_e64 v0, v9, -v12
	ds_write2_b32 v21, v0, v13 offset1:1
.LBB65_28:
	s_or_b64 exec, exec, s[8:9]
	s_load_dwordx2 s[14:15], s[0:1], 0x48
	s_load_dwordx4 s[8:11], s[0:1], 0x38
	s_waitcnt lgkmcnt(0)
	s_barrier
	s_and_saveexec_b64 s[16:17], s[4:5]
	s_cbranch_execnz .LBB65_31
; %bb.29:
	s_or_b64 exec, exec, s[16:17]
	s_and_saveexec_b64 s[4:5], s[6:7]
	s_cbranch_execnz .LBB65_35
.LBB65_30:
	s_endpgm
.LBB65_31:
	s_cmp_eq_u32 s3, 0
	s_cbranch_scc1 .LBB65_39
; %bb.32:
	s_mul_i32 s18, s18, 63
	s_cbranch_execnz .LBB65_34
.LBB65_33:
	s_load_dwordx4 s[20:23], s[0:1], 0x28
	ds_read2st64_b32 v[6:7], v6 offset1:4
	ds_read2st64_b32 v[0:1], v1 offset1:4
	v_ashrrev_i32_e32 v3, 31, v2
	v_add_u32_e32 v8, s19, v2
	v_lshlrev_b64 v[2:3], 2, v[2:3]
	v_mov_b32_e32 v9, 0
	s_waitcnt lgkmcnt(0)
	v_lshl_add_u64 v[10:11], s[20:21], 0, v[2:3]
	v_lshlrev_b64 v[8:9], 2, v[8:9]
	v_lshl_add_u64 v[2:3], s[22:23], 0, v[2:3]
	global_store_dword v[10:11], v6, off
	v_lshl_add_u64 v[10:11], s[20:21], 0, v[8:9]
	global_store_dword v[2:3], v0, off
	v_lshl_add_u64 v[2:3], s[22:23], 0, v[8:9]
	s_mov_b32 s18, s19
	global_store_dword v[10:11], v7, off
	global_store_dword v[2:3], v1, off
.LBB65_34:
	ds_read2st64_b32 v[0:1], v5 offset1:4
	v_ashrrev_i32_e32 v5, 31, v4
	v_add_u32_e32 v2, s18, v4
	v_mov_b32_e32 v3, 0
	v_lshl_add_u64 v[4:5], v[4:5], 2, s[12:13]
	v_lshl_add_u64 v[2:3], v[2:3], 2, s[12:13]
	s_waitcnt lgkmcnt(0)
	global_store_dword v[4:5], v0, off
	global_store_dword v[2:3], v1, off
	s_or_b64 exec, exec, s[16:17]
	s_and_saveexec_b64 s[4:5], s[6:7]
	s_cbranch_execz .LBB65_30
.LBB65_35:
	s_cmp_eq_u32 s3, 0
	s_cbranch_scc1 .LBB65_40
; %bb.36:
	s_load_dword s6, s[0:1], 0x50
	s_cbranch_execnz .LBB65_38
.LBB65_37:
	s_waitcnt lgkmcnt(0)
	s_load_dword s6, s[0:1], 0x50
	v_mov_b32_e32 v0, 0x7fc
	ds_read2_b32 v[0:1], v0 offset1:1
	s_mov_b32 s4, s3
	s_ashr_i32 s3, s2, 31
	s_lshl_b64 s[12:13], s[2:3], 2
	s_mov_b32 s3, s4
	s_add_u32 s4, s10, s12
	v_mov_b32_e32 v2, 0
	s_addc_u32 s5, s11, s13
	ds_read_b32 v3, v2 offset:4092
	ds_read_b32 v4, v2
	s_waitcnt lgkmcnt(0)
	s_add_i32 s0, s6, s2
	s_mov_b32 s1, 0
	s_lshl_b64 s[0:1], s[0:1], 2
	global_store_dword v2, v1, s[4:5]
	s_add_u32 s4, s10, s0
	s_addc_u32 s5, s11, s1
	global_store_dword v2, v3, s[4:5]
	s_add_u32 s4, s14, s12
	s_addc_u32 s5, s15, s13
	s_add_u32 s0, s14, s0
	s_addc_u32 s1, s15, s1
	global_store_dword v2, v4, s[4:5]
	global_store_dword v2, v0, s[0:1]
.LBB65_38:
	s_waitcnt lgkmcnt(0)
	s_mul_i32 s0, s6, s3
	s_lshl_b32 s0, s0, 1
	s_add_i32 s0, s0, s2
	s_mov_b32 s1, 0
	v_mov_b32_e32 v0, 0
	s_lshl_b64 s[2:3], s[0:1], 2
	ds_read_b32 v1, v0 offset:4096
	ds_read_b32 v2, v0 offset:6140
	s_add_u32 s2, s8, s2
	s_addc_u32 s3, s9, s3
	s_add_i32 s0, s0, s6
	s_lshl_b64 s[0:1], s[0:1], 2
	s_add_u32 s0, s8, s0
	s_addc_u32 s1, s9, s1
	s_waitcnt lgkmcnt(1)
	global_store_dword v0, v1, s[2:3]
	s_waitcnt lgkmcnt(0)
	global_store_dword v0, v2, s[0:1]
	s_endpgm
.LBB65_39:
                                        ; implicit-def: $sgpr18
	s_branch .LBB65_33
.LBB65_40:
                                        ; implicit-def: $sgpr6
	s_branch .LBB65_37
	.section	.rodata,"a",@progbits
	.p2align	6, 0x0
	.amdhsa_kernel _ZN9rocsparseL29gtsv_spike_block_level_kernelILj256ELj64EfEEviiiPT1_PKS1_S4_S2_S2_S2_S2_S2_
		.amdhsa_group_segment_fixed_size 6144
		.amdhsa_private_segment_fixed_size 0
		.amdhsa_kernarg_size 336
		.amdhsa_user_sgpr_count 2
		.amdhsa_user_sgpr_dispatch_ptr 0
		.amdhsa_user_sgpr_queue_ptr 0
		.amdhsa_user_sgpr_kernarg_segment_ptr 1
		.amdhsa_user_sgpr_dispatch_id 0
		.amdhsa_user_sgpr_kernarg_preload_length 0
		.amdhsa_user_sgpr_kernarg_preload_offset 0
		.amdhsa_user_sgpr_private_segment_size 0
		.amdhsa_uses_dynamic_stack 0
		.amdhsa_enable_private_segment 0
		.amdhsa_system_sgpr_workgroup_id_x 1
		.amdhsa_system_sgpr_workgroup_id_y 1
		.amdhsa_system_sgpr_workgroup_id_z 0
		.amdhsa_system_sgpr_workgroup_info 0
		.amdhsa_system_vgpr_workitem_id 0
		.amdhsa_next_free_vgpr 27
		.amdhsa_next_free_sgpr 24
		.amdhsa_accum_offset 28
		.amdhsa_reserve_vcc 1
		.amdhsa_float_round_mode_32 0
		.amdhsa_float_round_mode_16_64 0
		.amdhsa_float_denorm_mode_32 3
		.amdhsa_float_denorm_mode_16_64 3
		.amdhsa_dx10_clamp 1
		.amdhsa_ieee_mode 1
		.amdhsa_fp16_overflow 0
		.amdhsa_tg_split 0
		.amdhsa_exception_fp_ieee_invalid_op 0
		.amdhsa_exception_fp_denorm_src 0
		.amdhsa_exception_fp_ieee_div_zero 0
		.amdhsa_exception_fp_ieee_overflow 0
		.amdhsa_exception_fp_ieee_underflow 0
		.amdhsa_exception_fp_ieee_inexact 0
		.amdhsa_exception_int_div_zero 0
	.end_amdhsa_kernel
	.section	.text._ZN9rocsparseL29gtsv_spike_block_level_kernelILj256ELj64EfEEviiiPT1_PKS1_S4_S2_S2_S2_S2_S2_,"axG",@progbits,_ZN9rocsparseL29gtsv_spike_block_level_kernelILj256ELj64EfEEviiiPT1_PKS1_S4_S2_S2_S2_S2_S2_,comdat
.Lfunc_end65:
	.size	_ZN9rocsparseL29gtsv_spike_block_level_kernelILj256ELj64EfEEviiiPT1_PKS1_S4_S2_S2_S2_S2_S2_, .Lfunc_end65-_ZN9rocsparseL29gtsv_spike_block_level_kernelILj256ELj64EfEEviiiPT1_PKS1_S4_S2_S2_S2_S2_S2_
                                        ; -- End function
	.set _ZN9rocsparseL29gtsv_spike_block_level_kernelILj256ELj64EfEEviiiPT1_PKS1_S4_S2_S2_S2_S2_S2_.num_vgpr, 27
	.set _ZN9rocsparseL29gtsv_spike_block_level_kernelILj256ELj64EfEEviiiPT1_PKS1_S4_S2_S2_S2_S2_S2_.num_agpr, 0
	.set _ZN9rocsparseL29gtsv_spike_block_level_kernelILj256ELj64EfEEviiiPT1_PKS1_S4_S2_S2_S2_S2_S2_.numbered_sgpr, 24
	.set _ZN9rocsparseL29gtsv_spike_block_level_kernelILj256ELj64EfEEviiiPT1_PKS1_S4_S2_S2_S2_S2_S2_.num_named_barrier, 0
	.set _ZN9rocsparseL29gtsv_spike_block_level_kernelILj256ELj64EfEEviiiPT1_PKS1_S4_S2_S2_S2_S2_S2_.private_seg_size, 0
	.set _ZN9rocsparseL29gtsv_spike_block_level_kernelILj256ELj64EfEEviiiPT1_PKS1_S4_S2_S2_S2_S2_S2_.uses_vcc, 1
	.set _ZN9rocsparseL29gtsv_spike_block_level_kernelILj256ELj64EfEEviiiPT1_PKS1_S4_S2_S2_S2_S2_S2_.uses_flat_scratch, 0
	.set _ZN9rocsparseL29gtsv_spike_block_level_kernelILj256ELj64EfEEviiiPT1_PKS1_S4_S2_S2_S2_S2_S2_.has_dyn_sized_stack, 0
	.set _ZN9rocsparseL29gtsv_spike_block_level_kernelILj256ELj64EfEEviiiPT1_PKS1_S4_S2_S2_S2_S2_S2_.has_recursion, 0
	.set _ZN9rocsparseL29gtsv_spike_block_level_kernelILj256ELj64EfEEviiiPT1_PKS1_S4_S2_S2_S2_S2_S2_.has_indirect_call, 0
	.section	.AMDGPU.csdata,"",@progbits
; Kernel info:
; codeLenInByte = 3748
; TotalNumSgprs: 30
; NumVgprs: 27
; NumAgprs: 0
; TotalNumVgprs: 27
; ScratchSize: 0
; MemoryBound: 0
; FloatMode: 240
; IeeeMode: 1
; LDSByteSize: 6144 bytes/workgroup (compile time only)
; SGPRBlocks: 3
; VGPRBlocks: 3
; NumSGPRsForWavesPerEU: 30
; NumVGPRsForWavesPerEU: 27
; AccumOffset: 28
; Occupancy: 8
; WaveLimiterHint : 0
; COMPUTE_PGM_RSRC2:SCRATCH_EN: 0
; COMPUTE_PGM_RSRC2:USER_SGPR: 2
; COMPUTE_PGM_RSRC2:TRAP_HANDLER: 0
; COMPUTE_PGM_RSRC2:TGID_X_EN: 1
; COMPUTE_PGM_RSRC2:TGID_Y_EN: 1
; COMPUTE_PGM_RSRC2:TGID_Z_EN: 0
; COMPUTE_PGM_RSRC2:TIDIG_COMP_CNT: 0
; COMPUTE_PGM_RSRC3_GFX90A:ACCUM_OFFSET: 6
; COMPUTE_PGM_RSRC3_GFX90A:TG_SPLIT: 0
	.section	.text._ZN9rocsparseL33gtsv_solve_spike_propagate_kernelILj256ELj64EfEEviiiPT1_PKS1_S4_S4_,"axG",@progbits,_ZN9rocsparseL33gtsv_solve_spike_propagate_kernelILj256ELj64EfEEviiiPT1_PKS1_S4_S4_,comdat
	.globl	_ZN9rocsparseL33gtsv_solve_spike_propagate_kernelILj256ELj64EfEEviiiPT1_PKS1_S4_S4_ ; -- Begin function _ZN9rocsparseL33gtsv_solve_spike_propagate_kernelILj256ELj64EfEEviiiPT1_PKS1_S4_S4_
	.p2align	8
	.type	_ZN9rocsparseL33gtsv_solve_spike_propagate_kernelILj256ELj64EfEEviiiPT1_PKS1_S4_S4_,@function
_ZN9rocsparseL33gtsv_solve_spike_propagate_kernelILj256ELj64EfEEviiiPT1_PKS1_S4_S4_: ; @_ZN9rocsparseL33gtsv_solve_spike_propagate_kernelILj256ELj64EfEEviiiPT1_PKS1_S4_S4_
; %bb.0:
	s_load_dword s8, s[0:1], 0x0
	v_lshl_or_b32 v2, s2, 8, v0
	v_mov_b32_e32 v4, 0
	v_ashrrev_i32_e32 v3, 31, v2
	v_mov_b32_e32 v5, 0
	s_waitcnt lgkmcnt(0)
	s_lshr_b32 s12, s8, 6
	v_cmp_le_i32_e64 s[4:5], s12, v2
	v_cmp_gt_i32_e32 vcc, s12, v2
	s_and_saveexec_b64 s[6:7], vcc
	s_cbranch_execz .LBB66_2
; %bb.1:
	s_load_dwordx2 s[10:11], s[0:1], 0x18
	v_mad_u64_u32 v[4:5], s[14:15], s12, 63, v[2:3]
	v_mov_b32_e32 v5, 0
	s_waitcnt lgkmcnt(0)
	v_lshl_add_u64 v[6:7], v[2:3], 2, s[10:11]
	v_lshl_add_u64 v[8:9], v[4:5], 2, s[10:11]
	global_load_dword v4, v[6:7], off
	global_load_dword v5, v[8:9], off
.LBB66_2:
	s_or_b64 exec, exec, s[6:7]
	s_load_dwordx2 s[6:7], s[0:1], 0x10
	v_lshlrev_b32_e32 v1, 2, v0
	v_add_u32_e32 v6, 16, v1
	s_waitcnt vmcnt(0)
	ds_write2st64_b32 v6, v4, v5 offset0:16 offset1:20
	s_and_saveexec_b64 s[10:11], s[4:5]
	s_xor_b64 s[4:5], exec, s[10:11]
; %bb.3:
	v_mov_b32_e32 v3, 0
	ds_write2st64_b32 v6, v3, v3 offset0:8 offset1:12
; %bb.4:
	s_or_saveexec_b64 s[4:5], s[4:5]
	v_mov_b32_e32 v4, 0
	s_mul_i32 s8, s8, s3
	v_mov_b32_e32 v5, 0
	s_xor_b64 exec, exec, s[4:5]
	s_cbranch_execz .LBB66_6
; %bb.5:
	s_load_dwordx2 s[10:11], s[0:1], 0x20
	v_mad_u64_u32 v[6:7], s[14:15], s12, 63, v[2:3]
	v_mov_b32_e32 v7, 0
	s_waitcnt lgkmcnt(0)
	v_lshl_add_u64 v[10:11], v[6:7], 2, s[10:11]
	v_add_u32_e32 v6, s8, v6
	v_lshl_add_u64 v[8:9], v[2:3], 2, s[10:11]
	v_lshl_add_u64 v[6:7], v[6:7], 2, s[6:7]
	global_load_dword v3, v[8:9], off
	global_load_dword v12, v[10:11], off
	;; [unrolled: 1-line block ×3, first 2 shown]
	v_add_u32_e32 v6, 16, v1
	s_waitcnt vmcnt(1)
	ds_write2st64_b32 v6, v3, v12 offset0:8 offset1:12
.LBB66_6:
	s_or_b64 exec, exec, s[4:5]
	v_add_u32_e32 v2, s8, v2
	s_waitcnt vmcnt(0)
	ds_write_b32 v1, v5 offset:4
	s_and_saveexec_b64 s[4:5], vcc
	s_cbranch_execz .LBB66_8
; %bb.7:
	v_ashrrev_i32_e32 v3, 31, v2
	s_waitcnt lgkmcnt(0)
	v_lshl_add_u64 v[4:5], v[2:3], 2, s[6:7]
	global_load_dword v4, v[4:5], off
.LBB66_8:
	s_or_b64 exec, exec, s[4:5]
	s_mov_b32 s14, 0
	v_cmp_eq_u32_e64 s[4:5], 0, v0
	s_waitcnt vmcnt(0)
	ds_write_b32 v1, v4 offset:1028
	s_waitcnt lgkmcnt(0)
	s_barrier
	s_and_saveexec_b64 s[8:9], s[4:5]
	s_cbranch_execz .LBB66_14
; %bb.9:
	s_load_dword s13, s[0:1], 0x30
	s_load_dwordx2 s[10:11], s[0:1], 0x28
	s_cmp_lt_i32 s2, 1
	s_waitcnt lgkmcnt(0)
	s_mul_i32 s3, s3, s13
	s_cbranch_scc1 .LBB66_11
; %bb.10:
	s_lshl_b32 s0, s3, 1
	s_add_i32 s1, s2, s13
	s_add_i32 s0, s1, s0
	s_add_i32 s0, s0, -1
	s_mov_b32 s1, 0
	s_lshl_b64 s[0:1], s[0:1], 2
	s_add_u32 s0, s10, s0
	s_addc_u32 s1, s11, s1
	s_load_dword s14, s[0:1], 0x0
.LBB66_11:
	s_add_i32 s0, s13, -1
	v_mov_b32_e32 v3, 0
	s_waitcnt lgkmcnt(0)
	v_mov_b32_e32 v4, s14
	s_mov_b32 s1, 0
	s_cmp_ge_u32 s2, s0
	s_mov_b32 s14, 0
	ds_write_b32 v3, v4
	s_cbranch_scc1 .LBB66_13
; %bb.12:
	s_lshl_b32 s0, s3, 1
	s_add_i32 s0, s2, s0
	s_add_i32 s14, s0, 1
	s_mov_b32 s15, 0
	s_lshl_b64 s[14:15], s[14:15], 2
	s_add_u32 s14, s10, s14
	s_addc_u32 s15, s11, s15
	s_load_dword s14, s[14:15], 0x0
.LBB66_13:
	s_lshl_b32 s0, s3, 1
	s_add_i32 s0, s0, s2
	s_lshl_b64 s[2:3], s[0:1], 2
	s_add_u32 s2, s10, s2
	s_addc_u32 s3, s11, s3
	s_add_i32 s0, s0, s13
	s_lshl_b64 s[0:1], s[0:1], 2
	s_add_u32 s0, s10, s0
	s_addc_u32 s1, s11, s1
	s_load_dword s10, s[0:1], 0x0
	s_load_dword s11, s[2:3], 0x0
	s_waitcnt lgkmcnt(0)
	v_mov_b32_e32 v4, s14
	ds_write_b32 v3, v4 offset:2052
	v_mov_b32_e32 v4, s10
	v_mov_b32_e32 v5, s11
	ds_write_b64 v3, v[4:5] offset:1024
.LBB66_14:
	s_or_b64 exec, exec, s[8:9]
	s_waitcnt lgkmcnt(0)
	s_barrier
	s_and_saveexec_b64 s[0:1], s[4:5]
	s_cbranch_execz .LBB66_16
; %bb.15:
	s_movk_i32 s2, 0xa10
	v_mov_b32_e32 v3, 0
	v_add_u32_e64 v6, s2, 0
	v_add_u32_e64 v8, 4, 0
	s_movk_i32 s2, 0x1210
	ds_read2st64_b32 v[4:5], v3 offset1:2
	ds_read2_b32 v[6:7], v6 offset1:255
	ds_read2st64_b32 v[8:9], v8 offset0:6 offset1:8
	v_add_u32_e64 v10, s2, 0
	ds_read2_b32 v[10:11], v10 offset1:255
	s_waitcnt lgkmcnt(1)
	v_fma_f32 v5, -v7, v9, v5
	s_waitcnt lgkmcnt(0)
	v_fma_f32 v5, -v11, v4, v5
	ds_write_b32 v3, v5 offset:512
	v_fma_f32 v5, -v6, v9, v8
	v_fma_f32 v4, -v10, v4, v5
	ds_write_b32 v3, v4 offset:1540
.LBB66_16:
	s_or_b64 exec, exec, s[0:1]
	v_cmp_gt_u32_e64 s[0:1], 2, v0
	s_waitcnt lgkmcnt(0)
	s_barrier
	s_and_saveexec_b64 s[2:3], s[0:1]
	s_cbranch_execz .LBB66_18
; %bb.17:
	s_movk_i32 s0, 0x1fc
	v_mad_u32_u24 v3, v0, s0, v1
	v_lshlrev_b32_e32 v10, 9, v0
	v_add_u32_e32 v6, 0x910, v10
	v_add_u32_e32 v8, 4, v3
	ds_read2st64_b32 v[4:5], v3 offset1:1
	ds_read2_b32 v[6:7], v6 offset1:255
	ds_read2st64_b32 v[8:9], v8 offset0:5 offset1:6
	v_add_u32_e32 v10, 0x1110, v10
	ds_read2_b32 v[10:11], v10 offset1:255
	s_waitcnt lgkmcnt(1)
	v_fma_f32 v5, -v7, v9, v5
	s_waitcnt lgkmcnt(0)
	v_fma_f32 v5, -v11, v4, v5
	ds_write_b32 v3, v5 offset:256
	v_fma_f32 v5, -v6, v9, v8
	v_fma_f32 v4, -v10, v4, v5
	ds_write_b32 v3, v4 offset:1284
.LBB66_18:
	s_or_b64 exec, exec, s[2:3]
	v_cmp_gt_u32_e64 s[0:1], 4, v0
	s_waitcnt lgkmcnt(0)
	s_barrier
	s_and_saveexec_b64 s[2:3], s[0:1]
	s_cbranch_execz .LBB66_20
; %bb.19:
	v_lshlrev_b32_e32 v3, 8, v0
	v_add_u32_e32 v6, 0x890, v3
	v_add_u32_e32 v8, 0x400, v3
	ds_read2_b32 v[4:5], v3 offset1:32
	ds_read2_b32 v[6:7], v6 offset1:255
	ds_read2_b32 v[8:9], v8 offset0:33 offset1:65
	v_add_u32_e32 v10, 0x1090, v3
	ds_read2_b32 v[10:11], v10 offset1:255
	s_waitcnt lgkmcnt(1)
	v_fma_f32 v5, -v7, v9, v5
	s_waitcnt lgkmcnt(0)
	v_fma_f32 v5, -v11, v4, v5
	ds_write_b32 v3, v5 offset:128
	v_fma_f32 v5, -v6, v9, v8
	v_fma_f32 v4, -v10, v4, v5
	ds_write_b32 v3, v4 offset:1156
.LBB66_20:
	s_or_b64 exec, exec, s[2:3]
	v_cmp_gt_u32_e64 s[0:1], 8, v0
	s_waitcnt lgkmcnt(0)
	s_barrier
	s_and_saveexec_b64 s[2:3], s[0:1]
	s_cbranch_execz .LBB66_22
; %bb.21:
	v_lshlrev_b32_e32 v3, 7, v0
	v_add_u32_e32 v6, 0x850, v3
	v_add_u32_e32 v8, 0x400, v3
	ds_read2_b32 v[4:5], v3 offset1:16
	ds_read2_b32 v[6:7], v6 offset1:255
	ds_read2_b32 v[8:9], v8 offset0:17 offset1:33
	v_add_u32_e32 v10, 0x1050, v3
	ds_read2_b32 v[10:11], v10 offset1:255
	s_waitcnt lgkmcnt(1)
	v_fma_f32 v5, -v7, v9, v5
	s_waitcnt lgkmcnt(0)
	v_fma_f32 v5, -v11, v4, v5
	ds_write_b32 v3, v5 offset:64
	v_fma_f32 v5, -v6, v9, v8
	v_fma_f32 v4, -v10, v4, v5
	ds_write_b32 v3, v4 offset:1092
.LBB66_22:
	;; [unrolled: 24-line block ×5, first 2 shown]
	s_or_b64 exec, exec, s[2:3]
	s_movk_i32 s0, 0x80
	v_cmp_gt_u32_e64 s[0:1], s0, v0
	s_waitcnt lgkmcnt(0)
	s_barrier
	s_and_saveexec_b64 s[2:3], s[0:1]
	s_cbranch_execz .LBB66_30
; %bb.29:
	v_lshlrev_b32_e32 v0, 3, v0
	v_add_u32_e32 v3, 0x814, v0
	ds_read2_b64 v[4:7], v0 offset1:129
	ds_read2_b32 v[8:9], v3 offset1:255
	v_add_u32_e32 v3, 0x1014, v0
	ds_read2_b32 v[10:11], v3 offset1:255
	s_waitcnt lgkmcnt(1)
	v_fma_f32 v3, -v9, v7, v5
	v_fma_f32 v5, -v8, v7, v6
	s_waitcnt lgkmcnt(0)
	v_fma_f32 v3, -v11, v4, v3
	ds_write_b32 v0, v3 offset:4
	v_fma_f32 v3, -v10, v4, v5
	ds_write_b32 v0, v3 offset:1032
.LBB66_30:
	s_or_b64 exec, exec, s[2:3]
	s_waitcnt lgkmcnt(0)
	s_barrier
	s_and_saveexec_b64 s[0:1], vcc
	s_cbranch_execz .LBB66_32
; %bb.31:
	v_add_u32_e32 v0, 4, v1
	ds_read2st64_b32 v[0:1], v0 offset1:4
	v_ashrrev_i32_e32 v3, 31, v2
	v_lshl_add_u64 v[4:5], v[2:3], 2, s[6:7]
	v_mad_u64_u32 v[2:3], s[0:1], s12, 63, v[2:3]
	v_mov_b32_e32 v3, 0
	v_lshl_add_u64 v[2:3], v[2:3], 2, s[6:7]
	s_waitcnt lgkmcnt(0)
	global_store_dword v[4:5], v1, off
	global_store_dword v[2:3], v0, off
.LBB66_32:
	s_endpgm
	.section	.rodata,"a",@progbits
	.p2align	6, 0x0
	.amdhsa_kernel _ZN9rocsparseL33gtsv_solve_spike_propagate_kernelILj256ELj64EfEEviiiPT1_PKS1_S4_S4_
		.amdhsa_group_segment_fixed_size 6160
		.amdhsa_private_segment_fixed_size 0
		.amdhsa_kernarg_size 304
		.amdhsa_user_sgpr_count 2
		.amdhsa_user_sgpr_dispatch_ptr 0
		.amdhsa_user_sgpr_queue_ptr 0
		.amdhsa_user_sgpr_kernarg_segment_ptr 1
		.amdhsa_user_sgpr_dispatch_id 0
		.amdhsa_user_sgpr_kernarg_preload_length 0
		.amdhsa_user_sgpr_kernarg_preload_offset 0
		.amdhsa_user_sgpr_private_segment_size 0
		.amdhsa_uses_dynamic_stack 0
		.amdhsa_enable_private_segment 0
		.amdhsa_system_sgpr_workgroup_id_x 1
		.amdhsa_system_sgpr_workgroup_id_y 1
		.amdhsa_system_sgpr_workgroup_id_z 0
		.amdhsa_system_sgpr_workgroup_info 0
		.amdhsa_system_vgpr_workitem_id 0
		.amdhsa_next_free_vgpr 13
		.amdhsa_next_free_sgpr 16
		.amdhsa_accum_offset 16
		.amdhsa_reserve_vcc 1
		.amdhsa_float_round_mode_32 0
		.amdhsa_float_round_mode_16_64 0
		.amdhsa_float_denorm_mode_32 3
		.amdhsa_float_denorm_mode_16_64 3
		.amdhsa_dx10_clamp 1
		.amdhsa_ieee_mode 1
		.amdhsa_fp16_overflow 0
		.amdhsa_tg_split 0
		.amdhsa_exception_fp_ieee_invalid_op 0
		.amdhsa_exception_fp_denorm_src 0
		.amdhsa_exception_fp_ieee_div_zero 0
		.amdhsa_exception_fp_ieee_overflow 0
		.amdhsa_exception_fp_ieee_underflow 0
		.amdhsa_exception_fp_ieee_inexact 0
		.amdhsa_exception_int_div_zero 0
	.end_amdhsa_kernel
	.section	.text._ZN9rocsparseL33gtsv_solve_spike_propagate_kernelILj256ELj64EfEEviiiPT1_PKS1_S4_S4_,"axG",@progbits,_ZN9rocsparseL33gtsv_solve_spike_propagate_kernelILj256ELj64EfEEviiiPT1_PKS1_S4_S4_,comdat
.Lfunc_end66:
	.size	_ZN9rocsparseL33gtsv_solve_spike_propagate_kernelILj256ELj64EfEEviiiPT1_PKS1_S4_S4_, .Lfunc_end66-_ZN9rocsparseL33gtsv_solve_spike_propagate_kernelILj256ELj64EfEEviiiPT1_PKS1_S4_S4_
                                        ; -- End function
	.set _ZN9rocsparseL33gtsv_solve_spike_propagate_kernelILj256ELj64EfEEviiiPT1_PKS1_S4_S4_.num_vgpr, 13
	.set _ZN9rocsparseL33gtsv_solve_spike_propagate_kernelILj256ELj64EfEEviiiPT1_PKS1_S4_S4_.num_agpr, 0
	.set _ZN9rocsparseL33gtsv_solve_spike_propagate_kernelILj256ELj64EfEEviiiPT1_PKS1_S4_S4_.numbered_sgpr, 16
	.set _ZN9rocsparseL33gtsv_solve_spike_propagate_kernelILj256ELj64EfEEviiiPT1_PKS1_S4_S4_.num_named_barrier, 0
	.set _ZN9rocsparseL33gtsv_solve_spike_propagate_kernelILj256ELj64EfEEviiiPT1_PKS1_S4_S4_.private_seg_size, 0
	.set _ZN9rocsparseL33gtsv_solve_spike_propagate_kernelILj256ELj64EfEEviiiPT1_PKS1_S4_S4_.uses_vcc, 1
	.set _ZN9rocsparseL33gtsv_solve_spike_propagate_kernelILj256ELj64EfEEviiiPT1_PKS1_S4_S4_.uses_flat_scratch, 0
	.set _ZN9rocsparseL33gtsv_solve_spike_propagate_kernelILj256ELj64EfEEviiiPT1_PKS1_S4_S4_.has_dyn_sized_stack, 0
	.set _ZN9rocsparseL33gtsv_solve_spike_propagate_kernelILj256ELj64EfEEviiiPT1_PKS1_S4_S4_.has_recursion, 0
	.set _ZN9rocsparseL33gtsv_solve_spike_propagate_kernelILj256ELj64EfEEviiiPT1_PKS1_S4_S4_.has_indirect_call, 0
	.section	.AMDGPU.csdata,"",@progbits
; Kernel info:
; codeLenInByte = 1844
; TotalNumSgprs: 22
; NumVgprs: 13
; NumAgprs: 0
; TotalNumVgprs: 13
; ScratchSize: 0
; MemoryBound: 0
; FloatMode: 240
; IeeeMode: 1
; LDSByteSize: 6160 bytes/workgroup (compile time only)
; SGPRBlocks: 2
; VGPRBlocks: 1
; NumSGPRsForWavesPerEU: 22
; NumVGPRsForWavesPerEU: 13
; AccumOffset: 16
; Occupancy: 8
; WaveLimiterHint : 0
; COMPUTE_PGM_RSRC2:SCRATCH_EN: 0
; COMPUTE_PGM_RSRC2:USER_SGPR: 2
; COMPUTE_PGM_RSRC2:TRAP_HANDLER: 0
; COMPUTE_PGM_RSRC2:TGID_X_EN: 1
; COMPUTE_PGM_RSRC2:TGID_Y_EN: 1
; COMPUTE_PGM_RSRC2:TGID_Z_EN: 0
; COMPUTE_PGM_RSRC2:TIDIG_COMP_CNT: 0
; COMPUTE_PGM_RSRC3_GFX90A:ACCUM_OFFSET: 3
; COMPUTE_PGM_RSRC3_GFX90A:TG_SPLIT: 0
	.section	.text._ZN9rocsparseL39gtsv_spike_backward_substitution_kernelILj256ELj64EfEEviiiPT1_PKS1_S4_,"axG",@progbits,_ZN9rocsparseL39gtsv_spike_backward_substitution_kernelILj256ELj64EfEEviiiPT1_PKS1_S4_,comdat
	.globl	_ZN9rocsparseL39gtsv_spike_backward_substitution_kernelILj256ELj64EfEEviiiPT1_PKS1_S4_ ; -- Begin function _ZN9rocsparseL39gtsv_spike_backward_substitution_kernelILj256ELj64EfEEviiiPT1_PKS1_S4_
	.p2align	8
	.type	_ZN9rocsparseL39gtsv_spike_backward_substitution_kernelILj256ELj64EfEEviiiPT1_PKS1_S4_,@function
_ZN9rocsparseL39gtsv_spike_backward_substitution_kernelILj256ELj64EfEEviiiPT1_PKS1_S4_: ; @_ZN9rocsparseL39gtsv_spike_backward_substitution_kernelILj256ELj64EfEEviiiPT1_PKS1_S4_
; %bb.0:
	s_load_dword s6, s[0:1], 0x0
	s_lshl_b32 s10, s2, 8
	v_or_b32_e32 v4, s10, v0
	s_waitcnt lgkmcnt(0)
	s_lshr_b32 s11, s6, 6
	v_cmp_gt_i32_e32 vcc, s11, v4
	s_and_saveexec_b64 s[4:5], vcc
	s_cbranch_execz .LBB67_7
; %bb.1:
	s_load_dwordx2 s[8:9], s[0:1], 0x10
	v_cmp_lt_i32_e32 vcc, 0, v4
	v_mov_b32_e32 v2, 0
	s_mul_i32 s2, s6, s3
	s_and_saveexec_b64 s[4:5], vcc
	s_cbranch_execz .LBB67_3
; %bb.2:
	s_mul_i32 s7, s11, 63
	s_mul_i32 s3, s6, s3
	s_add_i32 s7, s7, s3
	v_add3_u32 v2, v4, s7, -1
	v_mov_b32_e32 v3, 0
	s_waitcnt lgkmcnt(0)
	v_lshl_add_u64 v[2:3], v[2:3], 2, s[8:9]
	global_load_dword v2, v[2:3], off
.LBB67_3:
	s_or_b64 exec, exec, s[4:5]
	v_add_u32_e32 v1, 64, v4
	v_cmp_le_u32_e32 vcc, s6, v1
	s_and_saveexec_b64 s[4:5], vcc
	s_xor_b64 s[4:5], exec, s[4:5]
	s_or_saveexec_b64 s[4:5], s[4:5]
	v_mov_b32_e32 v3, 0
	v_mov_b32_e32 v6, s2
	s_xor_b64 exec, exec, s[4:5]
	s_cbranch_execz .LBB67_5
; %bb.4:
	s_ashr_i32 s3, s2, 31
	v_ashrrev_i32_e32 v5, 31, v4
	v_lshl_add_u64 v[6:7], v[4:5], 0, s[2:3]
	s_waitcnt lgkmcnt(0)
	v_lshl_add_u64 v[6:7], v[6:7], 2, s[8:9]
	global_load_dword v3, v[6:7], off offset:4
	v_mov_b32_e32 v6, s2
.LBB67_5:
	s_or_b64 exec, exec, s[4:5]
	s_load_dwordx4 s[4:7], s[0:1], 0x18
	s_lshl_b32 s0, s11, 1
	s_add_i32 s10, s10, s11
	v_add_u32_e32 v4, s0, v4
	v_add_u32_e32 v0, s10, v0
	s_mov_b32 s1, 62
.LBB67_6:                               ; =>This Inner Loop Header: Depth=1
	v_ashrrev_i32_e32 v1, 31, v0
	v_add_u32_e32 v8, v6, v0
	v_lshlrev_b64 v[10:11], 2, v[0:1]
	v_ashrrev_i32_e32 v9, 31, v8
	s_waitcnt lgkmcnt(0)
	v_lshl_add_u64 v[12:13], s[4:5], 0, v[10:11]
	v_lshl_add_u64 v[8:9], v[8:9], 2, s[8:9]
	;; [unrolled: 1-line block ×3, first 2 shown]
	global_load_dword v14, v[12:13], off
	global_load_dword v15, v[10:11], off
	;; [unrolled: 1-line block ×3, first 2 shown]
	v_ashrrev_i32_e32 v5, 31, v4
	v_lshlrev_b64 v[12:13], 2, v[4:5]
	v_lshl_add_u64 v[16:17], s[4:5], 0, v[12:13]
	v_lshl_add_u64 v[12:13], s[6:7], 0, v[12:13]
	global_load_dword v18, v[16:17], off
	global_load_dword v19, v[12:13], off
	v_add_u32_e32 v10, v6, v4
	v_ashrrev_i32_e32 v11, 31, v10
	v_lshl_add_u64 v[10:11], v[10:11], 2, s[8:9]
	s_add_i32 s1, s1, -2
	v_add_u32_e32 v4, s0, v4
	v_add_u32_e32 v0, s0, v0
	s_cmp_lg_u32 s1, 0
	s_waitcnt vmcnt(3)
	v_pk_mul_f32 v[12:13], v[2:3], v[14:15]
	s_waitcnt vmcnt(2)
	v_sub_f32_e32 v1, v1, v12
	v_sub_f32_e32 v1, v1, v13
	global_store_dword v[8:9], v1, off
	global_load_dword v1, v[10:11], off
	s_waitcnt vmcnt(2)
	v_pk_mul_f32 v[8:9], v[2:3], v[18:19]
	s_waitcnt vmcnt(0)
	v_sub_f32_e32 v1, v1, v8
	v_sub_f32_e32 v1, v1, v9
	global_store_dword v[10:11], v1, off
	s_cbranch_scc1 .LBB67_6
.LBB67_7:
	s_endpgm
	.section	.rodata,"a",@progbits
	.p2align	6, 0x0
	.amdhsa_kernel _ZN9rocsparseL39gtsv_spike_backward_substitution_kernelILj256ELj64EfEEviiiPT1_PKS1_S4_
		.amdhsa_group_segment_fixed_size 0
		.amdhsa_private_segment_fixed_size 0
		.amdhsa_kernarg_size 40
		.amdhsa_user_sgpr_count 2
		.amdhsa_user_sgpr_dispatch_ptr 0
		.amdhsa_user_sgpr_queue_ptr 0
		.amdhsa_user_sgpr_kernarg_segment_ptr 1
		.amdhsa_user_sgpr_dispatch_id 0
		.amdhsa_user_sgpr_kernarg_preload_length 0
		.amdhsa_user_sgpr_kernarg_preload_offset 0
		.amdhsa_user_sgpr_private_segment_size 0
		.amdhsa_uses_dynamic_stack 0
		.amdhsa_enable_private_segment 0
		.amdhsa_system_sgpr_workgroup_id_x 1
		.amdhsa_system_sgpr_workgroup_id_y 1
		.amdhsa_system_sgpr_workgroup_id_z 0
		.amdhsa_system_sgpr_workgroup_info 0
		.amdhsa_system_vgpr_workitem_id 0
		.amdhsa_next_free_vgpr 20
		.amdhsa_next_free_sgpr 12
		.amdhsa_accum_offset 20
		.amdhsa_reserve_vcc 1
		.amdhsa_float_round_mode_32 0
		.amdhsa_float_round_mode_16_64 0
		.amdhsa_float_denorm_mode_32 3
		.amdhsa_float_denorm_mode_16_64 3
		.amdhsa_dx10_clamp 1
		.amdhsa_ieee_mode 1
		.amdhsa_fp16_overflow 0
		.amdhsa_tg_split 0
		.amdhsa_exception_fp_ieee_invalid_op 0
		.amdhsa_exception_fp_denorm_src 0
		.amdhsa_exception_fp_ieee_div_zero 0
		.amdhsa_exception_fp_ieee_overflow 0
		.amdhsa_exception_fp_ieee_underflow 0
		.amdhsa_exception_fp_ieee_inexact 0
		.amdhsa_exception_int_div_zero 0
	.end_amdhsa_kernel
	.section	.text._ZN9rocsparseL39gtsv_spike_backward_substitution_kernelILj256ELj64EfEEviiiPT1_PKS1_S4_,"axG",@progbits,_ZN9rocsparseL39gtsv_spike_backward_substitution_kernelILj256ELj64EfEEviiiPT1_PKS1_S4_,comdat
.Lfunc_end67:
	.size	_ZN9rocsparseL39gtsv_spike_backward_substitution_kernelILj256ELj64EfEEviiiPT1_PKS1_S4_, .Lfunc_end67-_ZN9rocsparseL39gtsv_spike_backward_substitution_kernelILj256ELj64EfEEviiiPT1_PKS1_S4_
                                        ; -- End function
	.set _ZN9rocsparseL39gtsv_spike_backward_substitution_kernelILj256ELj64EfEEviiiPT1_PKS1_S4_.num_vgpr, 20
	.set _ZN9rocsparseL39gtsv_spike_backward_substitution_kernelILj256ELj64EfEEviiiPT1_PKS1_S4_.num_agpr, 0
	.set _ZN9rocsparseL39gtsv_spike_backward_substitution_kernelILj256ELj64EfEEviiiPT1_PKS1_S4_.numbered_sgpr, 12
	.set _ZN9rocsparseL39gtsv_spike_backward_substitution_kernelILj256ELj64EfEEviiiPT1_PKS1_S4_.num_named_barrier, 0
	.set _ZN9rocsparseL39gtsv_spike_backward_substitution_kernelILj256ELj64EfEEviiiPT1_PKS1_S4_.private_seg_size, 0
	.set _ZN9rocsparseL39gtsv_spike_backward_substitution_kernelILj256ELj64EfEEviiiPT1_PKS1_S4_.uses_vcc, 1
	.set _ZN9rocsparseL39gtsv_spike_backward_substitution_kernelILj256ELj64EfEEviiiPT1_PKS1_S4_.uses_flat_scratch, 0
	.set _ZN9rocsparseL39gtsv_spike_backward_substitution_kernelILj256ELj64EfEEviiiPT1_PKS1_S4_.has_dyn_sized_stack, 0
	.set _ZN9rocsparseL39gtsv_spike_backward_substitution_kernelILj256ELj64EfEEviiiPT1_PKS1_S4_.has_recursion, 0
	.set _ZN9rocsparseL39gtsv_spike_backward_substitution_kernelILj256ELj64EfEEviiiPT1_PKS1_S4_.has_indirect_call, 0
	.section	.AMDGPU.csdata,"",@progbits
; Kernel info:
; codeLenInByte = 448
; TotalNumSgprs: 18
; NumVgprs: 20
; NumAgprs: 0
; TotalNumVgprs: 20
; ScratchSize: 0
; MemoryBound: 0
; FloatMode: 240
; IeeeMode: 1
; LDSByteSize: 0 bytes/workgroup (compile time only)
; SGPRBlocks: 2
; VGPRBlocks: 2
; NumSGPRsForWavesPerEU: 18
; NumVGPRsForWavesPerEU: 20
; AccumOffset: 20
; Occupancy: 8
; WaveLimiterHint : 0
; COMPUTE_PGM_RSRC2:SCRATCH_EN: 0
; COMPUTE_PGM_RSRC2:USER_SGPR: 2
; COMPUTE_PGM_RSRC2:TRAP_HANDLER: 0
; COMPUTE_PGM_RSRC2:TGID_X_EN: 1
; COMPUTE_PGM_RSRC2:TGID_Y_EN: 1
; COMPUTE_PGM_RSRC2:TGID_Z_EN: 0
; COMPUTE_PGM_RSRC2:TIDIG_COMP_CNT: 0
; COMPUTE_PGM_RSRC3_GFX90A:ACCUM_OFFSET: 4
; COMPUTE_PGM_RSRC3_GFX90A:TG_SPLIT: 0
	.section	.text._ZN9rocsparseL32gtsv_transpose_back_array_kernelILj256ELj64EfEEviiiPKT1_PS1_,"axG",@progbits,_ZN9rocsparseL32gtsv_transpose_back_array_kernelILj256ELj64EfEEviiiPKT1_PS1_,comdat
	.globl	_ZN9rocsparseL32gtsv_transpose_back_array_kernelILj256ELj64EfEEviiiPKT1_PS1_ ; -- Begin function _ZN9rocsparseL32gtsv_transpose_back_array_kernelILj256ELj64EfEEviiiPKT1_PS1_
	.p2align	8
	.type	_ZN9rocsparseL32gtsv_transpose_back_array_kernelILj256ELj64EfEEviiiPKT1_PS1_,@function
_ZN9rocsparseL32gtsv_transpose_back_array_kernelILj256ELj64EfEEviiiPKT1_PS1_: ; @_ZN9rocsparseL32gtsv_transpose_back_array_kernelILj256ELj64EfEEviiiPKT1_PS1_
; %bb.0:
	s_load_dwordx4 s[4:7], s[0:1], 0x0
	v_lshl_or_b32 v0, s2, 8, v0
	v_lshlrev_b32_e32 v2, 6, v0
	s_waitcnt lgkmcnt(0)
	v_cvt_f32_u32_e32 v1, s5
	s_sub_i32 s2, 0, s5
	v_rcp_iflag_f32_e32 v1, v1
	s_nop 0
	v_mul_f32_e32 v1, 0x4f7ffffe, v1
	v_cvt_u32_f32_e32 v1, v1
	v_mul_lo_u32 v3, s2, v1
	v_mul_hi_u32 v3, v1, v3
	v_add_u32_e32 v1, v1, v3
	v_mul_hi_u32 v1, v2, v1
	v_mul_lo_u32 v3, v1, s5
	v_sub_u32_e32 v3, v2, v3
	v_add_u32_e32 v4, 1, v1
	v_cmp_le_u32_e32 vcc, s5, v3
	s_nop 1
	v_cndmask_b32_e32 v1, v1, v4, vcc
	v_subrev_u32_e32 v4, s5, v3
	v_cndmask_b32_e32 v3, v3, v4, vcc
	v_add_u32_e32 v4, 1, v1
	v_cmp_le_u32_e32 vcc, s5, v3
	s_nop 1
	v_cndmask_b32_e32 v1, v1, v4, vcc
	v_mul_lo_u32 v3, v1, s5
	v_sub_u32_e32 v2, v2, v3
	v_add_u32_e32 v1, v1, v2
	v_cmp_gt_i32_e32 vcc, s4, v1
	s_and_saveexec_b64 s[8:9], vcc
	s_cbranch_execz .LBB68_2
; %bb.1:
	s_load_dwordx4 s[8:11], s[0:1], 0x10
	s_mul_i32 s0, s5, s3
	v_add_u32_e32 v2, s0, v0
	v_ashrrev_i32_e32 v3, 31, v2
	s_mul_i32 s0, s6, s3
	s_waitcnt lgkmcnt(0)
	v_lshl_add_u64 v[2:3], v[2:3], 2, s[8:9]
	global_load_dword v2, v[2:3], off
	v_add_u32_e32 v0, s0, v1
	v_ashrrev_i32_e32 v1, 31, v0
	v_lshl_add_u64 v[0:1], v[0:1], 2, s[10:11]
	s_waitcnt vmcnt(0)
	global_store_dword v[0:1], v2, off
.LBB68_2:
	s_endpgm
	.section	.rodata,"a",@progbits
	.p2align	6, 0x0
	.amdhsa_kernel _ZN9rocsparseL32gtsv_transpose_back_array_kernelILj256ELj64EfEEviiiPKT1_PS1_
		.amdhsa_group_segment_fixed_size 0
		.amdhsa_private_segment_fixed_size 0
		.amdhsa_kernarg_size 32
		.amdhsa_user_sgpr_count 2
		.amdhsa_user_sgpr_dispatch_ptr 0
		.amdhsa_user_sgpr_queue_ptr 0
		.amdhsa_user_sgpr_kernarg_segment_ptr 1
		.amdhsa_user_sgpr_dispatch_id 0
		.amdhsa_user_sgpr_kernarg_preload_length 0
		.amdhsa_user_sgpr_kernarg_preload_offset 0
		.amdhsa_user_sgpr_private_segment_size 0
		.amdhsa_uses_dynamic_stack 0
		.amdhsa_enable_private_segment 0
		.amdhsa_system_sgpr_workgroup_id_x 1
		.amdhsa_system_sgpr_workgroup_id_y 1
		.amdhsa_system_sgpr_workgroup_id_z 0
		.amdhsa_system_sgpr_workgroup_info 0
		.amdhsa_system_vgpr_workitem_id 0
		.amdhsa_next_free_vgpr 5
		.amdhsa_next_free_sgpr 12
		.amdhsa_accum_offset 8
		.amdhsa_reserve_vcc 1
		.amdhsa_float_round_mode_32 0
		.amdhsa_float_round_mode_16_64 0
		.amdhsa_float_denorm_mode_32 3
		.amdhsa_float_denorm_mode_16_64 3
		.amdhsa_dx10_clamp 1
		.amdhsa_ieee_mode 1
		.amdhsa_fp16_overflow 0
		.amdhsa_tg_split 0
		.amdhsa_exception_fp_ieee_invalid_op 0
		.amdhsa_exception_fp_denorm_src 0
		.amdhsa_exception_fp_ieee_div_zero 0
		.amdhsa_exception_fp_ieee_overflow 0
		.amdhsa_exception_fp_ieee_underflow 0
		.amdhsa_exception_fp_ieee_inexact 0
		.amdhsa_exception_int_div_zero 0
	.end_amdhsa_kernel
	.section	.text._ZN9rocsparseL32gtsv_transpose_back_array_kernelILj256ELj64EfEEviiiPKT1_PS1_,"axG",@progbits,_ZN9rocsparseL32gtsv_transpose_back_array_kernelILj256ELj64EfEEviiiPKT1_PS1_,comdat
.Lfunc_end68:
	.size	_ZN9rocsparseL32gtsv_transpose_back_array_kernelILj256ELj64EfEEviiiPKT1_PS1_, .Lfunc_end68-_ZN9rocsparseL32gtsv_transpose_back_array_kernelILj256ELj64EfEEviiiPKT1_PS1_
                                        ; -- End function
	.set _ZN9rocsparseL32gtsv_transpose_back_array_kernelILj256ELj64EfEEviiiPKT1_PS1_.num_vgpr, 5
	.set _ZN9rocsparseL32gtsv_transpose_back_array_kernelILj256ELj64EfEEviiiPKT1_PS1_.num_agpr, 0
	.set _ZN9rocsparseL32gtsv_transpose_back_array_kernelILj256ELj64EfEEviiiPKT1_PS1_.numbered_sgpr, 12
	.set _ZN9rocsparseL32gtsv_transpose_back_array_kernelILj256ELj64EfEEviiiPKT1_PS1_.num_named_barrier, 0
	.set _ZN9rocsparseL32gtsv_transpose_back_array_kernelILj256ELj64EfEEviiiPKT1_PS1_.private_seg_size, 0
	.set _ZN9rocsparseL32gtsv_transpose_back_array_kernelILj256ELj64EfEEviiiPKT1_PS1_.uses_vcc, 1
	.set _ZN9rocsparseL32gtsv_transpose_back_array_kernelILj256ELj64EfEEviiiPKT1_PS1_.uses_flat_scratch, 0
	.set _ZN9rocsparseL32gtsv_transpose_back_array_kernelILj256ELj64EfEEviiiPKT1_PS1_.has_dyn_sized_stack, 0
	.set _ZN9rocsparseL32gtsv_transpose_back_array_kernelILj256ELj64EfEEviiiPKT1_PS1_.has_recursion, 0
	.set _ZN9rocsparseL32gtsv_transpose_back_array_kernelILj256ELj64EfEEviiiPKT1_PS1_.has_indirect_call, 0
	.section	.AMDGPU.csdata,"",@progbits
; Kernel info:
; codeLenInByte = 236
; TotalNumSgprs: 18
; NumVgprs: 5
; NumAgprs: 0
; TotalNumVgprs: 5
; ScratchSize: 0
; MemoryBound: 0
; FloatMode: 240
; IeeeMode: 1
; LDSByteSize: 0 bytes/workgroup (compile time only)
; SGPRBlocks: 2
; VGPRBlocks: 0
; NumSGPRsForWavesPerEU: 18
; NumVGPRsForWavesPerEU: 5
; AccumOffset: 8
; Occupancy: 8
; WaveLimiterHint : 0
; COMPUTE_PGM_RSRC2:SCRATCH_EN: 0
; COMPUTE_PGM_RSRC2:USER_SGPR: 2
; COMPUTE_PGM_RSRC2:TRAP_HANDLER: 0
; COMPUTE_PGM_RSRC2:TGID_X_EN: 1
; COMPUTE_PGM_RSRC2:TGID_Y_EN: 1
; COMPUTE_PGM_RSRC2:TGID_Z_EN: 0
; COMPUTE_PGM_RSRC2:TIDIG_COMP_CNT: 0
; COMPUTE_PGM_RSRC3_GFX90A:ACCUM_OFFSET: 1
; COMPUTE_PGM_RSRC3_GFX90A:TG_SPLIT: 0
	.section	.text._ZN9rocsparseL42gtsv_transpose_and_pad_array_shared_kernelILj256ELj128EfEEviiiPKT1_PS1_S1_,"axG",@progbits,_ZN9rocsparseL42gtsv_transpose_and_pad_array_shared_kernelILj256ELj128EfEEviiiPKT1_PS1_S1_,comdat
	.globl	_ZN9rocsparseL42gtsv_transpose_and_pad_array_shared_kernelILj256ELj128EfEEviiiPKT1_PS1_S1_ ; -- Begin function _ZN9rocsparseL42gtsv_transpose_and_pad_array_shared_kernelILj256ELj128EfEEviiiPKT1_PS1_S1_
	.p2align	8
	.type	_ZN9rocsparseL42gtsv_transpose_and_pad_array_shared_kernelILj256ELj128EfEEviiiPKT1_PS1_S1_,@function
_ZN9rocsparseL42gtsv_transpose_and_pad_array_shared_kernelILj256ELj128EfEEviiiPKT1_PS1_S1_: ; @_ZN9rocsparseL42gtsv_transpose_and_pad_array_shared_kernelILj256ELj128EfEEviiiPKT1_PS1_S1_
; %bb.0:
	s_load_dwordx4 s[4:7], s[0:1], 0x0
	s_waitcnt lgkmcnt(0)
	s_load_dword s7, s[0:1], 0x20
	v_lshl_or_b32 v1, s2, 8, v0
	v_cmp_gt_i32_e32 vcc, s4, v1
	s_waitcnt lgkmcnt(0)
	v_mov_b32_e32 v4, s7
	s_and_saveexec_b64 s[8:9], vcc
	s_cbranch_execz .LBB69_2
; %bb.1:
	s_load_dwordx2 s[10:11], s[0:1], 0x10
	s_mul_i32 s4, s6, s3
	v_add_u32_e32 v2, s4, v1
	v_ashrrev_i32_e32 v3, 31, v2
	s_waitcnt lgkmcnt(0)
	v_lshl_add_u64 v[2:3], v[2:3], 2, s[10:11]
	global_load_dword v4, v[2:3], off
.LBB69_2:
	s_or_b64 exec, exec, s[8:9]
	v_lshrrev_b32_e32 v2, 1, v0
	v_and_b32_e32 v3, 1, v0
	v_lshlrev_b32_e32 v0, 2, v0
	s_waitcnt vmcnt(0)
	ds_write_b32 v0, v4
	s_lshr_b32 s4, s5, 7
	v_lshl_or_b32 v0, s2, 1, v3
	v_mad_u64_u32 v[0:1], s[6:7], s4, v2, v[0:1]
	v_cmp_gt_i32_e32 vcc, s5, v0
	s_waitcnt lgkmcnt(0)
	s_barrier
	s_and_saveexec_b64 s[6:7], vcc
	s_cbranch_execz .LBB69_4
; %bb.3:
	v_lshlrev_b32_e32 v1, 2, v2
	s_load_dwordx2 s[0:1], s[0:1], 0x18
	v_lshl_or_b32 v1, v3, 9, v1
	ds_read_b32 v2, v1
	s_mul_i32 s2, s5, s3
	v_add_u32_e32 v0, s2, v0
	v_ashrrev_i32_e32 v1, 31, v0
	s_waitcnt lgkmcnt(0)
	v_lshl_add_u64 v[0:1], v[0:1], 2, s[0:1]
	global_store_dword v[0:1], v2, off
.LBB69_4:
	s_endpgm
	.section	.rodata,"a",@progbits
	.p2align	6, 0x0
	.amdhsa_kernel _ZN9rocsparseL42gtsv_transpose_and_pad_array_shared_kernelILj256ELj128EfEEviiiPKT1_PS1_S1_
		.amdhsa_group_segment_fixed_size 1024
		.amdhsa_private_segment_fixed_size 0
		.amdhsa_kernarg_size 36
		.amdhsa_user_sgpr_count 2
		.amdhsa_user_sgpr_dispatch_ptr 0
		.amdhsa_user_sgpr_queue_ptr 0
		.amdhsa_user_sgpr_kernarg_segment_ptr 1
		.amdhsa_user_sgpr_dispatch_id 0
		.amdhsa_user_sgpr_kernarg_preload_length 0
		.amdhsa_user_sgpr_kernarg_preload_offset 0
		.amdhsa_user_sgpr_private_segment_size 0
		.amdhsa_uses_dynamic_stack 0
		.amdhsa_enable_private_segment 0
		.amdhsa_system_sgpr_workgroup_id_x 1
		.amdhsa_system_sgpr_workgroup_id_y 1
		.amdhsa_system_sgpr_workgroup_id_z 0
		.amdhsa_system_sgpr_workgroup_info 0
		.amdhsa_system_vgpr_workitem_id 0
		.amdhsa_next_free_vgpr 5
		.amdhsa_next_free_sgpr 12
		.amdhsa_accum_offset 8
		.amdhsa_reserve_vcc 1
		.amdhsa_float_round_mode_32 0
		.amdhsa_float_round_mode_16_64 0
		.amdhsa_float_denorm_mode_32 3
		.amdhsa_float_denorm_mode_16_64 3
		.amdhsa_dx10_clamp 1
		.amdhsa_ieee_mode 1
		.amdhsa_fp16_overflow 0
		.amdhsa_tg_split 0
		.amdhsa_exception_fp_ieee_invalid_op 0
		.amdhsa_exception_fp_denorm_src 0
		.amdhsa_exception_fp_ieee_div_zero 0
		.amdhsa_exception_fp_ieee_overflow 0
		.amdhsa_exception_fp_ieee_underflow 0
		.amdhsa_exception_fp_ieee_inexact 0
		.amdhsa_exception_int_div_zero 0
	.end_amdhsa_kernel
	.section	.text._ZN9rocsparseL42gtsv_transpose_and_pad_array_shared_kernelILj256ELj128EfEEviiiPKT1_PS1_S1_,"axG",@progbits,_ZN9rocsparseL42gtsv_transpose_and_pad_array_shared_kernelILj256ELj128EfEEviiiPKT1_PS1_S1_,comdat
.Lfunc_end69:
	.size	_ZN9rocsparseL42gtsv_transpose_and_pad_array_shared_kernelILj256ELj128EfEEviiiPKT1_PS1_S1_, .Lfunc_end69-_ZN9rocsparseL42gtsv_transpose_and_pad_array_shared_kernelILj256ELj128EfEEviiiPKT1_PS1_S1_
                                        ; -- End function
	.set _ZN9rocsparseL42gtsv_transpose_and_pad_array_shared_kernelILj256ELj128EfEEviiiPKT1_PS1_S1_.num_vgpr, 5
	.set _ZN9rocsparseL42gtsv_transpose_and_pad_array_shared_kernelILj256ELj128EfEEviiiPKT1_PS1_S1_.num_agpr, 0
	.set _ZN9rocsparseL42gtsv_transpose_and_pad_array_shared_kernelILj256ELj128EfEEviiiPKT1_PS1_S1_.numbered_sgpr, 12
	.set _ZN9rocsparseL42gtsv_transpose_and_pad_array_shared_kernelILj256ELj128EfEEviiiPKT1_PS1_S1_.num_named_barrier, 0
	.set _ZN9rocsparseL42gtsv_transpose_and_pad_array_shared_kernelILj256ELj128EfEEviiiPKT1_PS1_S1_.private_seg_size, 0
	.set _ZN9rocsparseL42gtsv_transpose_and_pad_array_shared_kernelILj256ELj128EfEEviiiPKT1_PS1_S1_.uses_vcc, 1
	.set _ZN9rocsparseL42gtsv_transpose_and_pad_array_shared_kernelILj256ELj128EfEEviiiPKT1_PS1_S1_.uses_flat_scratch, 0
	.set _ZN9rocsparseL42gtsv_transpose_and_pad_array_shared_kernelILj256ELj128EfEEviiiPKT1_PS1_S1_.has_dyn_sized_stack, 0
	.set _ZN9rocsparseL42gtsv_transpose_and_pad_array_shared_kernelILj256ELj128EfEEviiiPKT1_PS1_S1_.has_recursion, 0
	.set _ZN9rocsparseL42gtsv_transpose_and_pad_array_shared_kernelILj256ELj128EfEEviiiPKT1_PS1_S1_.has_indirect_call, 0
	.section	.AMDGPU.csdata,"",@progbits
; Kernel info:
; codeLenInByte = 220
; TotalNumSgprs: 18
; NumVgprs: 5
; NumAgprs: 0
; TotalNumVgprs: 5
; ScratchSize: 0
; MemoryBound: 0
; FloatMode: 240
; IeeeMode: 1
; LDSByteSize: 1024 bytes/workgroup (compile time only)
; SGPRBlocks: 2
; VGPRBlocks: 0
; NumSGPRsForWavesPerEU: 18
; NumVGPRsForWavesPerEU: 5
; AccumOffset: 8
; Occupancy: 8
; WaveLimiterHint : 0
; COMPUTE_PGM_RSRC2:SCRATCH_EN: 0
; COMPUTE_PGM_RSRC2:USER_SGPR: 2
; COMPUTE_PGM_RSRC2:TRAP_HANDLER: 0
; COMPUTE_PGM_RSRC2:TGID_X_EN: 1
; COMPUTE_PGM_RSRC2:TGID_Y_EN: 1
; COMPUTE_PGM_RSRC2:TGID_Z_EN: 0
; COMPUTE_PGM_RSRC2:TIDIG_COMP_CNT: 0
; COMPUTE_PGM_RSRC3_GFX90A:ACCUM_OFFSET: 1
; COMPUTE_PGM_RSRC3_GFX90A:TG_SPLIT: 0
	.section	.text._ZN9rocsparseL18gtsv_LBM_wv_kernelILj256ELj128EfEEviiiPKT1_S3_S3_PS1_S4_S4_Pi,"axG",@progbits,_ZN9rocsparseL18gtsv_LBM_wv_kernelILj256ELj128EfEEviiiPKT1_S3_S3_PS1_S4_S4_Pi,comdat
	.globl	_ZN9rocsparseL18gtsv_LBM_wv_kernelILj256ELj128EfEEviiiPKT1_S3_S3_PS1_S4_S4_Pi ; -- Begin function _ZN9rocsparseL18gtsv_LBM_wv_kernelILj256ELj128EfEEviiiPKT1_S3_S3_PS1_S4_S4_Pi
	.p2align	8
	.type	_ZN9rocsparseL18gtsv_LBM_wv_kernelILj256ELj128EfEEviiiPKT1_S3_S3_PS1_S4_S4_Pi,@function
_ZN9rocsparseL18gtsv_LBM_wv_kernelILj256ELj128EfEEviiiPKT1_S3_S3_PS1_S4_S4_Pi: ; @_ZN9rocsparseL18gtsv_LBM_wv_kernelILj256ELj128EfEEviiiPKT1_S3_S3_PS1_S4_S4_Pi
; %bb.0:
	s_load_dword s27, s[0:1], 0x0
	v_lshl_or_b32 v0, s2, 8, v0
	s_waitcnt lgkmcnt(0)
	s_lshr_b32 s26, s27, 7
	v_cmp_gt_i32_e32 vcc, s26, v0
	s_and_saveexec_b64 s[2:3], vcc
	s_cbranch_execz .LBB70_30
; %bb.1:
	s_load_dwordx2 s[16:17], s[0:1], 0x10
	s_load_dwordx8 s[8:15], s[0:1], 0x20
	v_ashrrev_i32_e32 v1, 31, v0
	v_lshlrev_b64 v[2:3], 2, v[0:1]
	s_mul_i32 s28, s26, 0x7f
	s_waitcnt lgkmcnt(0)
	v_lshl_add_u64 v[4:5], s[16:17], 0, v[2:3]
	global_load_dword v10, v[4:5], off
	v_add_u32_e32 v4, s28, v0
	v_mov_b32_e32 v5, 0
	v_lshlrev_b64 v[6:7], 2, v[4:5]
	v_lshl_add_u64 v[8:9], s[8:9], 0, v[6:7]
	global_load_dword v4, v[8:9], off
	s_load_dwordx2 s[6:7], s[0:1], 0x40
	v_lshl_add_u64 v[2:3], s[10:11], 0, v[2:3]
	s_cmp_lt_i32 s27, 1
	v_add_u32_e32 v13, s26, v0
	v_lshl_add_u64 v[6:7], s[12:13], 0, v[6:7]
	s_waitcnt vmcnt(1)
	global_store_dword v[2:3], v10, off
	s_waitcnt vmcnt(1)
	global_store_dword v[6:7], v4, off
	v_mov_b32_e32 v4, v5
	s_cbranch_scc1 .LBB70_23
; %bb.2:
	s_load_dwordx2 s[18:19], s[0:1], 0x18
	s_mov_b32 s22, 0x372fe950
	s_mul_i32 s29, s26, 0x7e
	s_lshl_b32 s30, s26, 1
	s_mov_b64 s[20:21], 0
	s_waitcnt lgkmcnt(0)
	v_lshl_add_u64 v[4:5], v[0:1], 2, s[18:19]
	global_load_dword v6, v[4:5], off
	v_add_u32_e32 v1, s26, v13
	v_mov_b32_e32 v4, 0
	s_mov_b32 s23, 0x3fe3c6ef
	v_mov_b32_e32 v24, 2
	v_mov_b32_e32 v25, 1
	s_branch .LBB70_5
.LBB70_3:                               ;   in Loop: Header=BB70_5 Depth=1
	s_or_b64 exec, exec, s[4:5]
	v_fma_f32 v6, -v6, v27, v8
	v_mov_b32_e32 v5, s26
.LBB70_4:                               ;   in Loop: Header=BB70_5 Depth=1
	s_or_b64 exec, exec, s[2:3]
	v_add_u32_e32 v4, v5, v4
	v_cmp_le_i32_e32 vcc, s27, v4
	s_or_b64 s[20:21], vcc, s[20:21]
	s_andn2_b64 exec, exec, s[20:21]
	s_cbranch_execz .LBB70_22
.LBB70_5:                               ; =>This Inner Loop Header: Depth=1
	v_add_u32_e32 v10, v4, v0
	v_ashrrev_i32_e32 v11, 31, v10
	v_lshl_add_u64 v[8:9], v[10:11], 2, s[8:9]
	global_load_dword v9, v[8:9], off
	v_cmp_gt_u32_e64 s[0:1], s28, v4
	v_mov_b32_e32 v7, 0
	s_and_saveexec_b64 s[2:3], s[0:1]
	s_cbranch_execz .LBB70_7
; %bb.6:                                ;   in Loop: Header=BB70_5 Depth=1
	v_add_u32_e32 v14, v13, v4
	v_ashrrev_i32_e32 v15, 31, v14
	v_lshl_add_u64 v[14:15], v[14:15], 2, s[16:17]
	global_load_dword v7, v[14:15], off
.LBB70_7:                               ;   in Loop: Header=BB70_5 Depth=1
	s_or_b64 exec, exec, s[2:3]
	v_mov_b32_e32 v26, 0
	v_mov_b32_e32 v8, 0
	s_and_saveexec_b64 s[2:3], s[0:1]
	s_cbranch_execz .LBB70_9
; %bb.8:                                ;   in Loop: Header=BB70_5 Depth=1
	v_add_u32_e32 v14, v13, v4
	v_ashrrev_i32_e32 v15, 31, v14
	v_lshl_add_u64 v[14:15], v[14:15], 2, s[18:19]
	global_load_dword v8, v[14:15], off
.LBB70_9:                               ;   in Loop: Header=BB70_5 Depth=1
	s_or_b64 exec, exec, s[2:3]
	s_and_saveexec_b64 s[2:3], s[0:1]
	s_cbranch_execz .LBB70_11
; %bb.10:                               ;   in Loop: Header=BB70_5 Depth=1
	v_add_u32_e32 v14, v13, v4
	v_ashrrev_i32_e32 v15, 31, v14
	v_lshl_add_u64 v[14:15], v[14:15], 2, s[8:9]
	global_load_dword v26, v[14:15], off
.LBB70_11:                              ;   in Loop: Header=BB70_5 Depth=1
	s_or_b64 exec, exec, s[2:3]
	v_cmp_gt_u32_e64 s[2:3], s29, v4
	v_mov_b32_e32 v12, 0
	s_and_saveexec_b64 s[4:5], s[2:3]
	s_cbranch_execz .LBB70_13
; %bb.12:                               ;   in Loop: Header=BB70_5 Depth=1
	v_add_u32_e32 v14, v1, v4
	v_ashrrev_i32_e32 v15, 31, v14
	v_lshl_add_u64 v[14:15], v[14:15], 2, s[16:17]
	global_load_dword v12, v[14:15], off
.LBB70_13:                              ;   in Loop: Header=BB70_5 Depth=1
	s_or_b64 exec, exec, s[4:5]
	s_waitcnt vmcnt(0)
	v_cmp_gt_f32_e32 vcc, 0, v7
	v_mul_f32_e32 v27, v9, v7
	v_cmp_ne_u32_e64 s[4:5], s28, v4
	v_cndmask_b32_e64 v5, v7, -v7, vcc
	v_cmp_gt_f32_e32 vcc, 0, v12
	s_nop 1
	v_cndmask_b32_e64 v14, v12, -v12, vcc
	v_cmp_lt_f32_e32 vcc, v5, v14
	s_nop 1
	v_cndmask_b32_e32 v5, v5, v14, vcc
	v_cmp_gt_f32_e32 vcc, 0, v8
	s_nop 1
	v_cndmask_b32_e64 v14, v8, -v8, vcc
	v_cmp_lt_f32_e32 vcc, v14, v5
	s_nop 1
	v_cndmask_b32_e32 v5, v14, v5, vcc
	;; [unrolled: 6-line block ×4, first 2 shown]
	v_cmp_gt_f32_e32 vcc, 0, v6
	v_cvt_f64_f32_e32 v[14:15], v5
	s_nop 0
	v_cndmask_b32_e64 v5, v6, -v6, vcc
	v_cmp_gt_f32_e32 vcc, 0, v27
	v_cvt_f64_f32_e32 v[16:17], v5
	v_mul_f64 v[14:15], v[16:17], v[14:15]
	v_cndmask_b32_e64 v5, v27, -v27, vcc
	v_cvt_f64_f32_e32 v[16:17], v5
	v_mul_f64 v[16:17], v[16:17], s[22:23]
	v_cmp_nge_f64_e32 vcc, v[14:15], v[16:17]
	s_and_b64 s[4:5], s[4:5], vcc
	s_and_saveexec_b64 s[24:25], s[4:5]
	s_xor_b64 s[4:5], exec, s[24:25]
	s_cbranch_execz .LBB70_19
; %bb.14:                               ;   in Loop: Header=BB70_5 Depth=1
	v_add_u32_e32 v16, v13, v4
	v_ashrrev_i32_e32 v17, 31, v16
	v_ashrrev_i32_e32 v5, 31, v4
	v_lshlrev_b64 v[16:17], 2, v[16:17]
	v_lshl_add_u64 v[28:29], v[4:5], 2, v[2:3]
	v_lshl_add_u64 v[20:21], s[10:11], 0, v[16:17]
	v_lshlrev_b64 v[10:11], 2, v[10:11]
	global_load_dword v14, v[28:29], off
	global_load_dword v15, v[20:21], off
	v_lshl_add_u64 v[30:31], s[12:13], 0, v[10:11]
	v_lshl_add_u64 v[18:19], s[12:13], 0, v[16:17]
	global_load_dword v22, v[30:31], off
	global_load_dword v23, v[18:19], off
	v_fma_f32 v5, v6, v8, -v27
	v_div_scale_f32 v36, s[24:25], v5, v5, 1.0
	v_rcp_f32_e32 v37, v36
	v_lshl_add_u64 v[32:33], s[14:15], 0, v[10:11]
	v_lshl_add_u64 v[34:35], s[6:7], 0, v[10:11]
	v_div_scale_f32 v38, vcc, 1.0, v5, 1.0
	v_fma_f32 v10, -v36, v37, 1.0
	v_fmac_f32_e32 v37, v10, v37
	v_mul_f32_e32 v10, v38, v37
	v_fma_f32 v11, -v36, v10, v38
	v_fmac_f32_e32 v10, v11, v37
	v_fma_f32 v11, -v36, v10, v38
	v_div_fmas_f32 v10, v11, v37, v10
	v_mul_f32_e64 v27, v26, -v9
	v_div_fixup_f32 v10, v10, v5, 1.0
	v_mul_f32_e32 v5, v10, v27
	global_store_dword v[32:33], v5, off
	s_waitcnt vmcnt(3)
	v_pk_mul_f32 v[32:33], v[8:9], v[14:15]
	s_nop 0
	v_sub_f32_e32 v5, v32, v33
	v_mul_f32_e32 v5, v10, v5
	s_waitcnt vmcnt(1)
	v_pk_mul_f32 v[8:9], v[8:9], v[22:23]
	s_nop 0
	v_sub_f32_e32 v8, v8, v9
	v_mul_f32_e32 v8, v10, v8
	global_store_dword v[28:29], v5, off
	global_store_dword v[30:31], v8, off
	;; [unrolled: 1-line block ×3, first 2 shown]
	s_and_saveexec_b64 s[24:25], s[0:1]
	s_cbranch_execz .LBB70_16
; %bb.15:                               ;   in Loop: Header=BB70_5 Depth=1
	v_mov_b32_e32 v8, v15
	v_mov_b32_e32 v9, v14
	v_pk_mul_f32 v[8:9], v[6:7], v[8:9]
	s_nop 0
	v_sub_f32_e32 v5, v8, v9
	v_mov_b32_e32 v8, v23
	v_mov_b32_e32 v9, v22
	v_mul_f32_e32 v5, v10, v5
	v_pk_mul_f32 v[8:9], v[6:7], v[8:9]
	global_store_dword v[20:21], v5, off
	v_sub_f32_e32 v5, v8, v9
	v_mul_f32_e32 v5, v10, v5
	global_store_dword v[18:19], v5, off
	v_mul_f32_e32 v5, v6, v26
	v_mul_f32_e32 v5, v10, v5
	v_lshl_add_u64 v[8:9], s[14:15], 0, v[16:17]
	global_store_dword v[8:9], v5, off
	v_lshl_add_u64 v[8:9], s[6:7], 0, v[16:17]
	global_store_dword v[8:9], v24, off
.LBB70_16:                              ;   in Loop: Header=BB70_5 Depth=1
	s_or_b64 exec, exec, s[24:25]
	v_mov_b32_e32 v5, 0
	s_and_saveexec_b64 s[24:25], s[2:3]
	s_cbranch_execz .LBB70_18
; %bb.17:                               ;   in Loop: Header=BB70_5 Depth=1
	v_add_u32_e32 v8, v1, v4
	v_ashrrev_i32_e32 v9, 31, v8
	v_lshlrev_b64 v[8:9], 2, v[8:9]
	v_lshl_add_u64 v[16:17], s[10:11], 0, v[8:9]
	v_lshl_add_u64 v[8:9], s[18:19], 0, v[8:9]
	global_load_dword v11, v[8:9], off
	global_load_dword v5, v[16:17], off
	v_xor_b32_e32 v8, 0x80000000, v7
	v_mov_b32_e32 v9, v6
	v_pk_mul_f32 v[6:7], v[12:13], v[8:9] op_sel_hi:[0,1]
	v_mul_f32_e32 v12, v26, v7
	s_waitcnt vmcnt(1)
	v_pk_mul_f32 v[8:9], v[6:7], v[10:11] op_sel_hi:[1,0] neg_lo:[0,1]
	s_nop 0
	v_pk_mul_f32 v[6:7], v[8:9], v[14:15]
	s_nop 0
	v_sub_f32_e32 v6, v6, v7
	s_waitcnt vmcnt(0)
	v_add_f32_e32 v5, v6, v5
	global_store_dword v[16:17], v5, off
	v_fma_f32 v5, -v10, v12, v11
.LBB70_18:                              ;   in Loop: Header=BB70_5 Depth=1
	s_or_b64 exec, exec, s[24:25]
	v_mov_b32_e32 v6, v5
                                        ; implicit-def: $vgpr27
                                        ; implicit-def: $vgpr8
                                        ; implicit-def: $vgpr10_vgpr11
.LBB70_19:                              ;   in Loop: Header=BB70_5 Depth=1
	s_or_saveexec_b64 s[2:3], s[4:5]
	v_mov_b32_e32 v5, s30
	s_xor_b64 exec, exec, s[2:3]
	s_cbranch_execz .LBB70_4
; %bb.20:                               ;   in Loop: Header=BB70_5 Depth=1
	v_ashrrev_i32_e32 v5, 31, v4
	v_lshl_add_u64 v[14:15], v[4:5], 2, v[2:3]
	v_lshlrev_b64 v[10:11], 2, v[10:11]
	global_load_dword v5, v[14:15], off
	v_lshl_add_u64 v[16:17], s[12:13], 0, v[10:11]
	global_load_dword v12, v[16:17], off
	v_div_scale_f32 v20, s[4:5], v6, v6, 1.0
	v_rcp_f32_e32 v21, v20
	v_div_scale_f32 v22, vcc, 1.0, v6, 1.0
	v_lshl_add_u64 v[18:19], s[14:15], 0, v[10:11]
	v_fma_f32 v23, -v20, v21, 1.0
	v_fmac_f32_e32 v21, v23, v21
	v_mul_f32_e32 v23, v22, v21
	v_fma_f32 v26, -v20, v23, v22
	v_fmac_f32_e32 v23, v26, v21
	v_fma_f32 v20, -v20, v23, v22
	v_div_fmas_f32 v20, v20, v21, v23
	v_div_fixup_f32 v6, v20, v6, 1.0
	v_mul_f32_e32 v9, v6, v9
	global_store_dword v[18:19], v9, off
	v_lshl_add_u64 v[10:11], s[6:7], 0, v[10:11]
	s_waitcnt vmcnt(2)
	v_mul_f32_e32 v9, v6, v5
	s_waitcnt vmcnt(1)
	v_mul_f32_e32 v12, v6, v12
	global_store_dword v[14:15], v9, off
	global_store_dword v[16:17], v12, off
	;; [unrolled: 1-line block ×3, first 2 shown]
	s_and_saveexec_b64 s[4:5], s[0:1]
	s_cbranch_execz .LBB70_3
; %bb.21:                               ;   in Loop: Header=BB70_5 Depth=1
	v_add_u32_e32 v10, v13, v4
	v_ashrrev_i32_e32 v11, 31, v10
	v_lshl_add_u64 v[10:11], v[10:11], 2, s[10:11]
	global_load_dword v9, v[10:11], off
	v_mul_f32_e32 v7, v7, v6
	s_waitcnt vmcnt(0)
	v_fma_f32 v5, -v7, v5, v9
	global_store_dword v[10:11], v5, off
	s_branch .LBB70_3
.LBB70_22:
	s_or_b64 exec, exec, s[20:21]
.LBB70_23:
	v_subrev_u32_e32 v1, s26, v4
	v_add_u32_e32 v4, v1, v0
	v_ashrrev_i32_e32 v5, 31, v4
	s_waitcnt lgkmcnt(0)
	v_lshl_add_u64 v[4:5], v[4:5], 2, s[6:7]
	buffer_wbl2 sc1
	s_waitcnt vmcnt(0)
	buffer_inv sc1
	global_load_dword v4, v[4:5], off
	s_waitcnt vmcnt(0)
	v_mul_lo_u32 v4, v4, s26
	v_sub_u32_e32 v4, v1, v4
	v_cmp_lt_i32_e32 vcc, -1, v4
	s_and_b64 exec, exec, vcc
	s_cbranch_execz .LBB70_30
; %bb.24:
	v_subrev_u32_e32 v1, s26, v0
	s_lshl_b32 s4, s26, 1
	s_mov_b64 s[0:1], 0
	s_branch .LBB70_26
.LBB70_25:                              ;   in Loop: Header=BB70_26 Depth=1
	s_or_b64 exec, exec, s[2:3]
	v_sub_u32_e32 v4, v4, v5
	v_cmp_gt_i32_e32 vcc, 0, v4
	s_or_b64 s[0:1], vcc, s[0:1]
	s_andn2_b64 exec, exec, s[0:1]
	s_cbranch_execz .LBB70_30
.LBB70_26:                              ; =>This Inner Loop Header: Depth=1
	v_add_u32_e32 v6, v4, v0
	v_ashrrev_i32_e32 v7, 31, v6
	s_waitcnt vmcnt(0)
	v_lshlrev_b64 v[8:9], 2, v[6:7]
	v_lshl_add_u64 v[10:11], s[6:7], 0, v[8:9]
	global_load_dword v5, v[10:11], off
	v_lshl_add_u64 v[8:9], s[14:15], 0, v[8:9]
	global_load_dword v8, v[8:9], off
	s_waitcnt vmcnt(1)
	v_cmp_ne_u32_e32 vcc, 1, v5
	s_and_saveexec_b64 s[2:3], vcc
	s_xor_b64 s[2:3], exec, s[2:3]
	s_cbranch_execz .LBB70_28
; %bb.27:                               ;   in Loop: Header=BB70_26 Depth=1
	v_add_u32_e32 v10, v13, v4
	v_ashrrev_i32_e32 v11, 31, v10
	v_lshlrev_b64 v[10:11], 2, v[10:11]
	v_lshl_add_u64 v[14:15], s[10:11], 0, v[10:11]
	v_ashrrev_i32_e32 v5, 31, v4
	v_lshl_add_u64 v[16:17], v[4:5], 2, v[2:3]
	global_load_dword v5, v[14:15], off
	global_load_dword v9, v[16:17], off
	v_lshl_add_u64 v[10:11], s[12:13], 0, v[10:11]
	v_lshl_add_u64 v[6:7], v[6:7], 2, s[12:13]
	global_load_dword v12, v[10:11], off
	global_load_dword v24, v[6:7], off
	v_add_u32_e32 v18, v1, v4
	v_ashrrev_i32_e32 v19, 31, v18
	v_lshlrev_b64 v[18:19], 2, v[18:19]
	v_lshl_add_u64 v[20:21], s[14:15], 0, v[18:19]
	global_load_dword v20, v[20:21], off
	v_lshl_add_u64 v[22:23], s[10:11], 0, v[18:19]
	v_lshl_add_u64 v[18:19], s[12:13], 0, v[18:19]
	s_waitcnt vmcnt(3)
	v_fma_f32 v5, -v8, v5, v9
	s_waitcnt vmcnt(1)
	v_fma_f32 v8, -v8, v12, v24
	global_store_dword v[16:17], v5, off
	global_store_dword v[6:7], v8, off
	global_load_dword v5, v[14:15], off
	s_nop 0
	global_load_dword v6, v[22:23], off
	global_load_dword v7, v[10:11], off
	;; [unrolled: 1-line block ×3, first 2 shown]
	s_waitcnt vmcnt(2)
	v_fma_f32 v5, -v20, v5, v6
	s_waitcnt vmcnt(0)
	v_fma_f32 v6, -v20, v7, v8
	global_store_dword v[22:23], v5, off
	global_store_dword v[18:19], v6, off
                                        ; implicit-def: $vgpr8
                                        ; implicit-def: $vgpr6_vgpr7
.LBB70_28:                              ;   in Loop: Header=BB70_26 Depth=1
	s_or_saveexec_b64 s[2:3], s[2:3]
	v_mov_b32_e32 v5, s4
	s_xor_b64 exec, exec, s[2:3]
	s_cbranch_execz .LBB70_25
; %bb.29:                               ;   in Loop: Header=BB70_26 Depth=1
	v_add_u32_e32 v10, v13, v4
	v_ashrrev_i32_e32 v11, 31, v10
	v_lshlrev_b64 v[10:11], 2, v[10:11]
	v_lshl_add_u64 v[14:15], s[10:11], 0, v[10:11]
	v_ashrrev_i32_e32 v5, 31, v4
	v_lshl_add_u64 v[16:17], v[4:5], 2, v[2:3]
	global_load_dword v5, v[14:15], off
	global_load_dword v9, v[16:17], off
	v_lshl_add_u64 v[10:11], s[12:13], 0, v[10:11]
	v_lshl_add_u64 v[6:7], v[6:7], 2, s[12:13]
	global_load_dword v12, v[10:11], off
	global_load_dword v14, v[6:7], off
	s_waitcnt vmcnt(2)
	v_fma_f32 v5, -v8, v5, v9
	s_waitcnt vmcnt(0)
	v_fma_f32 v8, -v8, v12, v14
	global_store_dword v[16:17], v5, off
	global_store_dword v[6:7], v8, off
	v_mov_b32_e32 v5, s26
	s_branch .LBB70_25
.LBB70_30:
	s_endpgm
	.section	.rodata,"a",@progbits
	.p2align	6, 0x0
	.amdhsa_kernel _ZN9rocsparseL18gtsv_LBM_wv_kernelILj256ELj128EfEEviiiPKT1_S3_S3_PS1_S4_S4_Pi
		.amdhsa_group_segment_fixed_size 0
		.amdhsa_private_segment_fixed_size 0
		.amdhsa_kernarg_size 72
		.amdhsa_user_sgpr_count 2
		.amdhsa_user_sgpr_dispatch_ptr 0
		.amdhsa_user_sgpr_queue_ptr 0
		.amdhsa_user_sgpr_kernarg_segment_ptr 1
		.amdhsa_user_sgpr_dispatch_id 0
		.amdhsa_user_sgpr_kernarg_preload_length 0
		.amdhsa_user_sgpr_kernarg_preload_offset 0
		.amdhsa_user_sgpr_private_segment_size 0
		.amdhsa_uses_dynamic_stack 0
		.amdhsa_enable_private_segment 0
		.amdhsa_system_sgpr_workgroup_id_x 1
		.amdhsa_system_sgpr_workgroup_id_y 0
		.amdhsa_system_sgpr_workgroup_id_z 0
		.amdhsa_system_sgpr_workgroup_info 0
		.amdhsa_system_vgpr_workitem_id 0
		.amdhsa_next_free_vgpr 39
		.amdhsa_next_free_sgpr 31
		.amdhsa_accum_offset 40
		.amdhsa_reserve_vcc 1
		.amdhsa_float_round_mode_32 0
		.amdhsa_float_round_mode_16_64 0
		.amdhsa_float_denorm_mode_32 3
		.amdhsa_float_denorm_mode_16_64 3
		.amdhsa_dx10_clamp 1
		.amdhsa_ieee_mode 1
		.amdhsa_fp16_overflow 0
		.amdhsa_tg_split 0
		.amdhsa_exception_fp_ieee_invalid_op 0
		.amdhsa_exception_fp_denorm_src 0
		.amdhsa_exception_fp_ieee_div_zero 0
		.amdhsa_exception_fp_ieee_overflow 0
		.amdhsa_exception_fp_ieee_underflow 0
		.amdhsa_exception_fp_ieee_inexact 0
		.amdhsa_exception_int_div_zero 0
	.end_amdhsa_kernel
	.section	.text._ZN9rocsparseL18gtsv_LBM_wv_kernelILj256ELj128EfEEviiiPKT1_S3_S3_PS1_S4_S4_Pi,"axG",@progbits,_ZN9rocsparseL18gtsv_LBM_wv_kernelILj256ELj128EfEEviiiPKT1_S3_S3_PS1_S4_S4_Pi,comdat
.Lfunc_end70:
	.size	_ZN9rocsparseL18gtsv_LBM_wv_kernelILj256ELj128EfEEviiiPKT1_S3_S3_PS1_S4_S4_Pi, .Lfunc_end70-_ZN9rocsparseL18gtsv_LBM_wv_kernelILj256ELj128EfEEviiiPKT1_S3_S3_PS1_S4_S4_Pi
                                        ; -- End function
	.set _ZN9rocsparseL18gtsv_LBM_wv_kernelILj256ELj128EfEEviiiPKT1_S3_S3_PS1_S4_S4_Pi.num_vgpr, 39
	.set _ZN9rocsparseL18gtsv_LBM_wv_kernelILj256ELj128EfEEviiiPKT1_S3_S3_PS1_S4_S4_Pi.num_agpr, 0
	.set _ZN9rocsparseL18gtsv_LBM_wv_kernelILj256ELj128EfEEviiiPKT1_S3_S3_PS1_S4_S4_Pi.numbered_sgpr, 31
	.set _ZN9rocsparseL18gtsv_LBM_wv_kernelILj256ELj128EfEEviiiPKT1_S3_S3_PS1_S4_S4_Pi.num_named_barrier, 0
	.set _ZN9rocsparseL18gtsv_LBM_wv_kernelILj256ELj128EfEEviiiPKT1_S3_S3_PS1_S4_S4_Pi.private_seg_size, 0
	.set _ZN9rocsparseL18gtsv_LBM_wv_kernelILj256ELj128EfEEviiiPKT1_S3_S3_PS1_S4_S4_Pi.uses_vcc, 1
	.set _ZN9rocsparseL18gtsv_LBM_wv_kernelILj256ELj128EfEEviiiPKT1_S3_S3_PS1_S4_S4_Pi.uses_flat_scratch, 0
	.set _ZN9rocsparseL18gtsv_LBM_wv_kernelILj256ELj128EfEEviiiPKT1_S3_S3_PS1_S4_S4_Pi.has_dyn_sized_stack, 0
	.set _ZN9rocsparseL18gtsv_LBM_wv_kernelILj256ELj128EfEEviiiPKT1_S3_S3_PS1_S4_S4_Pi.has_recursion, 0
	.set _ZN9rocsparseL18gtsv_LBM_wv_kernelILj256ELj128EfEEviiiPKT1_S3_S3_PS1_S4_S4_Pi.has_indirect_call, 0
	.section	.AMDGPU.csdata,"",@progbits
; Kernel info:
; codeLenInByte = 2128
; TotalNumSgprs: 37
; NumVgprs: 39
; NumAgprs: 0
; TotalNumVgprs: 39
; ScratchSize: 0
; MemoryBound: 0
; FloatMode: 240
; IeeeMode: 1
; LDSByteSize: 0 bytes/workgroup (compile time only)
; SGPRBlocks: 4
; VGPRBlocks: 4
; NumSGPRsForWavesPerEU: 37
; NumVGPRsForWavesPerEU: 39
; AccumOffset: 40
; Occupancy: 8
; WaveLimiterHint : 0
; COMPUTE_PGM_RSRC2:SCRATCH_EN: 0
; COMPUTE_PGM_RSRC2:USER_SGPR: 2
; COMPUTE_PGM_RSRC2:TRAP_HANDLER: 0
; COMPUTE_PGM_RSRC2:TGID_X_EN: 1
; COMPUTE_PGM_RSRC2:TGID_Y_EN: 0
; COMPUTE_PGM_RSRC2:TGID_Z_EN: 0
; COMPUTE_PGM_RSRC2:TIDIG_COMP_CNT: 0
; COMPUTE_PGM_RSRC3_GFX90A:ACCUM_OFFSET: 9
; COMPUTE_PGM_RSRC3_GFX90A:TG_SPLIT: 0
	.section	.text._ZN9rocsparseL19gtsv_LBM_rhs_kernelILj256ELj128ELj8EfEEviiiPKT2_S3_S3_PS1_S3_PKi,"axG",@progbits,_ZN9rocsparseL19gtsv_LBM_rhs_kernelILj256ELj128ELj8EfEEviiiPKT2_S3_S3_PS1_S3_PKi,comdat
	.globl	_ZN9rocsparseL19gtsv_LBM_rhs_kernelILj256ELj128ELj8EfEEviiiPKT2_S3_S3_PS1_S3_PKi ; -- Begin function _ZN9rocsparseL19gtsv_LBM_rhs_kernelILj256ELj128ELj8EfEEviiiPKT2_S3_S3_PS1_S3_PKi
	.p2align	8
	.type	_ZN9rocsparseL19gtsv_LBM_rhs_kernelILj256ELj128ELj8EfEEviiiPKT2_S3_S3_PS1_S3_PKi,@function
_ZN9rocsparseL19gtsv_LBM_rhs_kernelILj256ELj128ELj8EfEEviiiPKT2_S3_S3_PS1_S3_PKi: ; @_ZN9rocsparseL19gtsv_LBM_rhs_kernelILj256ELj128ELj8EfEEviiiPKT2_S3_S3_PS1_S3_PKi
; %bb.0:
	s_load_dword s23, s[0:1], 0x0
	v_lshl_or_b32 v0, s2, 8, v0
	s_waitcnt lgkmcnt(0)
	s_lshr_b32 s22, s23, 7
	v_cmp_gt_i32_e32 vcc, s22, v0
	s_and_saveexec_b64 s[4:5], vcc
	s_cbranch_execz .LBB71_29
; %bb.1:
	s_load_dwordx4 s[8:11], s[0:1], 0x28
	s_load_dwordx2 s[6:7], s[0:1], 0x38
	s_cmp_lt_i32 s23, 1
	v_add_u32_e32 v20, s22, v0
	s_mul_i32 s24, s3, s23
	s_cbranch_scc1 .LBB71_21
; %bb.2:
	s_load_dwordx4 s[12:15], s[0:1], 0x10
	s_load_dwordx2 s[16:17], s[0:1], 0x20
	v_ashrrev_i32_e32 v1, 31, v0
	s_lshl_b32 s28, s24, 3
	s_add_i32 s29, s28, s23
	s_waitcnt lgkmcnt(0)
	v_lshl_add_u64 v[2:3], v[0:1], 2, s[14:15]
	global_load_dword v23, v[2:3], off
	s_add_i32 s30, s29, s23
	s_add_i32 s31, s30, s23
	;; [unrolled: 1-line block ×5, first 2 shown]
	s_mul_i32 s25, s22, 0x7f
	s_mul_i32 s26, s22, 0x7e
	s_lshl_b32 s27, s22, 1
	v_add_u32_e32 v1, s22, v20
	s_add_i32 s36, s35, s23
	v_mov_b32_e32 v3, 0
	s_mov_b64 s[18:19], 0
	v_mov_b32_e32 v21, 0
	s_branch .LBB71_5
.LBB71_3:                               ;   in Loop: Header=BB71_5 Depth=1
	s_or_b64 exec, exec, s[4:5]
	v_fma_f32 v23, -v23, v28, v24
	v_mov_b32_e32 v2, s22
.LBB71_4:                               ;   in Loop: Header=BB71_5 Depth=1
	s_or_b64 exec, exec, s[2:3]
	v_add_u32_e32 v21, v2, v21
	v_cmp_le_i32_e32 vcc, s23, v21
	s_or_b64 s[18:19], vcc, s[18:19]
	s_andn2_b64 exec, exec, s[18:19]
	s_cbranch_execz .LBB71_20
.LBB71_5:                               ; =>This Inner Loop Header: Depth=1
	v_add_u32_e32 v18, v21, v0
	v_ashrrev_i32_e32 v19, 31, v18
	v_lshl_add_u64 v[4:5], v[18:19], 2, s[16:17]
	global_load_dword v26, v[4:5], off
	v_cmp_gt_u32_e64 s[0:1], s25, v21
	v_mov_b32_e32 v22, 0
	s_and_saveexec_b64 s[2:3], s[0:1]
	s_cbranch_execz .LBB71_7
; %bb.6:                                ;   in Loop: Header=BB71_5 Depth=1
	v_add_u32_e32 v4, v20, v21
	v_ashrrev_i32_e32 v5, 31, v4
	v_lshl_add_u64 v[4:5], v[4:5], 2, s[12:13]
	global_load_dword v22, v[4:5], off
.LBB71_7:                               ;   in Loop: Header=BB71_5 Depth=1
	s_or_b64 exec, exec, s[2:3]
	v_mov_b32_e32 v25, 0
	v_mov_b32_e32 v24, 0
	s_and_saveexec_b64 s[2:3], s[0:1]
	s_cbranch_execz .LBB71_9
; %bb.8:                                ;   in Loop: Header=BB71_5 Depth=1
	v_add_u32_e32 v4, v20, v21
	v_ashrrev_i32_e32 v5, 31, v4
	v_lshl_add_u64 v[4:5], v[4:5], 2, s[14:15]
	global_load_dword v24, v[4:5], off
.LBB71_9:                               ;   in Loop: Header=BB71_5 Depth=1
	s_or_b64 exec, exec, s[2:3]
	s_and_saveexec_b64 s[2:3], s[0:1]
	s_cbranch_execz .LBB71_11
; %bb.10:                               ;   in Loop: Header=BB71_5 Depth=1
	v_add_u32_e32 v4, v20, v21
	v_ashrrev_i32_e32 v5, 31, v4
	v_lshl_add_u64 v[4:5], v[4:5], 2, s[16:17]
	global_load_dword v25, v[4:5], off
.LBB71_11:                              ;   in Loop: Header=BB71_5 Depth=1
	s_or_b64 exec, exec, s[2:3]
	v_cmp_gt_u32_e64 s[2:3], s26, v21
	v_mov_b32_e32 v27, 0
	s_and_saveexec_b64 s[4:5], s[2:3]
	s_cbranch_execz .LBB71_13
; %bb.12:                               ;   in Loop: Header=BB71_5 Depth=1
	v_add_u32_e32 v4, v1, v21
	v_ashrrev_i32_e32 v5, 31, v4
	v_lshl_add_u64 v[4:5], v[4:5], 2, s[12:13]
	global_load_dword v27, v[4:5], off
.LBB71_13:                              ;   in Loop: Header=BB71_5 Depth=1
	s_or_b64 exec, exec, s[4:5]
	v_add_u32_e32 v2, s28, v18
	v_lshl_add_u64 v[16:17], v[2:3], 2, s[8:9]
	v_add_u32_e32 v2, s29, v18
	v_lshl_add_u64 v[4:5], v[18:19], 2, s[6:7]
	v_lshl_add_u64 v[12:13], v[2:3], 2, s[8:9]
	v_add_u32_e32 v2, s30, v18
	global_load_dword v28, v[4:5], off
	v_lshl_add_u64 v[4:5], v[2:3], 2, s[8:9]
	v_add_u32_e32 v2, s31, v18
	v_lshl_add_u64 v[6:7], v[2:3], 2, s[8:9]
	v_add_u32_e32 v2, s33, v18
	;; [unrolled: 2-line block ×5, first 2 shown]
	v_lshl_add_u64 v[18:19], v[2:3], 2, s[8:9]
	global_load_dword v29, v[16:17], off
	global_load_dword v30, v[12:13], off
	;; [unrolled: 1-line block ×8, first 2 shown]
	v_cmp_ne_u32_e64 s[4:5], s25, v21
	s_waitcnt vmcnt(8)
	v_cmp_ne_u32_e32 vcc, 1, v28
	s_and_b64 s[4:5], s[4:5], vcc
	v_mul_f32_e32 v28, v26, v22
	s_and_saveexec_b64 s[20:21], s[4:5]
	s_xor_b64 s[4:5], exec, s[20:21]
	s_cbranch_execz .LBB71_17
; %bb.14:                               ;   in Loop: Header=BB71_5 Depth=1
	v_fma_f32 v28, v23, v24, -v28
	v_div_scale_f32 v37, s[20:21], v28, v28, 1.0
	v_rcp_f32_e32 v38, v37
	v_add_u32_e32 v39, v20, v21
	v_add_u32_e32 v2, s28, v39
	v_lshl_add_u64 v[40:41], v[2:3], 2, s[8:9]
	global_load_dword v56, v[40:41], off
	v_fma_f32 v2, -v37, v38, 1.0
	v_fmac_f32_e32 v38, v2, v38
	v_add_u32_e32 v2, s29, v39
	v_lshl_add_u64 v[42:43], v[2:3], 2, s[8:9]
	v_add_u32_e32 v2, s30, v39
	global_load_dword v57, v[42:43], off
	v_lshl_add_u64 v[44:45], v[2:3], 2, s[8:9]
	v_add_u32_e32 v2, s31, v39
	v_div_scale_f32 v54, vcc, 1.0, v28, 1.0
	v_lshl_add_u64 v[46:47], v[2:3], 2, s[8:9]
	v_add_u32_e32 v2, s33, v39
	global_load_dword v58, v[44:45], off
	global_load_dword v59, v[46:47], off
	v_lshl_add_u64 v[48:49], v[2:3], 2, s[8:9]
	v_mul_f32_e32 v61, v54, v38
	v_add_u32_e32 v2, s34, v39
	v_lshl_add_u64 v[50:51], v[2:3], 2, s[8:9]
	v_fma_f32 v2, -v37, v61, v54
	global_load_dword v60, v[48:49], off
	global_load_dword v62, v[50:51], off
	v_fmac_f32_e32 v61, v2, v38
	v_add_u32_e32 v2, s35, v39
	v_lshl_add_u64 v[52:53], v[2:3], 2, s[8:9]
	v_add_u32_e32 v2, s36, v39
	global_load_dword v63, v[52:53], off
	v_fma_f32 v37, -v37, v61, v54
	v_lshl_add_u64 v[54:55], v[2:3], 2, s[8:9]
	global_load_dword v2, v[54:55], off
	v_div_fmas_f32 v37, v37, v38, v61
	v_div_fixup_f32 v28, v37, v28, 1.0
	s_waitcnt vmcnt(14)
	v_mul_f32_e32 v37, v28, v30
	s_waitcnt vmcnt(9)
	v_mul_f32_e32 v30, v28, v35
	v_mul_f32_e32 v39, v28, v29
	;; [unrolled: 1-line block ×7, first 2 shown]
	s_waitcnt vmcnt(8)
	v_mul_f32_e32 v29, v28, v36
	v_mul_f32_e32 v36, v22, v37
	s_waitcnt vmcnt(7)
	v_mul_f32_e32 v35, v28, v56
	v_mul_f32_e32 v56, v26, v35
	v_fma_f32 v56, v24, v39, -v56
	global_store_dword v[16:17], v56, off
	v_fma_f32 v61, v23, v35, -v34
	v_mul_f32_e32 v16, v22, v38
	s_waitcnt vmcnt(7)
	v_mul_f32_e32 v17, v28, v57
	v_mul_f32_e32 v57, v26, v17
	v_fma_f32 v57, v24, v37, -v57
	global_store_dword v[12:13], v57, off
	v_mul_f32_e32 v56, v22, v32
	v_mul_f32_e32 v57, v22, v33
	v_fma_f32 v36, v23, v17, -v36
	s_waitcnt vmcnt(7)
	v_mul_f32_e32 v34, v28, v58
	s_waitcnt vmcnt(6)
	v_mul_f32_e32 v13, v28, v59
	v_mul_f32_e32 v12, v26, v34
	v_fma_f32 v58, v23, v34, -v16
	v_fma_f32 v59, v24, v38, -v12
	global_store_dword v[4:5], v59, off
	v_fma_f32 v56, v23, v13, -v56
	s_waitcnt vmcnt(6)
	v_mul_f32_e32 v16, v28, v60
	v_mul_f32_e32 v60, v26, v13
	s_waitcnt vmcnt(5)
	v_mul_f32_e32 v12, v28, v62
	v_fma_f32 v4, v24, v32, -v60
	v_mul_f32_e32 v59, v26, v16
	global_store_dword v[6:7], v4, off
	s_waitcnt vmcnt(5)
	v_mul_f32_e32 v5, v28, v63
	v_fma_f32 v6, v24, v33, -v59
	v_mul_f32_e32 v7, v26, v12
	s_waitcnt vmcnt(4)
	v_mul_f32_e32 v4, v28, v2
	global_store_dword v[8:9], v6, off
	v_fma_f32 v2, v24, v31, -v7
	v_mul_f32_e32 v6, v26, v5
	global_store_dword v[10:11], v2, off
	v_fma_f32 v2, v24, v30, -v6
	;; [unrolled: 3-line block ×3, first 2 shown]
	v_fma_f32 v57, v23, v16, -v57
	global_store_dword v[18:19], v2, off
	global_store_dword v[40:41], v61, off
	;; [unrolled: 1-line block ×6, first 2 shown]
	v_mul_f32_e32 v2, v22, v31
	v_fma_f32 v2, v23, v12, -v2
	global_store_dword v[50:51], v2, off
	v_mul_f32_e32 v2, v22, v30
	v_fma_f32 v2, v23, v5, -v2
	global_store_dword v[52:53], v2, off
	;; [unrolled: 3-line block ×3, first 2 shown]
	v_mov_b32_e32 v2, 0
	s_and_saveexec_b64 s[20:21], s[2:3]
	s_cbranch_execz .LBB71_16
; %bb.15:                               ;   in Loop: Header=BB71_5 Depth=1
	v_add_u32_e32 v6, v1, v21
	v_add_u32_e32 v2, s28, v6
	v_lshl_add_u64 v[8:9], v[2:3], 2, s[8:9]
	global_load_dword v7, v[8:9], off
	v_mul_f32_e32 v23, v23, v27
	v_mul_f32_e32 v22, v22, v27
	;; [unrolled: 1-line block ×3, first 2 shown]
	v_fma_f32 v18, v22, v39, -v2
	v_add_u32_e32 v2, s29, v6
	v_lshl_add_u64 v[10:11], v[2:3], 2, s[8:9]
	v_add_u32_e32 v2, s30, v6
	global_load_dword v24, v[10:11], off
	v_lshl_add_u64 v[14:15], v[2:3], 2, s[8:9]
	v_mul_f32_e32 v4, v23, v4
	v_fma_f32 v4, v22, v29, -v4
	s_waitcnt vmcnt(1)
	v_add_f32_e32 v2, v18, v7
	global_store_dword v[8:9], v2, off
	global_load_dword v7, v[14:15], off
	v_mul_f32_e32 v2, v23, v17
	v_mul_f32_e32 v8, v23, v34
	v_fma_f32 v17, v22, v37, -v2
	v_add_u32_e32 v2, s31, v6
	v_fma_f32 v26, v22, v38, -v8
	v_lshl_add_u64 v[8:9], v[2:3], 2, s[8:9]
	v_add_u32_e32 v2, s33, v6
	v_lshl_add_u64 v[18:19], v[2:3], 2, s[8:9]
	s_waitcnt vmcnt(2)
	v_add_f32_e32 v2, v17, v24
	global_store_dword v[10:11], v2, off
	global_load_dword v17, v[8:9], off
	v_mul_f32_e32 v10, v23, v16
	s_waitcnt vmcnt(2)
	v_add_f32_e32 v2, v26, v7
	global_store_dword v[14:15], v2, off
	global_load_dword v7, v[18:19], off
	v_mul_f32_e32 v2, v23, v13
	v_fma_f32 v13, v22, v32, -v2
	v_add_u32_e32 v2, s34, v6
	v_fma_f32 v14, v22, v33, -v10
	v_lshl_add_u64 v[10:11], v[2:3], 2, s[8:9]
	s_waitcnt vmcnt(2)
	v_add_f32_e32 v2, v13, v17
	global_store_dword v[8:9], v2, off
	s_waitcnt vmcnt(1)
	v_add_f32_e32 v2, v14, v7
	global_store_dword v[18:19], v2, off
	global_load_dword v7, v[10:11], off
	v_mul_f32_e32 v2, v23, v12
	v_fma_f32 v12, v22, v31, -v2
	v_add_u32_e32 v2, s35, v6
	v_lshl_add_u64 v[8:9], v[2:3], 2, s[8:9]
	s_waitcnt vmcnt(0)
	v_add_f32_e32 v2, v12, v7
	global_store_dword v[10:11], v2, off
	global_load_dword v12, v[8:9], off
	v_mul_f32_e32 v2, v23, v5
	v_fma_f32 v5, v22, v30, -v2
	v_add_u32_e32 v2, s36, v6
	v_lshl_add_u64 v[10:11], v[2:3], 2, s[8:9]
	v_ashrrev_i32_e32 v7, 31, v6
	v_lshl_add_u64 v[6:7], v[6:7], 2, s[14:15]
	s_waitcnt vmcnt(0)
	v_add_f32_e32 v2, v5, v12
	global_store_dword v[8:9], v2, off
	global_load_dword v2, v[10:11], off
	s_waitcnt vmcnt(0)
	v_add_f32_e32 v2, v4, v2
	global_load_dword v5, v[6:7], off
	v_mul_f32_e32 v6, v25, v23
	global_store_dword v[10:11], v2, off
	s_waitcnt vmcnt(1)
	v_fma_f32 v2, -v28, v6, v5
.LBB71_16:                              ;   in Loop: Header=BB71_5 Depth=1
	s_or_b64 exec, exec, s[20:21]
	v_mov_b32_e32 v23, v2
                                        ; implicit-def: $vgpr22
                                        ; implicit-def: $vgpr24
                                        ; implicit-def: $vgpr28
                                        ; implicit-def: $vgpr16_vgpr17
                                        ; implicit-def: $vgpr29
                                        ; implicit-def: $vgpr12_vgpr13
                                        ; implicit-def: $vgpr30
                                        ; implicit-def: $vgpr4_vgpr5
                                        ; implicit-def: $vgpr31
                                        ; implicit-def: $vgpr6_vgpr7
                                        ; implicit-def: $vgpr32
                                        ; implicit-def: $vgpr8_vgpr9
                                        ; implicit-def: $vgpr33
                                        ; implicit-def: $vgpr10_vgpr11
                                        ; implicit-def: $vgpr34
                                        ; implicit-def: $vgpr14_vgpr15
                                        ; implicit-def: $vgpr35
                                        ; implicit-def: $vgpr18_vgpr19
                                        ; implicit-def: $vgpr36
.LBB71_17:                              ;   in Loop: Header=BB71_5 Depth=1
	s_or_saveexec_b64 s[2:3], s[4:5]
	v_mov_b32_e32 v2, s27
	s_xor_b64 exec, exec, s[2:3]
	s_cbranch_execz .LBB71_4
; %bb.18:                               ;   in Loop: Header=BB71_5 Depth=1
	v_div_scale_f32 v2, s[4:5], v23, v23, 1.0
	v_rcp_f32_e32 v25, v2
	v_div_scale_f32 v26, vcc, 1.0, v23, 1.0
	v_fma_f32 v27, -v2, v25, 1.0
	v_fmac_f32_e32 v25, v27, v25
	v_mul_f32_e32 v27, v26, v25
	v_fma_f32 v37, -v2, v27, v26
	v_fmac_f32_e32 v27, v37, v25
	v_fma_f32 v2, -v2, v27, v26
	v_div_fmas_f32 v2, v2, v25, v27
	v_div_fixup_f32 v23, v2, v23, 1.0
	s_waitcnt vmcnt(7)
	v_mul_f32_e32 v38, v23, v29
	s_waitcnt vmcnt(6)
	v_mul_f32_e32 v37, v23, v30
	;; [unrolled: 2-line block ×8, first 2 shown]
	global_store_dword v[16:17], v38, off
	global_store_dword v[12:13], v37, off
	;; [unrolled: 1-line block ×8, first 2 shown]
	s_and_saveexec_b64 s[4:5], s[0:1]
	s_cbranch_execz .LBB71_3
; %bb.19:                               ;   in Loop: Header=BB71_5 Depth=1
	v_add_u32_e32 v12, v20, v21
	v_add_u32_e32 v2, s28, v12
	v_lshl_add_u64 v[4:5], v[2:3], 2, s[8:9]
	global_load_dword v10, v[4:5], off
	v_add_u32_e32 v2, s29, v12
	v_lshl_add_u64 v[6:7], v[2:3], 2, s[8:9]
	v_add_u32_e32 v2, s30, v12
	global_load_dword v13, v[6:7], off
	v_lshl_add_u64 v[8:9], v[2:3], 2, s[8:9]
	s_waitcnt vmcnt(1)
	v_fma_f32 v2, -v22, v38, v10
	global_store_dword v[4:5], v2, off
	global_load_dword v14, v[8:9], off
	v_add_u32_e32 v2, s31, v12
	v_lshl_add_u64 v[4:5], v[2:3], 2, s[8:9]
	v_add_u32_e32 v2, s33, v12
	v_lshl_add_u64 v[10:11], v[2:3], 2, s[8:9]
	s_waitcnt vmcnt(2)
	v_fma_f32 v2, -v22, v37, v13
	global_store_dword v[6:7], v2, off
	global_load_dword v13, v[4:5], off
	s_waitcnt vmcnt(2)
	v_fma_f32 v2, -v22, v31, v14
	global_store_dword v[8:9], v2, off
	global_load_dword v8, v[10:11], off
	v_add_u32_e32 v2, s34, v12
	v_lshl_add_u64 v[6:7], v[2:3], 2, s[8:9]
	s_waitcnt vmcnt(2)
	v_fma_f32 v2, -v22, v30, v13
	global_store_dword v[4:5], v2, off
	s_waitcnt vmcnt(1)
	v_fma_f32 v2, -v22, v29, v8
	global_store_dword v[10:11], v2, off
	global_load_dword v8, v[6:7], off
	v_add_u32_e32 v2, s35, v12
	v_lshl_add_u64 v[4:5], v[2:3], 2, s[8:9]
	s_waitcnt vmcnt(0)
	v_fma_f32 v2, -v22, v27, v8
	global_store_dword v[6:7], v2, off
	global_load_dword v6, v[4:5], off
	v_add_u32_e32 v2, s36, v12
	s_waitcnt vmcnt(0)
	v_fma_f32 v6, -v22, v26, v6
	global_store_dword v[4:5], v6, off
	v_lshl_add_u64 v[4:5], v[2:3], 2, s[8:9]
	global_load_dword v2, v[4:5], off
	s_waitcnt vmcnt(0)
	v_fma_f32 v2, -v22, v25, v2
	global_store_dword v[4:5], v2, off
	s_branch .LBB71_3
.LBB71_20:
	s_or_b64 exec, exec, s[18:19]
	s_branch .LBB71_22
.LBB71_21:
	v_mov_b32_e32 v21, 0
.LBB71_22:
	v_subrev_u32_e32 v1, s22, v21
	v_add_u32_e32 v2, v1, v0
	v_ashrrev_i32_e32 v3, 31, v2
	s_waitcnt lgkmcnt(0)
	v_lshl_add_u64 v[2:3], v[2:3], 2, s[6:7]
	buffer_wbl2 sc1
	s_waitcnt vmcnt(0)
	buffer_inv sc1
	global_load_dword v2, v[2:3], off
	s_waitcnt vmcnt(0)
	v_mul_lo_u32 v2, v2, s22
	v_sub_u32_e32 v1, v1, v2
	v_cmp_lt_i32_e32 vcc, -1, v1
	s_and_b64 exec, exec, vcc
	s_cbranch_execz .LBB71_29
; %bb.23:
	s_lshl_b32 s4, s24, 3
	s_add_i32 s5, s4, s23
	s_add_i32 s12, s5, s23
	s_add_i32 s13, s12, s23
	s_add_i32 s14, s13, s23
	s_add_i32 s15, s14, s23
	s_add_i32 s16, s15, s23
	s_add_i32 s17, s16, s23
	s_lshl_b32 s18, s22, 1
	s_mov_b64 s[0:1], 0
	v_mov_b32_e32 v3, 0
	s_branch .LBB71_25
.LBB71_24:                              ;   in Loop: Header=BB71_25 Depth=1
	s_or_b64 exec, exec, s[2:3]
	v_sub_u32_e32 v1, v1, v2
	v_cmp_gt_i32_e32 vcc, 0, v1
	s_or_b64 s[0:1], vcc, s[0:1]
	s_andn2_b64 exec, exec, s[0:1]
	s_cbranch_execz .LBB71_29
.LBB71_25:                              ; =>This Inner Loop Header: Depth=1
	v_add_u32_e32 v4, v1, v0
	s_waitcnt vmcnt(0)
	v_ashrrev_i32_e32 v5, 31, v4
	v_lshlrev_b64 v[6:7], 2, v[4:5]
	v_lshl_add_u64 v[8:9], s[6:7], 0, v[6:7]
	global_load_dword v2, v[8:9], off
	v_lshl_add_u64 v[6:7], s[10:11], 0, v[6:7]
	global_load_dword v5, v[6:7], off
	s_waitcnt vmcnt(1)
	v_cmp_ne_u32_e32 vcc, 1, v2
	s_and_saveexec_b64 s[2:3], vcc
	s_xor_b64 s[2:3], exec, s[2:3]
	s_cbranch_execz .LBB71_27
; %bb.26:                               ;   in Loop: Header=BB71_25 Depth=1
	v_add_u32_e32 v21, v20, v1
	v_add_u32_e32 v2, s4, v21
	v_lshl_add_u64 v[6:7], v[2:3], 2, s[8:9]
	v_add_u32_e32 v2, s5, v21
	v_lshl_add_u64 v[8:9], v[2:3], 2, s[8:9]
	v_add_u32_e32 v2, s12, v21
	v_lshl_add_u64 v[10:11], v[2:3], 2, s[8:9]
	v_add_u32_e32 v2, s13, v21
	v_lshl_add_u64 v[12:13], v[2:3], 2, s[8:9]
	v_add_u32_e32 v2, s14, v21
	v_lshl_add_u64 v[14:15], v[2:3], 2, s[8:9]
	v_add_u32_e32 v2, s15, v21
	v_lshl_add_u64 v[16:17], v[2:3], 2, s[8:9]
	v_add_u32_e32 v2, s16, v21
	v_lshl_add_u64 v[18:19], v[2:3], 2, s[8:9]
	v_add_u32_e32 v2, s17, v21
	v_lshl_add_u64 v[22:23], v[2:3], 2, s[8:9]
	v_add_u32_e32 v2, s4, v4
	v_lshl_add_u64 v[24:25], v[2:3], 2, s[8:9]
	global_load_dword v21, v[24:25], off
	global_load_dword v26, v[6:7], off
	;; [unrolled: 1-line block ×9, first 2 shown]
	v_add_u32_e32 v2, s5, v4
	v_lshl_add_u64 v[6:7], v[2:3], 2, s[8:9]
	s_waitcnt vmcnt(7)
	v_fma_f32 v2, -v5, v26, v21
	global_store_dword v[24:25], v2, off
	global_load_dword v10, v[6:7], off
	v_add_u32_e32 v2, s12, v4
	v_lshl_add_u64 v[8:9], v[2:3], 2, s[8:9]
	s_waitcnt vmcnt(0)
	v_fma_f32 v2, -v5, v27, v10
	global_store_dword v[6:7], v2, off
	global_load_dword v10, v[8:9], off
	;; [unrolled: 6-line block ×7, first 2 shown]
	v_subrev_u32_e32 v2, s22, v1
	v_add_u32_e32 v8, v2, v0
	v_ashrrev_i32_e32 v9, 31, v8
	v_lshl_add_u64 v[10:11], v[8:9], 2, s[10:11]
	v_add_u32_e32 v2, s4, v8
	global_load_dword v9, v[10:11], off
	v_lshl_add_u64 v[10:11], v[2:3], 2, s[8:9]
	s_waitcnt vmcnt(1)
	v_fma_f32 v2, -v5, v33, v4
	global_store_dword v[6:7], v2, off
	global_load_dword v6, v[10:11], off
	v_add_u32_e32 v2, s5, v8
	v_lshl_add_u64 v[4:5], v[2:3], 2, s[8:9]
	s_waitcnt vmcnt(0)
	v_fma_f32 v2, -v9, v26, v6
	global_store_dword v[10:11], v2, off
	global_load_dword v10, v[4:5], off
	v_add_u32_e32 v2, s12, v8
	;; [unrolled: 6-line block ×7, first 2 shown]
	s_waitcnt vmcnt(0)
	v_fma_f32 v4, -v9, v32, v4
	global_store_dword v[6:7], v4, off
	v_lshl_add_u64 v[4:5], v[2:3], 2, s[8:9]
	global_load_dword v2, v[4:5], off
	s_waitcnt vmcnt(0)
	v_fma_f32 v2, -v9, v33, v2
	global_store_dword v[4:5], v2, off
                                        ; implicit-def: $vgpr4
                                        ; implicit-def: $vgpr5
.LBB71_27:                              ;   in Loop: Header=BB71_25 Depth=1
	s_or_saveexec_b64 s[2:3], s[2:3]
	v_mov_b32_e32 v2, s18
	s_xor_b64 exec, exec, s[2:3]
	s_cbranch_execz .LBB71_24
; %bb.28:                               ;   in Loop: Header=BB71_25 Depth=1
	v_add_u32_e32 v12, v20, v1
	v_add_u32_e32 v2, s4, v12
	v_lshl_add_u64 v[6:7], v[2:3], 2, s[8:9]
	v_add_u32_e32 v2, s4, v4
	v_lshl_add_u64 v[8:9], v[2:3], 2, s[8:9]
	global_load_dword v13, v[6:7], off
	global_load_dword v14, v[8:9], off
	v_add_u32_e32 v2, s5, v12
	v_lshl_add_u64 v[6:7], v[2:3], 2, s[8:9]
	v_add_u32_e32 v2, s5, v4
	v_lshl_add_u64 v[10:11], v[2:3], 2, s[8:9]
	s_waitcnt vmcnt(0)
	v_fma_f32 v2, -v5, v13, v14
	global_store_dword v[8:9], v2, off
	global_load_dword v13, v[6:7], off
	global_load_dword v14, v[10:11], off
	v_add_u32_e32 v2, s12, v12
	v_lshl_add_u64 v[6:7], v[2:3], 2, s[8:9]
	v_add_u32_e32 v2, s12, v4
	v_lshl_add_u64 v[8:9], v[2:3], 2, s[8:9]
	s_waitcnt vmcnt(0)
	v_fma_f32 v2, -v5, v13, v14
	global_store_dword v[10:11], v2, off
	;; [unrolled: 9-line block ×7, first 2 shown]
	global_load_dword v2, v[6:7], off
	s_nop 0
	global_load_dword v4, v[10:11], off
	s_waitcnt vmcnt(0)
	v_fma_f32 v2, -v5, v2, v4
	global_store_dword v[10:11], v2, off
	v_mov_b32_e32 v2, s22
	s_branch .LBB71_24
.LBB71_29:
	s_endpgm
	.section	.rodata,"a",@progbits
	.p2align	6, 0x0
	.amdhsa_kernel _ZN9rocsparseL19gtsv_LBM_rhs_kernelILj256ELj128ELj8EfEEviiiPKT2_S3_S3_PS1_S3_PKi
		.amdhsa_group_segment_fixed_size 0
		.amdhsa_private_segment_fixed_size 0
		.amdhsa_kernarg_size 64
		.amdhsa_user_sgpr_count 2
		.amdhsa_user_sgpr_dispatch_ptr 0
		.amdhsa_user_sgpr_queue_ptr 0
		.amdhsa_user_sgpr_kernarg_segment_ptr 1
		.amdhsa_user_sgpr_dispatch_id 0
		.amdhsa_user_sgpr_kernarg_preload_length 0
		.amdhsa_user_sgpr_kernarg_preload_offset 0
		.amdhsa_user_sgpr_private_segment_size 0
		.amdhsa_uses_dynamic_stack 0
		.amdhsa_enable_private_segment 0
		.amdhsa_system_sgpr_workgroup_id_x 1
		.amdhsa_system_sgpr_workgroup_id_y 1
		.amdhsa_system_sgpr_workgroup_id_z 0
		.amdhsa_system_sgpr_workgroup_info 0
		.amdhsa_system_vgpr_workitem_id 0
		.amdhsa_next_free_vgpr 64
		.amdhsa_next_free_sgpr 37
		.amdhsa_accum_offset 64
		.amdhsa_reserve_vcc 1
		.amdhsa_float_round_mode_32 0
		.amdhsa_float_round_mode_16_64 0
		.amdhsa_float_denorm_mode_32 3
		.amdhsa_float_denorm_mode_16_64 3
		.amdhsa_dx10_clamp 1
		.amdhsa_ieee_mode 1
		.amdhsa_fp16_overflow 0
		.amdhsa_tg_split 0
		.amdhsa_exception_fp_ieee_invalid_op 0
		.amdhsa_exception_fp_denorm_src 0
		.amdhsa_exception_fp_ieee_div_zero 0
		.amdhsa_exception_fp_ieee_overflow 0
		.amdhsa_exception_fp_ieee_underflow 0
		.amdhsa_exception_fp_ieee_inexact 0
		.amdhsa_exception_int_div_zero 0
	.end_amdhsa_kernel
	.section	.text._ZN9rocsparseL19gtsv_LBM_rhs_kernelILj256ELj128ELj8EfEEviiiPKT2_S3_S3_PS1_S3_PKi,"axG",@progbits,_ZN9rocsparseL19gtsv_LBM_rhs_kernelILj256ELj128ELj8EfEEviiiPKT2_S3_S3_PS1_S3_PKi,comdat
.Lfunc_end71:
	.size	_ZN9rocsparseL19gtsv_LBM_rhs_kernelILj256ELj128ELj8EfEEviiiPKT2_S3_S3_PS1_S3_PKi, .Lfunc_end71-_ZN9rocsparseL19gtsv_LBM_rhs_kernelILj256ELj128ELj8EfEEviiiPKT2_S3_S3_PS1_S3_PKi
                                        ; -- End function
	.set _ZN9rocsparseL19gtsv_LBM_rhs_kernelILj256ELj128ELj8EfEEviiiPKT2_S3_S3_PS1_S3_PKi.num_vgpr, 64
	.set _ZN9rocsparseL19gtsv_LBM_rhs_kernelILj256ELj128ELj8EfEEviiiPKT2_S3_S3_PS1_S3_PKi.num_agpr, 0
	.set _ZN9rocsparseL19gtsv_LBM_rhs_kernelILj256ELj128ELj8EfEEviiiPKT2_S3_S3_PS1_S3_PKi.numbered_sgpr, 37
	.set _ZN9rocsparseL19gtsv_LBM_rhs_kernelILj256ELj128ELj8EfEEviiiPKT2_S3_S3_PS1_S3_PKi.num_named_barrier, 0
	.set _ZN9rocsparseL19gtsv_LBM_rhs_kernelILj256ELj128ELj8EfEEviiiPKT2_S3_S3_PS1_S3_PKi.private_seg_size, 0
	.set _ZN9rocsparseL19gtsv_LBM_rhs_kernelILj256ELj128ELj8EfEEviiiPKT2_S3_S3_PS1_S3_PKi.uses_vcc, 1
	.set _ZN9rocsparseL19gtsv_LBM_rhs_kernelILj256ELj128ELj8EfEEviiiPKT2_S3_S3_PS1_S3_PKi.uses_flat_scratch, 0
	.set _ZN9rocsparseL19gtsv_LBM_rhs_kernelILj256ELj128ELj8EfEEviiiPKT2_S3_S3_PS1_S3_PKi.has_dyn_sized_stack, 0
	.set _ZN9rocsparseL19gtsv_LBM_rhs_kernelILj256ELj128ELj8EfEEviiiPKT2_S3_S3_PS1_S3_PKi.has_recursion, 0
	.set _ZN9rocsparseL19gtsv_LBM_rhs_kernelILj256ELj128ELj8EfEEviiiPKT2_S3_S3_PS1_S3_PKi.has_indirect_call, 0
	.section	.AMDGPU.csdata,"",@progbits
; Kernel info:
; codeLenInByte = 3892
; TotalNumSgprs: 43
; NumVgprs: 64
; NumAgprs: 0
; TotalNumVgprs: 64
; ScratchSize: 0
; MemoryBound: 0
; FloatMode: 240
; IeeeMode: 1
; LDSByteSize: 0 bytes/workgroup (compile time only)
; SGPRBlocks: 5
; VGPRBlocks: 7
; NumSGPRsForWavesPerEU: 43
; NumVGPRsForWavesPerEU: 64
; AccumOffset: 64
; Occupancy: 8
; WaveLimiterHint : 0
; COMPUTE_PGM_RSRC2:SCRATCH_EN: 0
; COMPUTE_PGM_RSRC2:USER_SGPR: 2
; COMPUTE_PGM_RSRC2:TRAP_HANDLER: 0
; COMPUTE_PGM_RSRC2:TGID_X_EN: 1
; COMPUTE_PGM_RSRC2:TGID_Y_EN: 1
; COMPUTE_PGM_RSRC2:TGID_Z_EN: 0
; COMPUTE_PGM_RSRC2:TIDIG_COMP_CNT: 0
; COMPUTE_PGM_RSRC3_GFX90A:ACCUM_OFFSET: 15
; COMPUTE_PGM_RSRC3_GFX90A:TG_SPLIT: 0
	.section	.text._ZN9rocsparseL19gtsv_LBM_rhs_kernelILj256ELj128ELj4EfEEviiiPKT2_S3_S3_PS1_S3_PKi,"axG",@progbits,_ZN9rocsparseL19gtsv_LBM_rhs_kernelILj256ELj128ELj4EfEEviiiPKT2_S3_S3_PS1_S3_PKi,comdat
	.globl	_ZN9rocsparseL19gtsv_LBM_rhs_kernelILj256ELj128ELj4EfEEviiiPKT2_S3_S3_PS1_S3_PKi ; -- Begin function _ZN9rocsparseL19gtsv_LBM_rhs_kernelILj256ELj128ELj4EfEEviiiPKT2_S3_S3_PS1_S3_PKi
	.p2align	8
	.type	_ZN9rocsparseL19gtsv_LBM_rhs_kernelILj256ELj128ELj4EfEEviiiPKT2_S3_S3_PS1_S3_PKi,@function
_ZN9rocsparseL19gtsv_LBM_rhs_kernelILj256ELj128ELj4EfEEviiiPKT2_S3_S3_PS1_S3_PKi: ; @_ZN9rocsparseL19gtsv_LBM_rhs_kernelILj256ELj128ELj4EfEEviiiPKT2_S3_S3_PS1_S3_PKi
; %bb.0:
	s_load_dword s23, s[0:1], 0x0
	v_lshl_or_b32 v0, s2, 8, v0
	s_waitcnt lgkmcnt(0)
	s_lshr_b32 s22, s23, 7
	v_cmp_gt_i32_e32 vcc, s22, v0
	s_and_saveexec_b64 s[4:5], vcc
	s_cbranch_execz .LBB72_29
; %bb.1:
	s_load_dwordx4 s[8:11], s[0:1], 0x28
	s_load_dwordx2 s[6:7], s[0:1], 0x38
	s_cmp_lt_i32 s23, 1
	v_add_u32_e32 v12, s22, v0
	s_mul_i32 s24, s3, s23
	s_cbranch_scc1 .LBB72_21
; %bb.2:
	s_load_dwordx4 s[12:15], s[0:1], 0x10
	s_load_dwordx2 s[16:17], s[0:1], 0x20
	v_ashrrev_i32_e32 v1, 31, v0
	s_lshl_b32 s28, s24, 2
	s_add_i32 s29, s28, s23
	s_waitcnt lgkmcnt(0)
	v_lshl_add_u64 v[2:3], v[0:1], 2, s[14:15]
	global_load_dword v14, v[2:3], off
	s_add_i32 s30, s29, s23
	s_mul_i32 s25, s22, 0x7f
	s_mul_i32 s26, s22, 0x7e
	s_lshl_b32 s27, s22, 1
	v_add_u32_e32 v13, s22, v12
	s_add_i32 s31, s30, s23
	v_mov_b32_e32 v3, 0
	s_mov_b64 s[18:19], 0
	v_mov_b32_e32 v1, 0
	s_branch .LBB72_5
.LBB72_3:                               ;   in Loop: Header=BB72_5 Depth=1
	s_or_b64 exec, exec, s[4:5]
	v_fma_f32 v14, -v14, v20, v16
	v_mov_b32_e32 v2, s22
.LBB72_4:                               ;   in Loop: Header=BB72_5 Depth=1
	s_or_b64 exec, exec, s[2:3]
	v_add_u32_e32 v1, v2, v1
	v_cmp_le_i32_e32 vcc, s23, v1
	s_or_b64 s[18:19], vcc, s[18:19]
	s_andn2_b64 exec, exec, s[18:19]
	s_cbranch_execz .LBB72_20
.LBB72_5:                               ; =>This Inner Loop Header: Depth=1
	v_add_u32_e32 v10, v1, v0
	v_ashrrev_i32_e32 v11, 31, v10
	v_lshl_add_u64 v[4:5], v[10:11], 2, s[16:17]
	global_load_dword v18, v[4:5], off
	v_cmp_gt_u32_e64 s[0:1], s25, v1
	v_mov_b32_e32 v15, 0
	s_and_saveexec_b64 s[2:3], s[0:1]
	s_cbranch_execz .LBB72_7
; %bb.6:                                ;   in Loop: Header=BB72_5 Depth=1
	v_add_u32_e32 v4, v12, v1
	v_ashrrev_i32_e32 v5, 31, v4
	v_lshl_add_u64 v[4:5], v[4:5], 2, s[12:13]
	global_load_dword v15, v[4:5], off
.LBB72_7:                               ;   in Loop: Header=BB72_5 Depth=1
	s_or_b64 exec, exec, s[2:3]
	v_mov_b32_e32 v17, 0
	v_mov_b32_e32 v16, 0
	s_and_saveexec_b64 s[2:3], s[0:1]
	s_cbranch_execz .LBB72_9
; %bb.8:                                ;   in Loop: Header=BB72_5 Depth=1
	v_add_u32_e32 v4, v12, v1
	v_ashrrev_i32_e32 v5, 31, v4
	v_lshl_add_u64 v[4:5], v[4:5], 2, s[14:15]
	global_load_dword v16, v[4:5], off
.LBB72_9:                               ;   in Loop: Header=BB72_5 Depth=1
	s_or_b64 exec, exec, s[2:3]
	s_and_saveexec_b64 s[2:3], s[0:1]
	s_cbranch_execz .LBB72_11
; %bb.10:                               ;   in Loop: Header=BB72_5 Depth=1
	v_add_u32_e32 v4, v12, v1
	v_ashrrev_i32_e32 v5, 31, v4
	v_lshl_add_u64 v[4:5], v[4:5], 2, s[16:17]
	global_load_dword v17, v[4:5], off
.LBB72_11:                              ;   in Loop: Header=BB72_5 Depth=1
	s_or_b64 exec, exec, s[2:3]
	v_cmp_gt_u32_e64 s[2:3], s26, v1
	v_mov_b32_e32 v19, 0
	s_and_saveexec_b64 s[4:5], s[2:3]
	s_cbranch_execz .LBB72_13
; %bb.12:                               ;   in Loop: Header=BB72_5 Depth=1
	v_add_u32_e32 v4, v13, v1
	v_ashrrev_i32_e32 v5, 31, v4
	v_lshl_add_u64 v[4:5], v[4:5], 2, s[12:13]
	global_load_dword v19, v[4:5], off
.LBB72_13:                              ;   in Loop: Header=BB72_5 Depth=1
	s_or_b64 exec, exec, s[4:5]
	v_lshl_add_u64 v[4:5], v[10:11], 2, s[6:7]
	v_add_u32_e32 v2, s28, v10
	global_load_dword v20, v[4:5], off
	v_lshl_add_u64 v[4:5], v[2:3], 2, s[8:9]
	v_add_u32_e32 v2, s29, v10
	v_lshl_add_u64 v[6:7], v[2:3], 2, s[8:9]
	v_add_u32_e32 v2, s30, v10
	;; [unrolled: 2-line block ×3, first 2 shown]
	v_lshl_add_u64 v[10:11], v[2:3], 2, s[8:9]
	global_load_dword v21, v[4:5], off
	global_load_dword v22, v[6:7], off
	global_load_dword v23, v[8:9], off
	global_load_dword v24, v[10:11], off
	v_cmp_ne_u32_e64 s[4:5], s25, v1
	s_waitcnt vmcnt(4)
	v_cmp_ne_u32_e32 vcc, 1, v20
	s_and_b64 s[4:5], s[4:5], vcc
	v_mul_f32_e32 v20, v18, v15
	s_and_saveexec_b64 s[20:21], s[4:5]
	s_xor_b64 s[4:5], exec, s[20:21]
	s_cbranch_execz .LBB72_17
; %bb.14:                               ;   in Loop: Header=BB72_5 Depth=1
	v_add_u32_e32 v25, v12, v1
	v_add_u32_e32 v2, s28, v25
	v_lshl_add_u64 v[30:31], v[2:3], 2, s[8:9]
	v_add_u32_e32 v2, s29, v25
	v_lshl_add_u64 v[32:33], v[2:3], 2, s[8:9]
	v_add_u32_e32 v2, s30, v25
	global_load_dword v27, v[30:31], off
	global_load_dword v28, v[32:33], off
	v_lshl_add_u64 v[34:35], v[2:3], 2, s[8:9]
	v_add_u32_e32 v2, s31, v25
	global_load_dword v29, v[34:35], off
	v_lshl_add_u64 v[36:37], v[2:3], 2, s[8:9]
	global_load_dword v2, v[36:37], off
	v_fma_f32 v20, v14, v16, -v20
	v_div_scale_f32 v25, s[20:21], v20, v20, 1.0
	v_rcp_f32_e32 v26, v25
	v_div_scale_f32 v38, vcc, 1.0, v20, 1.0
	v_fma_f32 v39, -v25, v26, 1.0
	v_fmac_f32_e32 v26, v39, v26
	v_mul_f32_e32 v39, v38, v26
	v_fma_f32 v40, -v25, v39, v38
	v_fmac_f32_e32 v39, v40, v26
	v_fma_f32 v25, -v25, v39, v38
	v_div_fmas_f32 v25, v25, v26, v39
	v_div_fixup_f32 v20, v25, v20, 1.0
	s_waitcnt vmcnt(7)
	v_mul_f32_e32 v25, v20, v21
	s_waitcnt vmcnt(6)
	v_mul_f32_e32 v26, v20, v22
	s_waitcnt vmcnt(5)
	v_mul_f32_e32 v21, v20, v23
	v_mul_f32_e32 v23, v15, v25
	s_waitcnt vmcnt(4)
	v_mul_f32_e32 v22, v20, v24
	v_mul_f32_e32 v24, v15, v26
	;; [unrolled: 1-line block ×4, first 2 shown]
	s_waitcnt vmcnt(3)
	v_mul_f32_e32 v27, v20, v27
	s_waitcnt vmcnt(2)
	v_mul_f32_e32 v28, v20, v28
	v_mul_f32_e32 v40, v18, v27
	v_fma_f32 v41, v14, v27, -v23
	s_waitcnt vmcnt(1)
	v_mul_f32_e32 v23, v20, v29
	v_fma_f32 v29, v16, v25, -v40
	v_mul_f32_e32 v40, v18, v28
	v_fma_f32 v42, v14, v28, -v24
	s_waitcnt vmcnt(0)
	v_mul_f32_e32 v24, v20, v2
	global_store_dword v[4:5], v29, off
	v_fma_f32 v2, v16, v26, -v40
	v_mul_f32_e32 v4, v18, v23
	global_store_dword v[6:7], v2, off
	v_fma_f32 v2, v16, v21, -v4
	;; [unrolled: 3-line block ×3, first 2 shown]
	v_fma_f32 v5, v14, v23, -v38
	v_fma_f32 v6, v14, v24, -v39
	global_store_dword v[10:11], v2, off
	global_store_dword v[30:31], v41, off
	;; [unrolled: 1-line block ×5, first 2 shown]
	v_mov_b32_e32 v2, 0
	s_and_saveexec_b64 s[20:21], s[2:3]
	s_cbranch_execz .LBB72_16
; %bb.15:                               ;   in Loop: Header=BB72_5 Depth=1
	v_add_u32_e32 v4, v13, v1
	v_add_u32_e32 v2, s28, v4
	v_lshl_add_u64 v[6:7], v[2:3], 2, s[8:9]
	v_add_u32_e32 v2, s29, v4
	global_load_dword v16, v[6:7], off
	v_lshl_add_u64 v[8:9], v[2:3], 2, s[8:9]
	global_load_dword v18, v[8:9], off
	v_mul_f32_e32 v29, v15, v19
	v_mul_f32_e32 v19, v14, v19
	;; [unrolled: 1-line block ×4, first 2 shown]
	v_fma_f32 v25, v29, v25, -v2
	v_add_u32_e32 v2, s30, v4
	v_fma_f32 v26, v29, v26, -v10
	v_lshl_add_u64 v[10:11], v[2:3], 2, s[8:9]
	v_add_u32_e32 v2, s31, v4
	v_lshl_add_u64 v[14:15], v[2:3], 2, s[8:9]
	v_ashrrev_i32_e32 v5, 31, v4
	v_lshl_add_u64 v[4:5], v[4:5], 2, s[14:15]
	global_load_dword v4, v[4:5], off
	v_mul_f32_e32 v5, v19, v23
	v_fma_f32 v5, v29, v21, -v5
	s_waitcnt vmcnt(2)
	v_add_f32_e32 v2, v25, v16
	global_store_dword v[6:7], v2, off
	s_waitcnt vmcnt(2)
	v_add_f32_e32 v2, v26, v18
	global_store_dword v[8:9], v2, off
	global_load_dword v6, v[10:11], off
	v_mul_f32_e32 v7, v19, v24
	global_load_dword v2, v[14:15], off
	v_fma_f32 v7, v29, v22, -v7
	v_mul_f32_e32 v8, v17, v19
	s_waitcnt vmcnt(1)
	v_add_f32_e32 v5, v5, v6
	global_store_dword v[10:11], v5, off
	s_waitcnt vmcnt(1)
	v_add_f32_e32 v2, v7, v2
	global_store_dword v[14:15], v2, off
	v_fma_f32 v2, -v20, v8, v4
.LBB72_16:                              ;   in Loop: Header=BB72_5 Depth=1
	s_or_b64 exec, exec, s[20:21]
	v_mov_b32_e32 v14, v2
                                        ; implicit-def: $vgpr15
                                        ; implicit-def: $vgpr16
                                        ; implicit-def: $vgpr20
                                        ; implicit-def: $vgpr4_vgpr5
                                        ; implicit-def: $vgpr21
                                        ; implicit-def: $vgpr6_vgpr7
                                        ; implicit-def: $vgpr22
                                        ; implicit-def: $vgpr8_vgpr9
                                        ; implicit-def: $vgpr23
                                        ; implicit-def: $vgpr10_vgpr11
                                        ; implicit-def: $vgpr24
.LBB72_17:                              ;   in Loop: Header=BB72_5 Depth=1
	s_or_saveexec_b64 s[2:3], s[4:5]
	v_mov_b32_e32 v2, s27
	s_xor_b64 exec, exec, s[2:3]
	s_cbranch_execz .LBB72_4
; %bb.18:                               ;   in Loop: Header=BB72_5 Depth=1
	v_div_scale_f32 v2, s[4:5], v14, v14, 1.0
	v_rcp_f32_e32 v17, v2
	v_div_scale_f32 v18, vcc, 1.0, v14, 1.0
	v_fma_f32 v19, -v2, v17, 1.0
	v_fmac_f32_e32 v17, v19, v17
	v_mul_f32_e32 v19, v18, v17
	v_fma_f32 v25, -v2, v19, v18
	v_fmac_f32_e32 v19, v25, v17
	v_fma_f32 v2, -v2, v19, v18
	v_div_fmas_f32 v2, v2, v17, v19
	v_div_fixup_f32 v14, v2, v14, 1.0
	s_waitcnt vmcnt(3)
	v_mul_f32_e32 v21, v14, v21
	s_waitcnt vmcnt(2)
	v_mul_f32_e32 v19, v14, v22
	;; [unrolled: 2-line block ×4, first 2 shown]
	global_store_dword v[4:5], v21, off
	global_store_dword v[6:7], v19, off
	;; [unrolled: 1-line block ×4, first 2 shown]
	s_and_saveexec_b64 s[4:5], s[0:1]
	s_cbranch_execz .LBB72_3
; %bb.19:                               ;   in Loop: Header=BB72_5 Depth=1
	v_add_u32_e32 v10, v12, v1
	v_add_u32_e32 v2, s28, v10
	v_lshl_add_u64 v[4:5], v[2:3], 2, s[8:9]
	v_add_u32_e32 v2, s29, v10
	global_load_dword v22, v[4:5], off
	v_lshl_add_u64 v[6:7], v[2:3], 2, s[8:9]
	global_load_dword v23, v[6:7], off
	v_add_u32_e32 v2, s30, v10
	v_lshl_add_u64 v[8:9], v[2:3], 2, s[8:9]
	v_add_u32_e32 v2, s31, v10
	v_lshl_add_u64 v[10:11], v[2:3], 2, s[8:9]
	s_waitcnt vmcnt(1)
	v_fma_f32 v2, -v15, v21, v22
	global_store_dword v[4:5], v2, off
	s_waitcnt vmcnt(1)
	v_fma_f32 v2, -v15, v19, v23
	global_store_dword v[6:7], v2, off
	global_load_dword v4, v[8:9], off
	s_nop 0
	global_load_dword v2, v[10:11], off
	s_waitcnt vmcnt(1)
	v_fma_f32 v4, -v15, v18, v4
	global_store_dword v[8:9], v4, off
	s_waitcnt vmcnt(1)
	v_fma_f32 v2, -v15, v17, v2
	global_store_dword v[10:11], v2, off
	s_branch .LBB72_3
.LBB72_20:
	s_or_b64 exec, exec, s[18:19]
	s_branch .LBB72_22
.LBB72_21:
	v_mov_b32_e32 v1, 0
.LBB72_22:
	v_subrev_u32_e32 v1, s22, v1
	v_add_u32_e32 v2, v1, v0
	v_ashrrev_i32_e32 v3, 31, v2
	s_waitcnt lgkmcnt(0)
	v_lshl_add_u64 v[2:3], v[2:3], 2, s[6:7]
	buffer_wbl2 sc1
	s_waitcnt vmcnt(0)
	buffer_inv sc1
	global_load_dword v2, v[2:3], off
	s_waitcnt vmcnt(0)
	v_mul_lo_u32 v2, v2, s22
	v_sub_u32_e32 v1, v1, v2
	v_cmp_lt_i32_e32 vcc, -1, v1
	s_and_b64 exec, exec, vcc
	s_cbranch_execz .LBB72_29
; %bb.23:
	s_lshl_b32 s4, s24, 2
	s_add_i32 s5, s4, s23
	s_add_i32 s12, s5, s23
	;; [unrolled: 1-line block ×3, first 2 shown]
	s_lshl_b32 s14, s22, 1
	s_mov_b64 s[0:1], 0
	v_mov_b32_e32 v3, 0
	s_branch .LBB72_25
.LBB72_24:                              ;   in Loop: Header=BB72_25 Depth=1
	s_or_b64 exec, exec, s[2:3]
	v_sub_u32_e32 v1, v1, v2
	v_cmp_gt_i32_e32 vcc, 0, v1
	s_or_b64 s[0:1], vcc, s[0:1]
	s_andn2_b64 exec, exec, s[0:1]
	s_cbranch_execz .LBB72_29
.LBB72_25:                              ; =>This Inner Loop Header: Depth=1
	v_add_u32_e32 v4, v1, v0
	s_waitcnt vmcnt(0)
	v_ashrrev_i32_e32 v5, 31, v4
	v_lshlrev_b64 v[6:7], 2, v[4:5]
	v_lshl_add_u64 v[8:9], s[6:7], 0, v[6:7]
	global_load_dword v2, v[8:9], off
	v_lshl_add_u64 v[6:7], s[10:11], 0, v[6:7]
	global_load_dword v5, v[6:7], off
	s_waitcnt vmcnt(1)
	v_cmp_ne_u32_e32 vcc, 1, v2
	s_and_saveexec_b64 s[2:3], vcc
	s_xor_b64 s[2:3], exec, s[2:3]
	s_cbranch_execz .LBB72_27
; %bb.26:                               ;   in Loop: Header=BB72_25 Depth=1
	v_add_u32_e32 v13, v12, v1
	v_add_u32_e32 v2, s4, v13
	v_lshl_add_u64 v[6:7], v[2:3], 2, s[8:9]
	v_add_u32_e32 v2, s5, v13
	v_lshl_add_u64 v[8:9], v[2:3], 2, s[8:9]
	v_add_u32_e32 v2, s12, v13
	v_lshl_add_u64 v[10:11], v[2:3], 2, s[8:9]
	v_add_u32_e32 v2, s13, v13
	v_lshl_add_u64 v[14:15], v[2:3], 2, s[8:9]
	v_add_u32_e32 v2, s4, v4
	v_lshl_add_u64 v[16:17], v[2:3], 2, s[8:9]
	global_load_dword v13, v[6:7], off
	global_load_dword v18, v[16:17], off
	;; [unrolled: 1-line block ×5, first 2 shown]
	v_add_u32_e32 v2, s5, v4
	v_lshl_add_u64 v[6:7], v[2:3], 2, s[8:9]
	s_waitcnt vmcnt(3)
	v_fma_f32 v2, -v5, v13, v18
	global_store_dword v[16:17], v2, off
	global_load_dword v10, v[6:7], off
	v_add_u32_e32 v2, s12, v4
	v_lshl_add_u64 v[8:9], v[2:3], 2, s[8:9]
	s_waitcnt vmcnt(0)
	v_fma_f32 v2, -v5, v19, v10
	global_store_dword v[6:7], v2, off
	global_load_dword v10, v[8:9], off
	v_add_u32_e32 v2, s13, v4
	v_lshl_add_u64 v[6:7], v[2:3], 2, s[8:9]
	s_waitcnt vmcnt(0)
	v_fma_f32 v2, -v5, v20, v10
	global_store_dword v[8:9], v2, off
	global_load_dword v4, v[6:7], off
	v_subrev_u32_e32 v2, s22, v1
	v_add_u32_e32 v8, v2, v0
	v_ashrrev_i32_e32 v9, 31, v8
	v_lshl_add_u64 v[10:11], v[8:9], 2, s[10:11]
	v_add_u32_e32 v2, s4, v8
	global_load_dword v9, v[10:11], off
	v_lshl_add_u64 v[10:11], v[2:3], 2, s[8:9]
	s_waitcnt vmcnt(1)
	v_fma_f32 v2, -v5, v21, v4
	global_store_dword v[6:7], v2, off
	global_load_dword v6, v[10:11], off
	v_add_u32_e32 v2, s5, v8
	v_lshl_add_u64 v[4:5], v[2:3], 2, s[8:9]
	s_waitcnt vmcnt(0)
	v_fma_f32 v2, -v9, v13, v6
	global_store_dword v[10:11], v2, off
	global_load_dword v10, v[4:5], off
	v_add_u32_e32 v2, s12, v8
	v_lshl_add_u64 v[6:7], v[2:3], 2, s[8:9]
	s_waitcnt vmcnt(0)
	v_fma_f32 v2, -v9, v19, v10
	global_store_dword v[4:5], v2, off
	global_load_dword v4, v[6:7], off
	v_add_u32_e32 v2, s13, v8
	s_waitcnt vmcnt(0)
	v_fma_f32 v4, -v9, v20, v4
	global_store_dword v[6:7], v4, off
	v_lshl_add_u64 v[4:5], v[2:3], 2, s[8:9]
	global_load_dword v2, v[4:5], off
	s_waitcnt vmcnt(0)
	v_fma_f32 v2, -v9, v21, v2
	global_store_dword v[4:5], v2, off
                                        ; implicit-def: $vgpr4
                                        ; implicit-def: $vgpr5
.LBB72_27:                              ;   in Loop: Header=BB72_25 Depth=1
	s_or_saveexec_b64 s[2:3], s[2:3]
	v_mov_b32_e32 v2, s14
	s_xor_b64 exec, exec, s[2:3]
	s_cbranch_execz .LBB72_24
; %bb.28:                               ;   in Loop: Header=BB72_25 Depth=1
	v_add_u32_e32 v13, v12, v1
	v_add_u32_e32 v2, s4, v13
	v_lshl_add_u64 v[6:7], v[2:3], 2, s[8:9]
	v_add_u32_e32 v2, s4, v4
	v_lshl_add_u64 v[8:9], v[2:3], 2, s[8:9]
	global_load_dword v14, v[6:7], off
	global_load_dword v15, v[8:9], off
	v_add_u32_e32 v2, s5, v13
	v_lshl_add_u64 v[6:7], v[2:3], 2, s[8:9]
	v_add_u32_e32 v2, s5, v4
	v_lshl_add_u64 v[10:11], v[2:3], 2, s[8:9]
	s_waitcnt vmcnt(0)
	v_fma_f32 v2, -v5, v14, v15
	global_store_dword v[8:9], v2, off
	global_load_dword v14, v[6:7], off
	global_load_dword v15, v[10:11], off
	v_add_u32_e32 v2, s12, v13
	v_lshl_add_u64 v[6:7], v[2:3], 2, s[8:9]
	v_add_u32_e32 v2, s12, v4
	v_lshl_add_u64 v[8:9], v[2:3], 2, s[8:9]
	s_waitcnt vmcnt(0)
	v_fma_f32 v2, -v5, v14, v15
	global_store_dword v[10:11], v2, off
	;; [unrolled: 9-line block ×3, first 2 shown]
	global_load_dword v2, v[6:7], off
	s_nop 0
	global_load_dword v4, v[10:11], off
	s_waitcnt vmcnt(0)
	v_fma_f32 v2, -v5, v2, v4
	global_store_dword v[10:11], v2, off
	v_mov_b32_e32 v2, s22
	s_branch .LBB72_24
.LBB72_29:
	s_endpgm
	.section	.rodata,"a",@progbits
	.p2align	6, 0x0
	.amdhsa_kernel _ZN9rocsparseL19gtsv_LBM_rhs_kernelILj256ELj128ELj4EfEEviiiPKT2_S3_S3_PS1_S3_PKi
		.amdhsa_group_segment_fixed_size 0
		.amdhsa_private_segment_fixed_size 0
		.amdhsa_kernarg_size 64
		.amdhsa_user_sgpr_count 2
		.amdhsa_user_sgpr_dispatch_ptr 0
		.amdhsa_user_sgpr_queue_ptr 0
		.amdhsa_user_sgpr_kernarg_segment_ptr 1
		.amdhsa_user_sgpr_dispatch_id 0
		.amdhsa_user_sgpr_kernarg_preload_length 0
		.amdhsa_user_sgpr_kernarg_preload_offset 0
		.amdhsa_user_sgpr_private_segment_size 0
		.amdhsa_uses_dynamic_stack 0
		.amdhsa_enable_private_segment 0
		.amdhsa_system_sgpr_workgroup_id_x 1
		.amdhsa_system_sgpr_workgroup_id_y 1
		.amdhsa_system_sgpr_workgroup_id_z 0
		.amdhsa_system_sgpr_workgroup_info 0
		.amdhsa_system_vgpr_workitem_id 0
		.amdhsa_next_free_vgpr 43
		.amdhsa_next_free_sgpr 32
		.amdhsa_accum_offset 44
		.amdhsa_reserve_vcc 1
		.amdhsa_float_round_mode_32 0
		.amdhsa_float_round_mode_16_64 0
		.amdhsa_float_denorm_mode_32 3
		.amdhsa_float_denorm_mode_16_64 3
		.amdhsa_dx10_clamp 1
		.amdhsa_ieee_mode 1
		.amdhsa_fp16_overflow 0
		.amdhsa_tg_split 0
		.amdhsa_exception_fp_ieee_invalid_op 0
		.amdhsa_exception_fp_denorm_src 0
		.amdhsa_exception_fp_ieee_div_zero 0
		.amdhsa_exception_fp_ieee_overflow 0
		.amdhsa_exception_fp_ieee_underflow 0
		.amdhsa_exception_fp_ieee_inexact 0
		.amdhsa_exception_int_div_zero 0
	.end_amdhsa_kernel
	.section	.text._ZN9rocsparseL19gtsv_LBM_rhs_kernelILj256ELj128ELj4EfEEviiiPKT2_S3_S3_PS1_S3_PKi,"axG",@progbits,_ZN9rocsparseL19gtsv_LBM_rhs_kernelILj256ELj128ELj4EfEEviiiPKT2_S3_S3_PS1_S3_PKi,comdat
.Lfunc_end72:
	.size	_ZN9rocsparseL19gtsv_LBM_rhs_kernelILj256ELj128ELj4EfEEviiiPKT2_S3_S3_PS1_S3_PKi, .Lfunc_end72-_ZN9rocsparseL19gtsv_LBM_rhs_kernelILj256ELj128ELj4EfEEviiiPKT2_S3_S3_PS1_S3_PKi
                                        ; -- End function
	.set _ZN9rocsparseL19gtsv_LBM_rhs_kernelILj256ELj128ELj4EfEEviiiPKT2_S3_S3_PS1_S3_PKi.num_vgpr, 43
	.set _ZN9rocsparseL19gtsv_LBM_rhs_kernelILj256ELj128ELj4EfEEviiiPKT2_S3_S3_PS1_S3_PKi.num_agpr, 0
	.set _ZN9rocsparseL19gtsv_LBM_rhs_kernelILj256ELj128ELj4EfEEviiiPKT2_S3_S3_PS1_S3_PKi.numbered_sgpr, 32
	.set _ZN9rocsparseL19gtsv_LBM_rhs_kernelILj256ELj128ELj4EfEEviiiPKT2_S3_S3_PS1_S3_PKi.num_named_barrier, 0
	.set _ZN9rocsparseL19gtsv_LBM_rhs_kernelILj256ELj128ELj4EfEEviiiPKT2_S3_S3_PS1_S3_PKi.private_seg_size, 0
	.set _ZN9rocsparseL19gtsv_LBM_rhs_kernelILj256ELj128ELj4EfEEviiiPKT2_S3_S3_PS1_S3_PKi.uses_vcc, 1
	.set _ZN9rocsparseL19gtsv_LBM_rhs_kernelILj256ELj128ELj4EfEEviiiPKT2_S3_S3_PS1_S3_PKi.uses_flat_scratch, 0
	.set _ZN9rocsparseL19gtsv_LBM_rhs_kernelILj256ELj128ELj4EfEEviiiPKT2_S3_S3_PS1_S3_PKi.has_dyn_sized_stack, 0
	.set _ZN9rocsparseL19gtsv_LBM_rhs_kernelILj256ELj128ELj4EfEEviiiPKT2_S3_S3_PS1_S3_PKi.has_recursion, 0
	.set _ZN9rocsparseL19gtsv_LBM_rhs_kernelILj256ELj128ELj4EfEEviiiPKT2_S3_S3_PS1_S3_PKi.has_indirect_call, 0
	.section	.AMDGPU.csdata,"",@progbits
; Kernel info:
; codeLenInByte = 2440
; TotalNumSgprs: 38
; NumVgprs: 43
; NumAgprs: 0
; TotalNumVgprs: 43
; ScratchSize: 0
; MemoryBound: 0
; FloatMode: 240
; IeeeMode: 1
; LDSByteSize: 0 bytes/workgroup (compile time only)
; SGPRBlocks: 4
; VGPRBlocks: 5
; NumSGPRsForWavesPerEU: 38
; NumVGPRsForWavesPerEU: 43
; AccumOffset: 44
; Occupancy: 8
; WaveLimiterHint : 0
; COMPUTE_PGM_RSRC2:SCRATCH_EN: 0
; COMPUTE_PGM_RSRC2:USER_SGPR: 2
; COMPUTE_PGM_RSRC2:TRAP_HANDLER: 0
; COMPUTE_PGM_RSRC2:TGID_X_EN: 1
; COMPUTE_PGM_RSRC2:TGID_Y_EN: 1
; COMPUTE_PGM_RSRC2:TGID_Z_EN: 0
; COMPUTE_PGM_RSRC2:TIDIG_COMP_CNT: 0
; COMPUTE_PGM_RSRC3_GFX90A:ACCUM_OFFSET: 10
; COMPUTE_PGM_RSRC3_GFX90A:TG_SPLIT: 0
	.section	.text._ZN9rocsparseL19gtsv_LBM_rhs_kernelILj256ELj128ELj2EfEEviiiPKT2_S3_S3_PS1_S3_PKi,"axG",@progbits,_ZN9rocsparseL19gtsv_LBM_rhs_kernelILj256ELj128ELj2EfEEviiiPKT2_S3_S3_PS1_S3_PKi,comdat
	.globl	_ZN9rocsparseL19gtsv_LBM_rhs_kernelILj256ELj128ELj2EfEEviiiPKT2_S3_S3_PS1_S3_PKi ; -- Begin function _ZN9rocsparseL19gtsv_LBM_rhs_kernelILj256ELj128ELj2EfEEviiiPKT2_S3_S3_PS1_S3_PKi
	.p2align	8
	.type	_ZN9rocsparseL19gtsv_LBM_rhs_kernelILj256ELj128ELj2EfEEviiiPKT2_S3_S3_PS1_S3_PKi,@function
_ZN9rocsparseL19gtsv_LBM_rhs_kernelILj256ELj128ELj2EfEEviiiPKT2_S3_S3_PS1_S3_PKi: ; @_ZN9rocsparseL19gtsv_LBM_rhs_kernelILj256ELj128ELj2EfEEviiiPKT2_S3_S3_PS1_S3_PKi
; %bb.0:
	s_load_dword s23, s[0:1], 0x0
	v_lshl_or_b32 v0, s2, 8, v0
	s_waitcnt lgkmcnt(0)
	s_lshr_b32 s22, s23, 7
	v_cmp_gt_i32_e32 vcc, s22, v0
	s_and_saveexec_b64 s[4:5], vcc
	s_cbranch_execz .LBB73_29
; %bb.1:
	s_load_dwordx4 s[8:11], s[0:1], 0x28
	s_load_dwordx2 s[6:7], s[0:1], 0x38
	s_cmp_lt_i32 s23, 1
	v_add_u32_e32 v8, s22, v0
	s_mul_i32 s24, s3, s23
	s_cbranch_scc1 .LBB73_21
; %bb.2:
	s_load_dwordx4 s[12:15], s[0:1], 0x10
	s_load_dwordx2 s[16:17], s[0:1], 0x20
	v_ashrrev_i32_e32 v1, 31, v0
	s_lshl_b32 s28, s24, 1
	s_mul_i32 s25, s22, 0x7f
	s_waitcnt lgkmcnt(0)
	v_lshl_add_u64 v[2:3], v[0:1], 2, s[14:15]
	global_load_dword v10, v[2:3], off
	s_mul_i32 s26, s22, 0x7e
	s_lshl_b32 s27, s22, 1
	v_add_u32_e32 v9, s22, v8
	s_add_i32 s29, s28, s23
	v_mov_b32_e32 v3, 0
	s_mov_b64 s[18:19], 0
	v_mov_b32_e32 v1, 0
	s_branch .LBB73_5
.LBB73_3:                               ;   in Loop: Header=BB73_5 Depth=1
	s_or_b64 exec, exec, s[4:5]
	v_fma_f32 v10, -v10, v16, v12
	v_mov_b32_e32 v2, s22
.LBB73_4:                               ;   in Loop: Header=BB73_5 Depth=1
	s_or_b64 exec, exec, s[2:3]
	v_add_u32_e32 v1, v2, v1
	v_cmp_le_i32_e32 vcc, s23, v1
	s_or_b64 s[18:19], vcc, s[18:19]
	s_andn2_b64 exec, exec, s[18:19]
	s_cbranch_execz .LBB73_20
.LBB73_5:                               ; =>This Inner Loop Header: Depth=1
	v_add_u32_e32 v6, v1, v0
	v_ashrrev_i32_e32 v7, 31, v6
	v_lshl_add_u64 v[4:5], v[6:7], 2, s[16:17]
	global_load_dword v14, v[4:5], off
	v_cmp_gt_u32_e64 s[0:1], s25, v1
	v_mov_b32_e32 v11, 0
	s_and_saveexec_b64 s[2:3], s[0:1]
	s_cbranch_execz .LBB73_7
; %bb.6:                                ;   in Loop: Header=BB73_5 Depth=1
	v_add_u32_e32 v4, v8, v1
	v_ashrrev_i32_e32 v5, 31, v4
	v_lshl_add_u64 v[4:5], v[4:5], 2, s[12:13]
	global_load_dword v11, v[4:5], off
.LBB73_7:                               ;   in Loop: Header=BB73_5 Depth=1
	s_or_b64 exec, exec, s[2:3]
	v_mov_b32_e32 v13, 0
	v_mov_b32_e32 v12, 0
	s_and_saveexec_b64 s[2:3], s[0:1]
	s_cbranch_execz .LBB73_9
; %bb.8:                                ;   in Loop: Header=BB73_5 Depth=1
	v_add_u32_e32 v4, v8, v1
	v_ashrrev_i32_e32 v5, 31, v4
	v_lshl_add_u64 v[4:5], v[4:5], 2, s[14:15]
	global_load_dword v12, v[4:5], off
.LBB73_9:                               ;   in Loop: Header=BB73_5 Depth=1
	s_or_b64 exec, exec, s[2:3]
	s_and_saveexec_b64 s[2:3], s[0:1]
	s_cbranch_execz .LBB73_11
; %bb.10:                               ;   in Loop: Header=BB73_5 Depth=1
	v_add_u32_e32 v4, v8, v1
	v_ashrrev_i32_e32 v5, 31, v4
	v_lshl_add_u64 v[4:5], v[4:5], 2, s[16:17]
	global_load_dword v13, v[4:5], off
.LBB73_11:                              ;   in Loop: Header=BB73_5 Depth=1
	s_or_b64 exec, exec, s[2:3]
	v_cmp_gt_u32_e64 s[2:3], s26, v1
	v_mov_b32_e32 v15, 0
	s_and_saveexec_b64 s[4:5], s[2:3]
	s_cbranch_execz .LBB73_13
; %bb.12:                               ;   in Loop: Header=BB73_5 Depth=1
	v_add_u32_e32 v4, v9, v1
	v_ashrrev_i32_e32 v5, 31, v4
	v_lshl_add_u64 v[4:5], v[4:5], 2, s[12:13]
	global_load_dword v15, v[4:5], off
.LBB73_13:                              ;   in Loop: Header=BB73_5 Depth=1
	s_or_b64 exec, exec, s[4:5]
	v_lshl_add_u64 v[4:5], v[6:7], 2, s[6:7]
	global_load_dword v16, v[4:5], off
	v_add_u32_e32 v2, s28, v6
	v_lshl_add_u64 v[4:5], v[2:3], 2, s[8:9]
	v_add_u32_e32 v2, s29, v6
	v_lshl_add_u64 v[6:7], v[2:3], 2, s[8:9]
	global_load_dword v17, v[4:5], off
	global_load_dword v18, v[6:7], off
	v_cmp_ne_u32_e32 vcc, s25, v1
	s_waitcnt vmcnt(2)
	v_cmp_ne_u32_e64 s[4:5], 1, v16
	s_and_b64 s[4:5], vcc, s[4:5]
	v_mul_f32_e32 v16, v14, v11
	s_and_saveexec_b64 s[20:21], s[4:5]
	s_xor_b64 s[4:5], exec, s[20:21]
	s_cbranch_execz .LBB73_17
; %bb.14:                               ;   in Loop: Header=BB73_5 Depth=1
	v_add_u32_e32 v19, v8, v1
	v_add_u32_e32 v2, s28, v19
	v_lshl_add_u64 v[22:23], v[2:3], 2, s[8:9]
	v_add_u32_e32 v2, s29, v19
	v_lshl_add_u64 v[24:25], v[2:3], 2, s[8:9]
	global_load_dword v2, v[22:23], off
	global_load_dword v20, v[24:25], off
	v_fma_f32 v16, v10, v12, -v16
	v_div_scale_f32 v19, s[20:21], v16, v16, 1.0
	v_rcp_f32_e32 v21, v19
	v_div_scale_f32 v26, vcc, 1.0, v16, 1.0
	v_fma_f32 v27, -v19, v21, 1.0
	v_fmac_f32_e32 v21, v27, v21
	v_mul_f32_e32 v27, v26, v21
	v_fma_f32 v28, -v19, v27, v26
	v_fmac_f32_e32 v27, v28, v21
	v_fma_f32 v19, -v19, v27, v26
	v_div_fmas_f32 v19, v19, v21, v27
	v_div_fixup_f32 v16, v19, v16, 1.0
	s_waitcnt vmcnt(3)
	v_mul_f32_e32 v17, v16, v17
	s_waitcnt vmcnt(2)
	v_mul_f32_e32 v18, v16, v18
	v_mul_f32_e32 v21, v11, v17
	;; [unrolled: 1-line block ×3, first 2 shown]
	s_waitcnt vmcnt(1)
	v_mul_f32_e32 v19, v16, v2
	s_waitcnt vmcnt(0)
	v_mul_f32_e32 v20, v16, v20
	v_mul_f32_e32 v2, v14, v19
	v_fma_f32 v2, v12, v17, -v2
	v_mul_f32_e32 v14, v14, v20
	global_store_dword v[4:5], v2, off
	v_fma_f32 v2, v12, v18, -v14
	v_fma_f32 v21, v10, v19, -v21
	;; [unrolled: 1-line block ×3, first 2 shown]
	global_store_dword v[6:7], v2, off
	global_store_dword v[22:23], v21, off
	;; [unrolled: 1-line block ×3, first 2 shown]
	v_mov_b32_e32 v2, 0
	s_and_saveexec_b64 s[20:21], s[2:3]
	s_cbranch_execz .LBB73_16
; %bb.15:                               ;   in Loop: Header=BB73_5 Depth=1
	v_add_u32_e32 v4, v9, v1
	v_add_u32_e32 v2, s28, v4
	v_lshl_add_u64 v[6:7], v[2:3], 2, s[8:9]
	v_add_u32_e32 v2, s29, v4
	v_ashrrev_i32_e32 v5, 31, v4
	v_lshl_add_u64 v[22:23], v[2:3], 2, s[8:9]
	global_load_dword v2, v[6:7], off
	global_load_dword v12, v[22:23], off
	v_lshl_add_u64 v[4:5], v[4:5], 2, s[14:15]
	global_load_dword v4, v[4:5], off
	v_mul_f32_e32 v10, v10, v15
	v_mul_f32_e32 v5, v11, v15
	;; [unrolled: 1-line block ×4, first 2 shown]
	v_fma_f32 v11, v5, v17, -v11
	v_fma_f32 v5, v5, v18, -v14
	v_mul_f32_e32 v10, v13, v10
	s_waitcnt vmcnt(2)
	v_add_f32_e32 v2, v11, v2
	global_store_dword v[6:7], v2, off
	s_waitcnt vmcnt(2)
	v_add_f32_e32 v2, v5, v12
	global_store_dword v[22:23], v2, off
	s_waitcnt vmcnt(2)
	v_fma_f32 v2, -v16, v10, v4
.LBB73_16:                              ;   in Loop: Header=BB73_5 Depth=1
	s_or_b64 exec, exec, s[20:21]
	v_mov_b32_e32 v10, v2
                                        ; implicit-def: $vgpr16
                                        ; implicit-def: $vgpr12
                                        ; implicit-def: $vgpr17
                                        ; implicit-def: $vgpr18
                                        ; implicit-def: $vgpr4_vgpr5
                                        ; implicit-def: $vgpr6_vgpr7
                                        ; implicit-def: $vgpr11
.LBB73_17:                              ;   in Loop: Header=BB73_5 Depth=1
	s_or_saveexec_b64 s[2:3], s[4:5]
	v_mov_b32_e32 v2, s27
	s_xor_b64 exec, exec, s[2:3]
	s_cbranch_execz .LBB73_4
; %bb.18:                               ;   in Loop: Header=BB73_5 Depth=1
	v_div_scale_f32 v2, s[4:5], v10, v10, 1.0
	v_rcp_f32_e32 v13, v2
	v_div_scale_f32 v14, vcc, 1.0, v10, 1.0
	v_fma_f32 v15, -v2, v13, 1.0
	v_fmac_f32_e32 v13, v15, v13
	v_mul_f32_e32 v15, v14, v13
	v_fma_f32 v19, -v2, v15, v14
	v_fmac_f32_e32 v15, v19, v13
	v_fma_f32 v2, -v2, v15, v14
	v_div_fmas_f32 v2, v2, v13, v15
	v_div_fixup_f32 v10, v2, v10, 1.0
	s_waitcnt vmcnt(1)
	v_mul_f32_e32 v14, v10, v17
	s_waitcnt vmcnt(0)
	v_mul_f32_e32 v13, v10, v18
	global_store_dword v[4:5], v14, off
	global_store_dword v[6:7], v13, off
	s_and_saveexec_b64 s[4:5], s[0:1]
	s_cbranch_execz .LBB73_3
; %bb.19:                               ;   in Loop: Header=BB73_5 Depth=1
	v_add_u32_e32 v6, v8, v1
	v_add_u32_e32 v2, s28, v6
	v_lshl_add_u64 v[4:5], v[2:3], 2, s[8:9]
	v_add_u32_e32 v2, s29, v6
	v_lshl_add_u64 v[6:7], v[2:3], 2, s[8:9]
	global_load_dword v15, v[4:5], off
	global_load_dword v2, v[6:7], off
	s_waitcnt vmcnt(1)
	v_fma_f32 v14, -v11, v14, v15
	s_waitcnt vmcnt(0)
	v_fma_f32 v2, -v11, v13, v2
	global_store_dword v[4:5], v14, off
	global_store_dword v[6:7], v2, off
	s_branch .LBB73_3
.LBB73_20:
	s_or_b64 exec, exec, s[18:19]
	s_branch .LBB73_22
.LBB73_21:
	v_mov_b32_e32 v1, 0
.LBB73_22:
	v_subrev_u32_e32 v1, s22, v1
	v_add_u32_e32 v2, v1, v0
	v_ashrrev_i32_e32 v3, 31, v2
	s_waitcnt lgkmcnt(0)
	v_lshl_add_u64 v[2:3], v[2:3], 2, s[6:7]
	buffer_wbl2 sc1
	s_waitcnt vmcnt(0)
	buffer_inv sc1
	global_load_dword v2, v[2:3], off
	s_waitcnt vmcnt(0)
	v_mul_lo_u32 v2, v2, s22
	v_sub_u32_e32 v1, v1, v2
	v_cmp_lt_i32_e32 vcc, -1, v1
	s_and_b64 exec, exec, vcc
	s_cbranch_execz .LBB73_29
; %bb.23:
	s_lshl_b32 s4, s24, 1
	s_add_i32 s5, s4, s23
	s_lshl_b32 s12, s22, 1
	s_mov_b64 s[0:1], 0
	v_mov_b32_e32 v3, 0
	s_branch .LBB73_25
.LBB73_24:                              ;   in Loop: Header=BB73_25 Depth=1
	s_or_b64 exec, exec, s[2:3]
	v_sub_u32_e32 v1, v1, v2
	v_cmp_gt_i32_e32 vcc, 0, v1
	s_or_b64 s[0:1], vcc, s[0:1]
	s_andn2_b64 exec, exec, s[0:1]
	s_cbranch_execz .LBB73_29
.LBB73_25:                              ; =>This Inner Loop Header: Depth=1
	v_add_u32_e32 v4, v1, v0
	s_waitcnt vmcnt(0)
	v_ashrrev_i32_e32 v5, 31, v4
	v_lshlrev_b64 v[6:7], 2, v[4:5]
	v_lshl_add_u64 v[10:11], s[6:7], 0, v[6:7]
	global_load_dword v2, v[10:11], off
	v_lshl_add_u64 v[6:7], s[10:11], 0, v[6:7]
	global_load_dword v5, v[6:7], off
	s_waitcnt vmcnt(1)
	v_cmp_ne_u32_e32 vcc, 1, v2
	s_and_saveexec_b64 s[2:3], vcc
	s_xor_b64 s[2:3], exec, s[2:3]
	s_cbranch_execz .LBB73_27
; %bb.26:                               ;   in Loop: Header=BB73_25 Depth=1
	v_add_u32_e32 v9, v8, v1
	v_add_u32_e32 v2, s4, v9
	v_lshl_add_u64 v[6:7], v[2:3], 2, s[8:9]
	v_add_u32_e32 v2, s5, v9
	v_lshl_add_u64 v[10:11], v[2:3], 2, s[8:9]
	;; [unrolled: 2-line block ×3, first 2 shown]
	global_load_dword v9, v[6:7], off
	global_load_dword v14, v[12:13], off
	;; [unrolled: 1-line block ×3, first 2 shown]
	v_add_u32_e32 v2, s5, v4
	v_lshl_add_u64 v[6:7], v[2:3], 2, s[8:9]
	s_waitcnt vmcnt(1)
	v_fma_f32 v2, -v5, v9, v14
	global_store_dword v[12:13], v2, off
	global_load_dword v4, v[6:7], off
	v_subrev_u32_e32 v2, s22, v1
	v_add_u32_e32 v10, v2, v0
	v_ashrrev_i32_e32 v11, 31, v10
	v_lshl_add_u64 v[12:13], v[10:11], 2, s[10:11]
	v_add_u32_e32 v2, s4, v10
	global_load_dword v11, v[12:13], off
	v_lshl_add_u64 v[12:13], v[2:3], 2, s[8:9]
	s_waitcnt vmcnt(1)
	v_fma_f32 v2, -v5, v15, v4
	global_store_dword v[6:7], v2, off
	global_load_dword v4, v[12:13], off
	v_add_u32_e32 v2, s5, v10
	s_waitcnt vmcnt(0)
	v_fma_f32 v4, -v11, v9, v4
	global_store_dword v[12:13], v4, off
	v_lshl_add_u64 v[4:5], v[2:3], 2, s[8:9]
	global_load_dword v2, v[4:5], off
	s_waitcnt vmcnt(0)
	v_fma_f32 v2, -v11, v15, v2
	global_store_dword v[4:5], v2, off
                                        ; implicit-def: $vgpr4
                                        ; implicit-def: $vgpr5
.LBB73_27:                              ;   in Loop: Header=BB73_25 Depth=1
	s_or_saveexec_b64 s[2:3], s[2:3]
	v_mov_b32_e32 v2, s12
	s_xor_b64 exec, exec, s[2:3]
	s_cbranch_execz .LBB73_24
; %bb.28:                               ;   in Loop: Header=BB73_25 Depth=1
	v_add_u32_e32 v9, v8, v1
	v_add_u32_e32 v2, s4, v9
	v_lshl_add_u64 v[6:7], v[2:3], 2, s[8:9]
	v_add_u32_e32 v2, s4, v4
	v_lshl_add_u64 v[10:11], v[2:3], 2, s[8:9]
	global_load_dword v14, v[6:7], off
	global_load_dword v15, v[10:11], off
	v_add_u32_e32 v2, s5, v9
	v_lshl_add_u64 v[6:7], v[2:3], 2, s[8:9]
	v_add_u32_e32 v2, s5, v4
	v_lshl_add_u64 v[12:13], v[2:3], 2, s[8:9]
	s_waitcnt vmcnt(0)
	v_fma_f32 v2, -v5, v14, v15
	global_store_dword v[10:11], v2, off
	global_load_dword v2, v[6:7], off
	s_nop 0
	global_load_dword v4, v[12:13], off
	s_waitcnt vmcnt(0)
	v_fma_f32 v2, -v5, v2, v4
	global_store_dword v[12:13], v2, off
	v_mov_b32_e32 v2, s22
	s_branch .LBB73_24
.LBB73_29:
	s_endpgm
	.section	.rodata,"a",@progbits
	.p2align	6, 0x0
	.amdhsa_kernel _ZN9rocsparseL19gtsv_LBM_rhs_kernelILj256ELj128ELj2EfEEviiiPKT2_S3_S3_PS1_S3_PKi
		.amdhsa_group_segment_fixed_size 0
		.amdhsa_private_segment_fixed_size 0
		.amdhsa_kernarg_size 64
		.amdhsa_user_sgpr_count 2
		.amdhsa_user_sgpr_dispatch_ptr 0
		.amdhsa_user_sgpr_queue_ptr 0
		.amdhsa_user_sgpr_kernarg_segment_ptr 1
		.amdhsa_user_sgpr_dispatch_id 0
		.amdhsa_user_sgpr_kernarg_preload_length 0
		.amdhsa_user_sgpr_kernarg_preload_offset 0
		.amdhsa_user_sgpr_private_segment_size 0
		.amdhsa_uses_dynamic_stack 0
		.amdhsa_enable_private_segment 0
		.amdhsa_system_sgpr_workgroup_id_x 1
		.amdhsa_system_sgpr_workgroup_id_y 1
		.amdhsa_system_sgpr_workgroup_id_z 0
		.amdhsa_system_sgpr_workgroup_info 0
		.amdhsa_system_vgpr_workitem_id 0
		.amdhsa_next_free_vgpr 29
		.amdhsa_next_free_sgpr 30
		.amdhsa_accum_offset 32
		.amdhsa_reserve_vcc 1
		.amdhsa_float_round_mode_32 0
		.amdhsa_float_round_mode_16_64 0
		.amdhsa_float_denorm_mode_32 3
		.amdhsa_float_denorm_mode_16_64 3
		.amdhsa_dx10_clamp 1
		.amdhsa_ieee_mode 1
		.amdhsa_fp16_overflow 0
		.amdhsa_tg_split 0
		.amdhsa_exception_fp_ieee_invalid_op 0
		.amdhsa_exception_fp_denorm_src 0
		.amdhsa_exception_fp_ieee_div_zero 0
		.amdhsa_exception_fp_ieee_overflow 0
		.amdhsa_exception_fp_ieee_underflow 0
		.amdhsa_exception_fp_ieee_inexact 0
		.amdhsa_exception_int_div_zero 0
	.end_amdhsa_kernel
	.section	.text._ZN9rocsparseL19gtsv_LBM_rhs_kernelILj256ELj128ELj2EfEEviiiPKT2_S3_S3_PS1_S3_PKi,"axG",@progbits,_ZN9rocsparseL19gtsv_LBM_rhs_kernelILj256ELj128ELj2EfEEviiiPKT2_S3_S3_PS1_S3_PKi,comdat
.Lfunc_end73:
	.size	_ZN9rocsparseL19gtsv_LBM_rhs_kernelILj256ELj128ELj2EfEEviiiPKT2_S3_S3_PS1_S3_PKi, .Lfunc_end73-_ZN9rocsparseL19gtsv_LBM_rhs_kernelILj256ELj128ELj2EfEEviiiPKT2_S3_S3_PS1_S3_PKi
                                        ; -- End function
	.set _ZN9rocsparseL19gtsv_LBM_rhs_kernelILj256ELj128ELj2EfEEviiiPKT2_S3_S3_PS1_S3_PKi.num_vgpr, 29
	.set _ZN9rocsparseL19gtsv_LBM_rhs_kernelILj256ELj128ELj2EfEEviiiPKT2_S3_S3_PS1_S3_PKi.num_agpr, 0
	.set _ZN9rocsparseL19gtsv_LBM_rhs_kernelILj256ELj128ELj2EfEEviiiPKT2_S3_S3_PS1_S3_PKi.numbered_sgpr, 30
	.set _ZN9rocsparseL19gtsv_LBM_rhs_kernelILj256ELj128ELj2EfEEviiiPKT2_S3_S3_PS1_S3_PKi.num_named_barrier, 0
	.set _ZN9rocsparseL19gtsv_LBM_rhs_kernelILj256ELj128ELj2EfEEviiiPKT2_S3_S3_PS1_S3_PKi.private_seg_size, 0
	.set _ZN9rocsparseL19gtsv_LBM_rhs_kernelILj256ELj128ELj2EfEEviiiPKT2_S3_S3_PS1_S3_PKi.uses_vcc, 1
	.set _ZN9rocsparseL19gtsv_LBM_rhs_kernelILj256ELj128ELj2EfEEviiiPKT2_S3_S3_PS1_S3_PKi.uses_flat_scratch, 0
	.set _ZN9rocsparseL19gtsv_LBM_rhs_kernelILj256ELj128ELj2EfEEviiiPKT2_S3_S3_PS1_S3_PKi.has_dyn_sized_stack, 0
	.set _ZN9rocsparseL19gtsv_LBM_rhs_kernelILj256ELj128ELj2EfEEviiiPKT2_S3_S3_PS1_S3_PKi.has_recursion, 0
	.set _ZN9rocsparseL19gtsv_LBM_rhs_kernelILj256ELj128ELj2EfEEviiiPKT2_S3_S3_PS1_S3_PKi.has_indirect_call, 0
	.section	.AMDGPU.csdata,"",@progbits
; Kernel info:
; codeLenInByte = 1704
; TotalNumSgprs: 36
; NumVgprs: 29
; NumAgprs: 0
; TotalNumVgprs: 29
; ScratchSize: 0
; MemoryBound: 0
; FloatMode: 240
; IeeeMode: 1
; LDSByteSize: 0 bytes/workgroup (compile time only)
; SGPRBlocks: 4
; VGPRBlocks: 3
; NumSGPRsForWavesPerEU: 36
; NumVGPRsForWavesPerEU: 29
; AccumOffset: 32
; Occupancy: 8
; WaveLimiterHint : 0
; COMPUTE_PGM_RSRC2:SCRATCH_EN: 0
; COMPUTE_PGM_RSRC2:USER_SGPR: 2
; COMPUTE_PGM_RSRC2:TRAP_HANDLER: 0
; COMPUTE_PGM_RSRC2:TGID_X_EN: 1
; COMPUTE_PGM_RSRC2:TGID_Y_EN: 1
; COMPUTE_PGM_RSRC2:TGID_Z_EN: 0
; COMPUTE_PGM_RSRC2:TIDIG_COMP_CNT: 0
; COMPUTE_PGM_RSRC3_GFX90A:ACCUM_OFFSET: 7
; COMPUTE_PGM_RSRC3_GFX90A:TG_SPLIT: 0
	.section	.text._ZN9rocsparseL19gtsv_LBM_rhs_kernelILj256ELj128ELj1EfEEviiiPKT2_S3_S3_PS1_S3_PKi,"axG",@progbits,_ZN9rocsparseL19gtsv_LBM_rhs_kernelILj256ELj128ELj1EfEEviiiPKT2_S3_S3_PS1_S3_PKi,comdat
	.globl	_ZN9rocsparseL19gtsv_LBM_rhs_kernelILj256ELj128ELj1EfEEviiiPKT2_S3_S3_PS1_S3_PKi ; -- Begin function _ZN9rocsparseL19gtsv_LBM_rhs_kernelILj256ELj128ELj1EfEEviiiPKT2_S3_S3_PS1_S3_PKi
	.p2align	8
	.type	_ZN9rocsparseL19gtsv_LBM_rhs_kernelILj256ELj128ELj1EfEEviiiPKT2_S3_S3_PS1_S3_PKi,@function
_ZN9rocsparseL19gtsv_LBM_rhs_kernelILj256ELj128ELj1EfEEviiiPKT2_S3_S3_PS1_S3_PKi: ; @_ZN9rocsparseL19gtsv_LBM_rhs_kernelILj256ELj128ELj1EfEEviiiPKT2_S3_S3_PS1_S3_PKi
; %bb.0:
	s_load_dword s24, s[0:1], 0x0
	v_lshl_or_b32 v0, s2, 8, v0
	s_waitcnt lgkmcnt(0)
	s_lshr_b32 s22, s24, 7
	v_cmp_gt_i32_e32 vcc, s22, v0
	s_and_saveexec_b64 s[4:5], vcc
	s_cbranch_execz .LBB74_29
; %bb.1:
	s_load_dwordx4 s[8:11], s[0:1], 0x28
	s_load_dwordx2 s[6:7], s[0:1], 0x38
	s_cmp_lt_i32 s24, 1
	s_mul_i32 s23, s24, s3
	s_cbranch_scc1 .LBB74_21
; %bb.2:
	s_load_dwordx4 s[12:15], s[0:1], 0x10
	s_load_dwordx2 s[16:17], s[0:1], 0x20
	v_ashrrev_i32_e32 v1, 31, v0
	v_add_u32_e32 v13, s22, v0
	s_mul_i32 s25, s22, 0x7f
	s_waitcnt lgkmcnt(0)
	v_lshl_add_u64 v[2:3], v[0:1], 2, s[14:15]
	global_load_dword v5, v[2:3], off
	s_mul_i32 s26, s22, 0x7e
	s_lshl_b32 s27, s22, 1
	v_add_u32_e32 v14, s22, v13
	v_add_u32_e32 v15, s23, v13
	v_mov_b32_e32 v3, 0
	s_mov_b64 s[18:19], 0
	v_mov_b32_e32 v1, 0
	s_branch .LBB74_5
.LBB74_3:                               ;   in Loop: Header=BB74_5 Depth=1
	s_or_b64 exec, exec, s[4:5]
	v_fma_f32 v5, -v5, v7, v16
	v_mov_b32_e32 v2, s22
.LBB74_4:                               ;   in Loop: Header=BB74_5 Depth=1
	s_or_b64 exec, exec, s[2:3]
	v_add_u32_e32 v1, v2, v1
	v_cmp_le_i32_e32 vcc, s24, v1
	s_or_b64 s[18:19], vcc, s[18:19]
	s_andn2_b64 exec, exec, s[18:19]
	s_cbranch_execz .LBB74_20
.LBB74_5:                               ; =>This Inner Loop Header: Depth=1
	v_add_u32_e32 v8, v1, v0
	v_ashrrev_i32_e32 v9, 31, v8
	v_lshl_add_u64 v[6:7], v[8:9], 2, s[16:17]
	global_load_dword v18, v[6:7], off
	v_cmp_gt_u32_e64 s[0:1], s25, v1
	v_add_u32_e32 v6, v13, v1
	v_mov_b32_e32 v4, 0
	s_and_saveexec_b64 s[2:3], s[0:1]
	s_cbranch_execz .LBB74_7
; %bb.6:                                ;   in Loop: Header=BB74_5 Depth=1
	v_ashrrev_i32_e32 v7, 31, v6
	s_waitcnt vmcnt(1)
	v_lshl_add_u64 v[10:11], v[6:7], 2, s[12:13]
	global_load_dword v4, v[10:11], off
.LBB74_7:                               ;   in Loop: Header=BB74_5 Depth=1
	s_or_b64 exec, exec, s[2:3]
	v_mov_b32_e32 v17, 0
	v_mov_b32_e32 v16, 0
	s_and_saveexec_b64 s[2:3], s[0:1]
	s_cbranch_execz .LBB74_9
; %bb.8:                                ;   in Loop: Header=BB74_5 Depth=1
	v_ashrrev_i32_e32 v7, 31, v6
	s_waitcnt vmcnt(1)
	v_lshl_add_u64 v[10:11], v[6:7], 2, s[14:15]
	global_load_dword v16, v[10:11], off
.LBB74_9:                               ;   in Loop: Header=BB74_5 Depth=1
	s_or_b64 exec, exec, s[2:3]
	s_and_saveexec_b64 s[2:3], s[0:1]
	s_cbranch_execz .LBB74_11
; %bb.10:                               ;   in Loop: Header=BB74_5 Depth=1
	v_ashrrev_i32_e32 v7, 31, v6
	v_lshl_add_u64 v[6:7], v[6:7], 2, s[16:17]
	global_load_dword v17, v[6:7], off
.LBB74_11:                              ;   in Loop: Header=BB74_5 Depth=1
	s_or_b64 exec, exec, s[2:3]
	v_cmp_gt_u32_e64 s[2:3], s26, v1
	v_mov_b32_e32 v6, 0
	s_and_saveexec_b64 s[4:5], s[2:3]
	s_cbranch_execz .LBB74_13
; %bb.12:                               ;   in Loop: Header=BB74_5 Depth=1
	v_add_u32_e32 v6, v14, v1
	v_ashrrev_i32_e32 v7, 31, v6
	v_lshl_add_u64 v[6:7], v[6:7], 2, s[12:13]
	global_load_dword v6, v[6:7], off
.LBB74_13:                              ;   in Loop: Header=BB74_5 Depth=1
	s_or_b64 exec, exec, s[4:5]
	s_waitcnt vmcnt(1)
	v_lshl_add_u64 v[10:11], v[8:9], 2, s[6:7]
	global_load_dword v7, v[10:11], off
	v_add_u32_e32 v2, s23, v8
	v_lshl_add_u64 v[8:9], v[2:3], 2, s[8:9]
	global_load_dword v10, v[8:9], off
	v_cmp_ne_u32_e32 vcc, s25, v1
	s_waitcnt vmcnt(1)
	v_cmp_ne_u32_e64 s[4:5], 1, v7
	s_and_b64 s[4:5], vcc, s[4:5]
	v_mul_f32_e32 v7, v18, v4
	s_and_saveexec_b64 s[20:21], s[4:5]
	s_xor_b64 s[4:5], exec, s[20:21]
	s_cbranch_execz .LBB74_17
; %bb.14:                               ;   in Loop: Header=BB74_5 Depth=1
	v_add_u32_e32 v2, v15, v1
	v_lshl_add_u64 v[20:21], v[2:3], 2, s[8:9]
	global_load_dword v11, v[20:21], off
	v_fma_f32 v2, v5, v16, -v7
	v_div_scale_f32 v7, s[20:21], v2, v2, 1.0
	v_rcp_f32_e32 v12, v7
	v_div_scale_f32 v19, vcc, 1.0, v2, 1.0
	v_fma_f32 v22, -v7, v12, 1.0
	v_fmac_f32_e32 v12, v22, v12
	v_mul_f32_e32 v22, v19, v12
	v_fma_f32 v23, -v7, v22, v19
	v_fmac_f32_e32 v22, v23, v12
	v_fma_f32 v7, -v7, v22, v19
	v_div_fmas_f32 v7, v7, v12, v22
	v_div_fixup_f32 v12, v7, v2, 1.0
	s_waitcnt vmcnt(0)
	v_pk_mul_f32 v[10:11], v[12:13], v[10:11] op_sel_hi:[0,1]
	v_mul_f32_e32 v2, v18, v11
	v_mul_f32_e32 v7, v4, v10
	v_fma_f32 v2, v16, v10, -v2
	v_fma_f32 v7, v5, v11, -v7
	global_store_dword v[8:9], v2, off
	global_store_dword v[20:21], v7, off
	v_mov_b32_e32 v2, 0
	s_and_saveexec_b64 s[20:21], s[2:3]
	s_cbranch_execz .LBB74_16
; %bb.15:                               ;   in Loop: Header=BB74_5 Depth=1
	v_add_u32_e32 v8, v14, v1
	v_add_u32_e32 v2, s23, v8
	v_lshl_add_u64 v[18:19], v[2:3], 2, s[8:9]
	v_ashrrev_i32_e32 v9, 31, v8
	global_load_dword v2, v[18:19], off
	v_lshl_add_u64 v[8:9], v[8:9], 2, s[14:15]
	global_load_dword v8, v[8:9], off
	v_pk_mul_f32 v[4:5], v[4:5], v[6:7] op_sel_hi:[1,0]
	s_nop 0
	v_pk_mul_f32 v[6:7], v[4:5], v[10:11]
	v_mul_f32_e32 v4, v17, v5
	v_sub_f32_e32 v5, v6, v7
	s_waitcnt vmcnt(1)
	v_add_f32_e32 v2, v5, v2
	global_store_dword v[18:19], v2, off
	s_waitcnt vmcnt(1)
	v_fma_f32 v2, -v12, v4, v8
.LBB74_16:                              ;   in Loop: Header=BB74_5 Depth=1
	s_or_b64 exec, exec, s[20:21]
	v_mov_b32_e32 v5, v2
                                        ; implicit-def: $vgpr7
                                        ; implicit-def: $vgpr16
                                        ; implicit-def: $vgpr10
                                        ; implicit-def: $vgpr8_vgpr9
.LBB74_17:                              ;   in Loop: Header=BB74_5 Depth=1
	s_or_saveexec_b64 s[2:3], s[4:5]
	v_mov_b32_e32 v2, s27
	s_xor_b64 exec, exec, s[2:3]
	s_cbranch_execz .LBB74_4
; %bb.18:                               ;   in Loop: Header=BB74_5 Depth=1
	v_div_scale_f32 v2, s[4:5], v5, v5, 1.0
	v_rcp_f32_e32 v6, v2
	v_div_scale_f32 v11, vcc, 1.0, v5, 1.0
	v_fma_f32 v12, -v2, v6, 1.0
	v_fmac_f32_e32 v6, v12, v6
	v_mul_f32_e32 v12, v11, v6
	v_fma_f32 v17, -v2, v12, v11
	v_fmac_f32_e32 v12, v17, v6
	v_fma_f32 v2, -v2, v12, v11
	v_div_fmas_f32 v2, v2, v6, v12
	v_div_fixup_f32 v5, v2, v5, 1.0
	s_waitcnt vmcnt(0)
	v_mul_f32_e32 v6, v5, v10
	global_store_dword v[8:9], v6, off
	s_and_saveexec_b64 s[4:5], s[0:1]
	s_cbranch_execz .LBB74_3
; %bb.19:                               ;   in Loop: Header=BB74_5 Depth=1
	v_add_u32_e32 v2, v15, v1
	v_lshl_add_u64 v[8:9], v[2:3], 2, s[8:9]
	global_load_dword v2, v[8:9], off
	s_waitcnt vmcnt(0)
	v_fma_f32 v2, -v4, v6, v2
	global_store_dword v[8:9], v2, off
	s_branch .LBB74_3
.LBB74_20:
	s_or_b64 exec, exec, s[18:19]
	s_branch .LBB74_22
.LBB74_21:
	v_mov_b32_e32 v1, 0
.LBB74_22:
	v_subrev_u32_e32 v1, s22, v1
	v_add_u32_e32 v2, v1, v0
	v_ashrrev_i32_e32 v3, 31, v2
	s_waitcnt lgkmcnt(0)
	v_lshl_add_u64 v[2:3], v[2:3], 2, s[6:7]
	buffer_wbl2 sc1
	s_waitcnt vmcnt(0)
	buffer_inv sc1
	global_load_dword v2, v[2:3], off
	s_waitcnt vmcnt(0)
	v_mul_lo_u32 v2, v2, s22
	v_sub_u32_e32 v1, v1, v2
	v_cmp_lt_i32_e32 vcc, -1, v1
	s_and_b64 exec, exec, vcc
	s_cbranch_execz .LBB74_29
; %bb.23:
	s_add_i32 s0, s23, s22
	v_add_u32_e32 v6, s0, v0
	s_lshl_b32 s4, s22, 1
	s_mov_b64 s[0:1], 0
	v_mov_b32_e32 v3, 0
	s_branch .LBB74_25
.LBB74_24:                              ;   in Loop: Header=BB74_25 Depth=1
	s_or_b64 exec, exec, s[2:3]
	v_sub_u32_e32 v1, v1, v2
	v_cmp_gt_i32_e32 vcc, 0, v1
	s_or_b64 s[0:1], vcc, s[0:1]
	s_andn2_b64 exec, exec, s[0:1]
	s_cbranch_execz .LBB74_29
.LBB74_25:                              ; =>This Inner Loop Header: Depth=1
	v_add_u32_e32 v4, v1, v0
	s_waitcnt vmcnt(0)
	v_ashrrev_i32_e32 v5, 31, v4
	v_lshlrev_b64 v[8:9], 2, v[4:5]
	v_lshl_add_u64 v[10:11], s[6:7], 0, v[8:9]
	global_load_dword v2, v[10:11], off
	v_lshl_add_u64 v[8:9], s[10:11], 0, v[8:9]
	global_load_dword v5, v[8:9], off
	s_waitcnt vmcnt(1)
	v_cmp_ne_u32_e32 vcc, 1, v2
	s_and_saveexec_b64 s[2:3], vcc
	s_xor_b64 s[2:3], exec, s[2:3]
	s_cbranch_execz .LBB74_27
; %bb.26:                               ;   in Loop: Header=BB74_25 Depth=1
	v_add_u32_e32 v2, v6, v1
	v_lshl_add_u64 v[8:9], v[2:3], 2, s[8:9]
	v_add_u32_e32 v2, s23, v4
	v_lshl_add_u64 v[10:11], v[2:3], 2, s[8:9]
	global_load_dword v7, v[8:9], off
	global_load_dword v4, v[10:11], off
	v_subrev_u32_e32 v2, s22, v1
	v_add_u32_e32 v8, v2, v0
	v_ashrrev_i32_e32 v9, 31, v8
	v_add_u32_e32 v2, s23, v8
	v_lshl_add_u64 v[8:9], v[8:9], 2, s[10:11]
	global_load_dword v8, v[8:9], off
	s_waitcnt vmcnt(1)
	v_fma_f32 v4, -v5, v7, v4
	global_store_dword v[10:11], v4, off
	v_lshl_add_u64 v[4:5], v[2:3], 2, s[8:9]
	global_load_dword v2, v[4:5], off
	s_waitcnt vmcnt(0)
	v_fma_f32 v2, -v8, v7, v2
	global_store_dword v[4:5], v2, off
                                        ; implicit-def: $vgpr4
                                        ; implicit-def: $vgpr5
.LBB74_27:                              ;   in Loop: Header=BB74_25 Depth=1
	s_or_saveexec_b64 s[2:3], s[2:3]
	v_mov_b32_e32 v2, s4
	s_xor_b64 exec, exec, s[2:3]
	s_cbranch_execz .LBB74_24
; %bb.28:                               ;   in Loop: Header=BB74_25 Depth=1
	v_add_u32_e32 v2, v6, v1
	v_lshl_add_u64 v[8:9], v[2:3], 2, s[8:9]
	v_add_u32_e32 v2, s23, v4
	v_lshl_add_u64 v[10:11], v[2:3], 2, s[8:9]
	global_load_dword v2, v[8:9], off
	global_load_dword v4, v[10:11], off
	s_waitcnt vmcnt(0)
	v_fma_f32 v2, -v5, v2, v4
	global_store_dword v[10:11], v2, off
	v_mov_b32_e32 v2, s22
	s_branch .LBB74_24
.LBB74_29:
	s_endpgm
	.section	.rodata,"a",@progbits
	.p2align	6, 0x0
	.amdhsa_kernel _ZN9rocsparseL19gtsv_LBM_rhs_kernelILj256ELj128ELj1EfEEviiiPKT2_S3_S3_PS1_S3_PKi
		.amdhsa_group_segment_fixed_size 0
		.amdhsa_private_segment_fixed_size 0
		.amdhsa_kernarg_size 64
		.amdhsa_user_sgpr_count 2
		.amdhsa_user_sgpr_dispatch_ptr 0
		.amdhsa_user_sgpr_queue_ptr 0
		.amdhsa_user_sgpr_kernarg_segment_ptr 1
		.amdhsa_user_sgpr_dispatch_id 0
		.amdhsa_user_sgpr_kernarg_preload_length 0
		.amdhsa_user_sgpr_kernarg_preload_offset 0
		.amdhsa_user_sgpr_private_segment_size 0
		.amdhsa_uses_dynamic_stack 0
		.amdhsa_enable_private_segment 0
		.amdhsa_system_sgpr_workgroup_id_x 1
		.amdhsa_system_sgpr_workgroup_id_y 1
		.amdhsa_system_sgpr_workgroup_id_z 0
		.amdhsa_system_sgpr_workgroup_info 0
		.amdhsa_system_vgpr_workitem_id 0
		.amdhsa_next_free_vgpr 24
		.amdhsa_next_free_sgpr 28
		.amdhsa_accum_offset 24
		.amdhsa_reserve_vcc 1
		.amdhsa_float_round_mode_32 0
		.amdhsa_float_round_mode_16_64 0
		.amdhsa_float_denorm_mode_32 3
		.amdhsa_float_denorm_mode_16_64 3
		.amdhsa_dx10_clamp 1
		.amdhsa_ieee_mode 1
		.amdhsa_fp16_overflow 0
		.amdhsa_tg_split 0
		.amdhsa_exception_fp_ieee_invalid_op 0
		.amdhsa_exception_fp_denorm_src 0
		.amdhsa_exception_fp_ieee_div_zero 0
		.amdhsa_exception_fp_ieee_overflow 0
		.amdhsa_exception_fp_ieee_underflow 0
		.amdhsa_exception_fp_ieee_inexact 0
		.amdhsa_exception_int_div_zero 0
	.end_amdhsa_kernel
	.section	.text._ZN9rocsparseL19gtsv_LBM_rhs_kernelILj256ELj128ELj1EfEEviiiPKT2_S3_S3_PS1_S3_PKi,"axG",@progbits,_ZN9rocsparseL19gtsv_LBM_rhs_kernelILj256ELj128ELj1EfEEviiiPKT2_S3_S3_PS1_S3_PKi,comdat
.Lfunc_end74:
	.size	_ZN9rocsparseL19gtsv_LBM_rhs_kernelILj256ELj128ELj1EfEEviiiPKT2_S3_S3_PS1_S3_PKi, .Lfunc_end74-_ZN9rocsparseL19gtsv_LBM_rhs_kernelILj256ELj128ELj1EfEEviiiPKT2_S3_S3_PS1_S3_PKi
                                        ; -- End function
	.set _ZN9rocsparseL19gtsv_LBM_rhs_kernelILj256ELj128ELj1EfEEviiiPKT2_S3_S3_PS1_S3_PKi.num_vgpr, 24
	.set _ZN9rocsparseL19gtsv_LBM_rhs_kernelILj256ELj128ELj1EfEEviiiPKT2_S3_S3_PS1_S3_PKi.num_agpr, 0
	.set _ZN9rocsparseL19gtsv_LBM_rhs_kernelILj256ELj128ELj1EfEEviiiPKT2_S3_S3_PS1_S3_PKi.numbered_sgpr, 28
	.set _ZN9rocsparseL19gtsv_LBM_rhs_kernelILj256ELj128ELj1EfEEviiiPKT2_S3_S3_PS1_S3_PKi.num_named_barrier, 0
	.set _ZN9rocsparseL19gtsv_LBM_rhs_kernelILj256ELj128ELj1EfEEviiiPKT2_S3_S3_PS1_S3_PKi.private_seg_size, 0
	.set _ZN9rocsparseL19gtsv_LBM_rhs_kernelILj256ELj128ELj1EfEEviiiPKT2_S3_S3_PS1_S3_PKi.uses_vcc, 1
	.set _ZN9rocsparseL19gtsv_LBM_rhs_kernelILj256ELj128ELj1EfEEviiiPKT2_S3_S3_PS1_S3_PKi.uses_flat_scratch, 0
	.set _ZN9rocsparseL19gtsv_LBM_rhs_kernelILj256ELj128ELj1EfEEviiiPKT2_S3_S3_PS1_S3_PKi.has_dyn_sized_stack, 0
	.set _ZN9rocsparseL19gtsv_LBM_rhs_kernelILj256ELj128ELj1EfEEviiiPKT2_S3_S3_PS1_S3_PKi.has_recursion, 0
	.set _ZN9rocsparseL19gtsv_LBM_rhs_kernelILj256ELj128ELj1EfEEviiiPKT2_S3_S3_PS1_S3_PKi.has_indirect_call, 0
	.section	.AMDGPU.csdata,"",@progbits
; Kernel info:
; codeLenInByte = 1324
; TotalNumSgprs: 34
; NumVgprs: 24
; NumAgprs: 0
; TotalNumVgprs: 24
; ScratchSize: 0
; MemoryBound: 0
; FloatMode: 240
; IeeeMode: 1
; LDSByteSize: 0 bytes/workgroup (compile time only)
; SGPRBlocks: 4
; VGPRBlocks: 2
; NumSGPRsForWavesPerEU: 34
; NumVGPRsForWavesPerEU: 24
; AccumOffset: 24
; Occupancy: 8
; WaveLimiterHint : 0
; COMPUTE_PGM_RSRC2:SCRATCH_EN: 0
; COMPUTE_PGM_RSRC2:USER_SGPR: 2
; COMPUTE_PGM_RSRC2:TRAP_HANDLER: 0
; COMPUTE_PGM_RSRC2:TGID_X_EN: 1
; COMPUTE_PGM_RSRC2:TGID_Y_EN: 1
; COMPUTE_PGM_RSRC2:TGID_Z_EN: 0
; COMPUTE_PGM_RSRC2:TIDIG_COMP_CNT: 0
; COMPUTE_PGM_RSRC3_GFX90A:ACCUM_OFFSET: 5
; COMPUTE_PGM_RSRC3_GFX90A:TG_SPLIT: 0
	.section	.text._ZN9rocsparseL29gtsv_spike_block_level_kernelILj256ELj128EfEEviiiPT1_PKS1_S4_S2_S2_S2_S2_S2_,"axG",@progbits,_ZN9rocsparseL29gtsv_spike_block_level_kernelILj256ELj128EfEEviiiPT1_PKS1_S4_S2_S2_S2_S2_S2_,comdat
	.globl	_ZN9rocsparseL29gtsv_spike_block_level_kernelILj256ELj128EfEEviiiPT1_PKS1_S4_S2_S2_S2_S2_S2_ ; -- Begin function _ZN9rocsparseL29gtsv_spike_block_level_kernelILj256ELj128EfEEviiiPT1_PKS1_S4_S2_S2_S2_S2_S2_
	.p2align	8
	.type	_ZN9rocsparseL29gtsv_spike_block_level_kernelILj256ELj128EfEEviiiPT1_PKS1_S4_S2_S2_S2_S2_S2_,@function
_ZN9rocsparseL29gtsv_spike_block_level_kernelILj256ELj128EfEEviiiPT1_PKS1_S4_S2_S2_S2_S2_S2_: ; @_ZN9rocsparseL29gtsv_spike_block_level_kernelILj256ELj128EfEEviiiPT1_PKS1_S4_S2_S2_S2_S2_S2_
; %bb.0:
	s_load_dword s14, s[0:1], 0x0
	s_load_dwordx2 s[8:9], s[0:1], 0x18
	v_lshl_or_b32 v2, s2, 8, v0
	v_mov_b32_e32 v4, 0
	v_mov_b32_e32 v3, 0
	s_waitcnt lgkmcnt(0)
	s_lshr_b32 s19, s14, 7
	v_cmp_gt_i32_e64 s[4:5], s19, v2
	s_and_saveexec_b64 s[6:7], s[4:5]
	s_cbranch_execz .LBB75_2
; %bb.1:
	v_ashrrev_i32_e32 v3, 31, v2
	v_lshl_add_u64 v[6:7], v[2:3], 2, s[8:9]
	global_load_dword v3, v[6:7], off
.LBB75_2:
	s_or_b64 exec, exec, s[6:7]
	s_load_dwordx2 s[6:7], s[0:1], 0x20
	v_lshlrev_b32_e32 v1, 2, v0
	v_or_b32_e32 v6, 0x800, v1
	s_mul_i32 s18, s19, 0x7f
	s_waitcnt vmcnt(0)
	ds_write_b32 v1, v3 offset:2048
	s_and_saveexec_b64 s[10:11], s[4:5]
	s_cbranch_execz .LBB75_4
; %bb.3:
	s_mul_i32 s12, s19, 0x7f
	v_add_u32_e32 v4, s12, v2
	v_mov_b32_e32 v5, 0
	v_lshl_add_u64 v[4:5], v[4:5], 2, s[8:9]
	global_load_dword v4, v[4:5], off
.LBB75_4:
	s_or_b64 exec, exec, s[10:11]
	s_waitcnt vmcnt(0)
	ds_write_b32 v6, v4 offset:1024
	v_mov_b32_e32 v4, 0
	v_mov_b32_e32 v3, 0
	s_and_saveexec_b64 s[8:9], s[4:5]
	s_cbranch_execz .LBB75_6
; %bb.5:
	v_ashrrev_i32_e32 v3, 31, v2
	s_waitcnt lgkmcnt(0)
	v_lshl_add_u64 v[8:9], v[2:3], 2, s[6:7]
	global_load_dword v3, v[8:9], off
.LBB75_6:
	s_or_b64 exec, exec, s[8:9]
	s_load_dwordx2 s[12:13], s[0:1], 0x10
	s_waitcnt vmcnt(0)
	ds_write_b32 v1, v3
	s_and_saveexec_b64 s[8:9], s[4:5]
	s_cbranch_execz .LBB75_8
; %bb.7:
	s_mul_i32 s10, s19, 0x7f
	v_add_u32_e32 v4, s10, v2
	v_mov_b32_e32 v5, 0
	s_waitcnt lgkmcnt(0)
	v_lshl_add_u64 v[4:5], v[4:5], 2, s[6:7]
	global_load_dword v4, v[4:5], off
.LBB75_8:
	s_or_b64 exec, exec, s[8:9]
	s_mul_i32 s14, s14, s3
	s_waitcnt vmcnt(0)
	ds_write_b32 v1, v4 offset:1024
	v_mov_b32_e32 v3, 0
	v_add_u32_e32 v4, s14, v2
	v_mov_b32_e32 v7, 0
	s_waitcnt lgkmcnt(0)
	s_and_saveexec_b64 s[6:7], s[4:5]
	s_cbranch_execz .LBB75_10
; %bb.9:
	v_ashrrev_i32_e32 v5, 31, v4
	v_lshl_add_u64 v[8:9], v[4:5], 2, s[12:13]
	global_load_dword v7, v[8:9], off
.LBB75_10:
	s_or_b64 exec, exec, s[6:7]
	v_or_b32_e32 v5, 0x1000, v1
	s_waitcnt vmcnt(0)
	ds_write_b32 v1, v7 offset:4096
	s_and_saveexec_b64 s[6:7], s[4:5]
	s_cbranch_execz .LBB75_12
; %bb.11:
	s_mul_i32 s8, s19, 0x7f
	s_add_i32 s8, s8, s14
	v_add_u32_e32 v8, s8, v2
	v_mov_b32_e32 v9, 0
	v_lshl_add_u64 v[8:9], v[8:9], 2, s[12:13]
	global_load_dword v3, v[8:9], off
.LBB75_12:
	s_or_b64 exec, exec, s[6:7]
	s_movk_i32 s6, 0x80
	v_cmp_gt_u32_e32 vcc, s6, v0
	s_waitcnt vmcnt(0)
	ds_write_b32 v5, v3 offset:1024
	s_waitcnt lgkmcnt(0)
	s_barrier
	s_and_saveexec_b64 s[6:7], vcc
	s_cbranch_execz .LBB75_14
; %bb.13:
	v_add_u32_e32 v3, v6, v1
	v_add_u32_e32 v7, v1, v1
	ds_read2st64_b64 v[8:11], v3 offset1:2
	ds_read2st64_b64 v[12:15], v7 offset1:2
	v_add_u32_e32 v22, v5, v1
	ds_read2st64_b64 v[16:19], v22 offset1:2
	s_waitcnt lgkmcnt(1)
	v_fma_f32 v20, -v9, v14, 1.0
	v_div_scale_f32 v21, s[8:9], v20, v20, 1.0
	v_rcp_f32_e32 v23, v21
	v_div_scale_f32 v24, vcc, 1.0, v20, 1.0
	v_fma_f32 v25, -v21, v23, 1.0
	v_fmac_f32_e32 v23, v25, v23
	v_mul_f32_e32 v25, v24, v23
	v_fma_f32 v26, -v21, v25, v24
	v_fmac_f32_e32 v25, v26, v23
	v_fma_f32 v21, -v21, v25, v24
	v_div_fmas_f32 v21, v21, v23, v25
	v_div_fixup_f32 v23, v21, v20, 1.0
	s_waitcnt lgkmcnt(0)
	v_fma_f32 v20, -v14, v17, v18
	v_fma_f32 v17, -v9, v18, v17
	v_mul_f32_e32 v14, v14, v13
	v_mul_f32_e32 v9, v9, v10
	;; [unrolled: 1-line block ×4, first 2 shown]
	v_mul_f32_e64 v14, v14, -v23
	v_mul_f32_e32 v13, v23, v13
	v_mul_f32_e64 v9, v9, -v23
	v_mul_f32_e32 v10, v23, v10
	v_fma_f32 v16, -v17, v12, v16
	v_fma_f32 v21, -v11, v20, v19
	;; [unrolled: 1-line block ×3, first 2 shown]
	v_mul_f32_e64 v12, v13, -v12
	v_fma_f32 v15, -v14, v11, v15
	v_mul_f32_e64 v11, v10, -v11
	ds_write2st64_b64 v22, v[16:17], v[20:21] offset1:2
	ds_write2st64_b64 v7, v[12:13], v[14:15] offset1:2
	;; [unrolled: 1-line block ×3, first 2 shown]
.LBB75_14:
	s_or_b64 exec, exec, s[6:7]
	v_cmp_gt_u32_e32 vcc, 64, v0
	s_waitcnt lgkmcnt(0)
	s_barrier
	s_and_saveexec_b64 s[6:7], vcc
	s_cbranch_execz .LBB75_16
; %bb.15:
	v_lshlrev_b32_e32 v3, 4, v0
	v_add_u32_e32 v7, 0x800, v3
	v_add_u32_e32 v20, 0x400, v3
	ds_read2_b32 v[8:9], v7 offset1:2
	ds_read2_b32 v[10:11], v20 offset0:1 offset1:3
	v_mad_u32_u24 v21, v0, 12, v5
	v_add_u32_e32 v22, 0x400, v21
	v_add_u32_e32 v25, 0xc00, v3
	s_waitcnt lgkmcnt(0)
	v_fma_f32 v16, -v9, v10, 1.0
	v_div_scale_f32 v17, s[8:9], v16, v16, 1.0
	v_rcp_f32_e32 v18, v17
	v_div_scale_f32 v19, vcc, 1.0, v16, 1.0
	v_fma_f32 v12, -v17, v18, 1.0
	v_fmac_f32_e32 v18, v12, v18
	v_mul_f32_e32 v23, v19, v18
	v_fma_f32 v12, -v17, v23, v19
	v_fmac_f32_e32 v23, v12, v18
	ds_read2_b32 v[12:13], v22 offset0:1 offset1:3
	ds_read2_b32 v[14:15], v21 offset1:2
	v_fma_f32 v17, -v17, v23, v19
	v_div_fmas_f32 v17, v17, v18, v23
	v_div_fixup_f32 v23, v17, v16, 1.0
	ds_read2_b32 v[18:19], v25 offset0:1 offset1:3
	s_waitcnt lgkmcnt(1)
	v_fma_f32 v16, -v10, v15, v12
	v_mul_f32_e32 v24, v23, v16
	ds_read2_b32 v[16:17], v3 offset1:2
	v_fma_f32 v12, -v9, v12, v15
	v_mul_f32_e32 v12, v12, v23
	s_waitcnt lgkmcnt(1)
	v_mul_f32_e32 v9, v9, v18
	v_mul_f32_e64 v9, v9, -v23
	s_waitcnt lgkmcnt(0)
	v_fma_f32 v14, -v12, v16, v14
	ds_write2_b32 v21, v14, v12 offset1:2
	v_fma_f32 v12, -v19, v24, v13
	ds_write2_b32 v22, v24, v12 offset0:1 offset1:3
	v_mul_f32_e32 v10, v10, v17
	v_mul_f32_e32 v12, v23, v17
	v_fma_f32 v8, -v9, v16, v8
	v_mul_f32_e64 v10, v10, -v23
	ds_write2_b32 v7, v8, v9 offset1:2
	v_mul_f32_e64 v7, v12, -v16
	v_mul_f32_e32 v13, v23, v18
	ds_write2_b32 v3, v7, v12 offset1:2
	v_fma_f32 v3, -v10, v19, v11
	ds_write2_b32 v20, v10, v3 offset0:1 offset1:3
	v_mul_f32_e64 v3, v13, -v19
	ds_write2_b32 v25, v13, v3 offset0:1 offset1:3
.LBB75_16:
	s_or_b64 exec, exec, s[6:7]
	v_cmp_gt_u32_e32 vcc, 32, v0
	s_waitcnt lgkmcnt(0)
	s_barrier
	s_and_saveexec_b64 s[6:7], vcc
	s_cbranch_execz .LBB75_18
; %bb.17:
	v_lshlrev_b32_e32 v3, 5, v0
	v_add_u32_e32 v7, 0x800, v3
	v_add_u32_e32 v20, 0x400, v3
	ds_read2_b32 v[8:9], v7 offset1:4
	ds_read2_b32 v[10:11], v20 offset0:3 offset1:7
	v_add_u32_e32 v21, 0x1400, v3
	v_add_u32_e32 v23, 0x1000, v3
	ds_read2_b32 v[12:13], v21 offset0:3 offset1:7
	v_add_u32_e32 v25, 0xc00, v3
	s_waitcnt lgkmcnt(1)
	v_fma_f32 v16, -v9, v10, 1.0
	v_div_scale_f32 v17, s[8:9], v16, v16, 1.0
	v_rcp_f32_e32 v18, v17
	v_div_scale_f32 v19, vcc, 1.0, v16, 1.0
	v_fma_f32 v14, -v17, v18, 1.0
	v_fmac_f32_e32 v18, v14, v18
	v_mul_f32_e32 v22, v19, v18
	v_fma_f32 v14, -v17, v22, v19
	v_fmac_f32_e32 v22, v14, v18
	ds_read2_b32 v[14:15], v23 offset1:4
	v_fma_f32 v17, -v17, v22, v19
	v_div_fmas_f32 v17, v17, v18, v22
	v_div_fixup_f32 v22, v17, v16, 1.0
	ds_read2_b32 v[18:19], v25 offset0:3 offset1:7
	s_waitcnt lgkmcnt(1)
	v_fma_f32 v16, -v10, v15, v12
	v_mul_f32_e32 v24, v22, v16
	ds_read2_b32 v[16:17], v3 offset1:4
	v_fma_f32 v12, -v9, v12, v15
	v_mul_f32_e32 v12, v12, v22
	s_waitcnt lgkmcnt(1)
	v_mul_f32_e32 v9, v9, v18
	v_mul_f32_e64 v9, v9, -v22
	s_waitcnt lgkmcnt(0)
	v_fma_f32 v14, -v12, v16, v14
	ds_write2_b32 v23, v14, v12 offset1:4
	v_fma_f32 v12, -v19, v24, v13
	ds_write2_b32 v21, v24, v12 offset0:3 offset1:7
	v_mul_f32_e32 v10, v10, v17
	v_mul_f32_e32 v12, v22, v17
	v_fma_f32 v8, -v9, v16, v8
	v_mul_f32_e64 v10, v10, -v22
	ds_write2_b32 v7, v8, v9 offset1:4
	v_mul_f32_e64 v7, v12, -v16
	v_mul_f32_e32 v13, v22, v18
	ds_write2_b32 v3, v7, v12 offset1:4
	v_fma_f32 v3, -v10, v19, v11
	ds_write2_b32 v20, v10, v3 offset0:3 offset1:7
	v_mul_f32_e64 v3, v13, -v19
	ds_write2_b32 v25, v13, v3 offset0:3 offset1:7
.LBB75_18:
	s_or_b64 exec, exec, s[6:7]
	v_cmp_gt_u32_e32 vcc, 16, v0
	s_waitcnt lgkmcnt(0)
	s_barrier
	s_and_saveexec_b64 s[6:7], vcc
	s_cbranch_execz .LBB75_20
; %bb.19:
	v_lshlrev_b32_e32 v3, 6, v0
	v_add_u32_e32 v7, 0x800, v3
	v_add_u32_e32 v20, 0x400, v3
	ds_read2_b32 v[8:9], v7 offset1:8
	ds_read2_b32 v[10:11], v20 offset0:7 offset1:15
	v_add_u32_e32 v21, 0x1400, v3
	v_add_u32_e32 v23, 0x1000, v3
	ds_read2_b32 v[12:13], v21 offset0:7 offset1:15
	v_add_u32_e32 v25, 0xc00, v3
	s_waitcnt lgkmcnt(1)
	v_fma_f32 v16, -v9, v10, 1.0
	v_div_scale_f32 v17, s[8:9], v16, v16, 1.0
	v_rcp_f32_e32 v18, v17
	v_div_scale_f32 v19, vcc, 1.0, v16, 1.0
	v_fma_f32 v14, -v17, v18, 1.0
	v_fmac_f32_e32 v18, v14, v18
	v_mul_f32_e32 v22, v19, v18
	v_fma_f32 v14, -v17, v22, v19
	v_fmac_f32_e32 v22, v14, v18
	ds_read2_b32 v[14:15], v23 offset1:8
	v_fma_f32 v17, -v17, v22, v19
	v_div_fmas_f32 v17, v17, v18, v22
	v_div_fixup_f32 v22, v17, v16, 1.0
	ds_read2_b32 v[18:19], v25 offset0:7 offset1:15
	s_waitcnt lgkmcnt(1)
	v_fma_f32 v16, -v10, v15, v12
	v_mul_f32_e32 v24, v22, v16
	ds_read2_b32 v[16:17], v3 offset1:8
	v_fma_f32 v12, -v9, v12, v15
	v_mul_f32_e32 v12, v12, v22
	s_waitcnt lgkmcnt(1)
	v_mul_f32_e32 v9, v9, v18
	v_mul_f32_e64 v9, v9, -v22
	s_waitcnt lgkmcnt(0)
	v_fma_f32 v14, -v12, v16, v14
	ds_write2_b32 v23, v14, v12 offset1:8
	v_fma_f32 v12, -v19, v24, v13
	ds_write2_b32 v21, v24, v12 offset0:7 offset1:15
	v_mul_f32_e32 v10, v10, v17
	v_mul_f32_e32 v12, v22, v17
	v_fma_f32 v8, -v9, v16, v8
	v_mul_f32_e64 v10, v10, -v22
	ds_write2_b32 v7, v8, v9 offset1:8
	v_mul_f32_e64 v7, v12, -v16
	v_mul_f32_e32 v13, v22, v18
	ds_write2_b32 v3, v7, v12 offset1:8
	v_fma_f32 v3, -v10, v19, v11
	ds_write2_b32 v20, v10, v3 offset0:7 offset1:15
	v_mul_f32_e64 v3, v13, -v19
	ds_write2_b32 v25, v13, v3 offset0:7 offset1:15
.LBB75_20:
	;; [unrolled: 58-line block ×4, first 2 shown]
	s_or_b64 exec, exec, s[6:7]
	v_cmp_gt_u32_e32 vcc, 2, v0
	s_waitcnt lgkmcnt(0)
	s_barrier
	s_and_saveexec_b64 s[6:7], vcc
	s_cbranch_execz .LBB75_26
; %bb.25:
	v_lshlrev_b32_e32 v3, 9, v0
	v_add_u32_e32 v7, 0xfc, v3
	ds_read2st64_b32 v[8:9], v7 offset0:4 offset1:5
	ds_read2st64_b32 v[10:11], v3 offset0:8 offset1:9
	;; [unrolled: 1-line block ×3, first 2 shown]
	ds_read2st64_b32 v[14:15], v3 offset1:1
	ds_read2st64_b32 v[16:17], v7 offset0:12 offset1:13
	ds_read2st64_b32 v[18:19], v7 offset0:20 offset1:21
	s_waitcnt lgkmcnt(4)
	v_fma_f32 v20, -v11, v8, 1.0
	v_div_scale_f32 v21, s[8:9], v20, v20, 1.0
	v_rcp_f32_e32 v22, v21
	s_nop 0
	v_fma_f32 v23, -v21, v22, 1.0
	v_fmac_f32_e32 v22, v23, v22
	v_div_scale_f32 v23, vcc, 1.0, v20, 1.0
	v_mul_f32_e32 v24, v23, v22
	v_fma_f32 v25, -v21, v24, v23
	v_fmac_f32_e32 v24, v25, v22
	v_fma_f32 v21, -v21, v24, v23
	v_div_fmas_f32 v21, v21, v22, v24
	v_div_fixup_f32 v20, v21, v20, 1.0
	s_waitcnt lgkmcnt(0)
	v_fma_f32 v21, -v8, v13, v18
	v_fma_f32 v13, -v11, v18, v13
	v_mul_f32_e32 v13, v13, v20
	v_mul_f32_e32 v21, v20, v21
	v_fma_f32 v12, -v13, v14, v12
	v_mul_f32_e32 v11, v11, v16
	ds_write2st64_b32 v3, v12, v13 offset0:16 offset1:17
	v_fma_f32 v12, -v17, v21, v19
	v_mul_f32_e64 v11, v11, -v20
	ds_write2st64_b32 v7, v21, v12 offset0:20 offset1:21
	v_mul_f32_e32 v8, v8, v15
	v_mul_f32_e32 v12, v20, v15
	v_fma_f32 v10, -v11, v14, v10
	v_mul_f32_e64 v8, v8, -v20
	ds_write2st64_b32 v3, v10, v11 offset0:8 offset1:9
	v_mul_f32_e64 v10, v12, -v14
	v_mul_f32_e32 v13, v20, v16
	ds_write2st64_b32 v3, v10, v12 offset1:1
	v_fma_f32 v3, -v8, v17, v9
	ds_write2st64_b32 v7, v8, v3 offset0:4 offset1:5
	v_mul_f32_e64 v3, v13, -v17
	ds_write2st64_b32 v7, v13, v3 offset0:12 offset1:13
.LBB75_26:
	s_or_b64 exec, exec, s[6:7]
	v_cmp_eq_u32_e64 s[6:7], 0, v0
	s_waitcnt lgkmcnt(0)
	s_barrier
	s_and_saveexec_b64 s[8:9], s[6:7]
	s_cbranch_execz .LBB75_28
; %bb.27:
	s_movk_i32 s10, 0xa00
	v_add_u32_e64 v3, s10, 0
	v_mov_b32_e32 v0, 0
	ds_read2_b32 v[8:9], v3 offset1:255
	ds_read_b32 v7, v0 offset:1532
	v_mov_b32_e32 v18, 0x7fc
	ds_read2_b32 v[10:11], v18 offset1:1
	ds_read_b32 v19, v0 offset:6140
	v_mov_b32_e32 v21, 0xffc
	ds_read2_b32 v[12:13], v21 offset1:1
	s_waitcnt lgkmcnt(3)
	v_fma_f32 v16, -v8, v7, 1.0
	v_div_scale_f32 v17, s[10:11], v16, v16, 1.0
	v_rcp_f32_e32 v20, v17
	v_div_scale_f32 v22, vcc, 1.0, v16, 1.0
	s_movk_i32 s10, 0x1200
	v_fma_f32 v14, -v17, v20, 1.0
	v_fmac_f32_e32 v20, v14, v20
	v_mul_f32_e32 v23, v22, v20
	v_fma_f32 v14, -v17, v23, v22
	v_fmac_f32_e32 v23, v14, v20
	v_add_u32_e64 v24, s10, 0
	ds_read2_b32 v[14:15], v24 offset1:255
	v_fma_f32 v17, -v17, v23, v22
	v_div_fmas_f32 v17, v17, v20, v23
	v_div_fixup_f32 v20, v17, v16, 1.0
	ds_read2st64_b32 v[16:17], v0 offset1:2
	s_waitcnt lgkmcnt(1)
	v_fma_f32 v22, -v7, v14, v15
	v_fma_f32 v14, -v8, v15, v14
	v_mul_f32_e32 v22, v20, v22
	v_mul_f32_e32 v14, v14, v20
	ds_write2_b32 v24, v14, v22 offset1:255
	s_waitcnt lgkmcnt(1)
	v_fma_f32 v13, -v14, v16, v13
	v_fma_f32 v14, -v12, v22, v19
	v_mul_f32_e32 v8, v8, v9
	ds_write_b32 v0, v14 offset:6140
	v_mul_f32_e32 v7, v7, v17
	v_mul_f32_e32 v14, v20, v17
	v_mul_f32_e64 v8, v8, -v20
	v_mul_f32_e32 v9, v20, v9
	v_mul_f32_e64 v7, v7, -v20
	ds_write2_b32 v3, v8, v9 offset1:255
	v_fma_f32 v3, -v8, v16, v11
	v_mul_f32_e64 v8, v14, -v16
	ds_write_b32 v0, v7 offset:1532
	ds_write2st64_b32 v0, v8, v14 offset1:2
	v_fma_f32 v0, -v7, v12, v10
	ds_write2_b32 v18, v0, v3 offset1:1
	v_mul_f32_e64 v0, v9, -v12
	ds_write2_b32 v21, v0, v13 offset1:1
.LBB75_28:
	s_or_b64 exec, exec, s[8:9]
	s_load_dwordx2 s[14:15], s[0:1], 0x48
	s_load_dwordx4 s[8:11], s[0:1], 0x38
	s_waitcnt lgkmcnt(0)
	s_barrier
	s_and_saveexec_b64 s[16:17], s[4:5]
	s_cbranch_execnz .LBB75_31
; %bb.29:
	s_or_b64 exec, exec, s[16:17]
	s_and_saveexec_b64 s[4:5], s[6:7]
	s_cbranch_execnz .LBB75_35
.LBB75_30:
	s_endpgm
.LBB75_31:
	s_cmp_eq_u32 s3, 0
	s_cbranch_scc1 .LBB75_39
; %bb.32:
	s_mulk_i32 s19, 0x7f
	s_cbranch_execnz .LBB75_34
.LBB75_33:
	s_load_dwordx4 s[20:23], s[0:1], 0x28
	ds_read2st64_b32 v[6:7], v6 offset1:4
	ds_read2st64_b32 v[0:1], v1 offset1:4
	v_ashrrev_i32_e32 v3, 31, v2
	v_add_u32_e32 v8, s18, v2
	v_lshlrev_b64 v[2:3], 2, v[2:3]
	v_mov_b32_e32 v9, 0
	s_waitcnt lgkmcnt(0)
	v_lshl_add_u64 v[10:11], s[20:21], 0, v[2:3]
	v_lshlrev_b64 v[8:9], 2, v[8:9]
	v_lshl_add_u64 v[2:3], s[22:23], 0, v[2:3]
	global_store_dword v[10:11], v6, off
	v_lshl_add_u64 v[10:11], s[20:21], 0, v[8:9]
	global_store_dword v[2:3], v0, off
	v_lshl_add_u64 v[2:3], s[22:23], 0, v[8:9]
	s_mov_b32 s19, s18
	global_store_dword v[10:11], v7, off
	global_store_dword v[2:3], v1, off
.LBB75_34:
	ds_read2st64_b32 v[0:1], v5 offset1:4
	v_ashrrev_i32_e32 v5, 31, v4
	v_add_u32_e32 v2, s19, v4
	v_mov_b32_e32 v3, 0
	v_lshl_add_u64 v[4:5], v[4:5], 2, s[12:13]
	v_lshl_add_u64 v[2:3], v[2:3], 2, s[12:13]
	s_waitcnt lgkmcnt(0)
	global_store_dword v[4:5], v0, off
	global_store_dword v[2:3], v1, off
	s_or_b64 exec, exec, s[16:17]
	s_and_saveexec_b64 s[4:5], s[6:7]
	s_cbranch_execz .LBB75_30
.LBB75_35:
	s_cmp_eq_u32 s3, 0
	s_cbranch_scc1 .LBB75_40
; %bb.36:
	s_load_dword s6, s[0:1], 0x50
	s_cbranch_execnz .LBB75_38
.LBB75_37:
	s_waitcnt lgkmcnt(0)
	s_load_dword s6, s[0:1], 0x50
	v_mov_b32_e32 v0, 0x7fc
	ds_read2_b32 v[0:1], v0 offset1:1
	s_mov_b32 s4, s3
	s_ashr_i32 s3, s2, 31
	s_lshl_b64 s[12:13], s[2:3], 2
	s_mov_b32 s3, s4
	s_add_u32 s4, s10, s12
	v_mov_b32_e32 v2, 0
	s_addc_u32 s5, s11, s13
	ds_read_b32 v3, v2 offset:4092
	ds_read_b32 v4, v2
	s_waitcnt lgkmcnt(0)
	s_add_i32 s0, s6, s2
	s_mov_b32 s1, 0
	s_lshl_b64 s[0:1], s[0:1], 2
	global_store_dword v2, v1, s[4:5]
	s_add_u32 s4, s10, s0
	s_addc_u32 s5, s11, s1
	global_store_dword v2, v3, s[4:5]
	s_add_u32 s4, s14, s12
	s_addc_u32 s5, s15, s13
	s_add_u32 s0, s14, s0
	s_addc_u32 s1, s15, s1
	global_store_dword v2, v4, s[4:5]
	global_store_dword v2, v0, s[0:1]
.LBB75_38:
	s_waitcnt lgkmcnt(0)
	s_mul_i32 s0, s6, s3
	s_lshl_b32 s0, s0, 1
	s_add_i32 s0, s0, s2
	s_mov_b32 s1, 0
	v_mov_b32_e32 v0, 0
	s_lshl_b64 s[2:3], s[0:1], 2
	ds_read_b32 v1, v0 offset:4096
	ds_read_b32 v2, v0 offset:6140
	s_add_u32 s2, s8, s2
	s_addc_u32 s3, s9, s3
	s_add_i32 s0, s0, s6
	s_lshl_b64 s[0:1], s[0:1], 2
	s_add_u32 s0, s8, s0
	s_addc_u32 s1, s9, s1
	s_waitcnt lgkmcnt(1)
	global_store_dword v0, v1, s[2:3]
	s_waitcnt lgkmcnt(0)
	global_store_dword v0, v2, s[0:1]
	s_endpgm
.LBB75_39:
                                        ; implicit-def: $sgpr19
	s_branch .LBB75_33
.LBB75_40:
                                        ; implicit-def: $sgpr6
	s_branch .LBB75_37
	.section	.rodata,"a",@progbits
	.p2align	6, 0x0
	.amdhsa_kernel _ZN9rocsparseL29gtsv_spike_block_level_kernelILj256ELj128EfEEviiiPT1_PKS1_S4_S2_S2_S2_S2_S2_
		.amdhsa_group_segment_fixed_size 6144
		.amdhsa_private_segment_fixed_size 0
		.amdhsa_kernarg_size 336
		.amdhsa_user_sgpr_count 2
		.amdhsa_user_sgpr_dispatch_ptr 0
		.amdhsa_user_sgpr_queue_ptr 0
		.amdhsa_user_sgpr_kernarg_segment_ptr 1
		.amdhsa_user_sgpr_dispatch_id 0
		.amdhsa_user_sgpr_kernarg_preload_length 0
		.amdhsa_user_sgpr_kernarg_preload_offset 0
		.amdhsa_user_sgpr_private_segment_size 0
		.amdhsa_uses_dynamic_stack 0
		.amdhsa_enable_private_segment 0
		.amdhsa_system_sgpr_workgroup_id_x 1
		.amdhsa_system_sgpr_workgroup_id_y 1
		.amdhsa_system_sgpr_workgroup_id_z 0
		.amdhsa_system_sgpr_workgroup_info 0
		.amdhsa_system_vgpr_workitem_id 0
		.amdhsa_next_free_vgpr 27
		.amdhsa_next_free_sgpr 24
		.amdhsa_accum_offset 28
		.amdhsa_reserve_vcc 1
		.amdhsa_float_round_mode_32 0
		.amdhsa_float_round_mode_16_64 0
		.amdhsa_float_denorm_mode_32 3
		.amdhsa_float_denorm_mode_16_64 3
		.amdhsa_dx10_clamp 1
		.amdhsa_ieee_mode 1
		.amdhsa_fp16_overflow 0
		.amdhsa_tg_split 0
		.amdhsa_exception_fp_ieee_invalid_op 0
		.amdhsa_exception_fp_denorm_src 0
		.amdhsa_exception_fp_ieee_div_zero 0
		.amdhsa_exception_fp_ieee_overflow 0
		.amdhsa_exception_fp_ieee_underflow 0
		.amdhsa_exception_fp_ieee_inexact 0
		.amdhsa_exception_int_div_zero 0
	.end_amdhsa_kernel
	.section	.text._ZN9rocsparseL29gtsv_spike_block_level_kernelILj256ELj128EfEEviiiPT1_PKS1_S4_S2_S2_S2_S2_S2_,"axG",@progbits,_ZN9rocsparseL29gtsv_spike_block_level_kernelILj256ELj128EfEEviiiPT1_PKS1_S4_S2_S2_S2_S2_S2_,comdat
.Lfunc_end75:
	.size	_ZN9rocsparseL29gtsv_spike_block_level_kernelILj256ELj128EfEEviiiPT1_PKS1_S4_S2_S2_S2_S2_S2_, .Lfunc_end75-_ZN9rocsparseL29gtsv_spike_block_level_kernelILj256ELj128EfEEviiiPT1_PKS1_S4_S2_S2_S2_S2_S2_
                                        ; -- End function
	.set _ZN9rocsparseL29gtsv_spike_block_level_kernelILj256ELj128EfEEviiiPT1_PKS1_S4_S2_S2_S2_S2_S2_.num_vgpr, 27
	.set _ZN9rocsparseL29gtsv_spike_block_level_kernelILj256ELj128EfEEviiiPT1_PKS1_S4_S2_S2_S2_S2_S2_.num_agpr, 0
	.set _ZN9rocsparseL29gtsv_spike_block_level_kernelILj256ELj128EfEEviiiPT1_PKS1_S4_S2_S2_S2_S2_S2_.numbered_sgpr, 24
	.set _ZN9rocsparseL29gtsv_spike_block_level_kernelILj256ELj128EfEEviiiPT1_PKS1_S4_S2_S2_S2_S2_S2_.num_named_barrier, 0
	.set _ZN9rocsparseL29gtsv_spike_block_level_kernelILj256ELj128EfEEviiiPT1_PKS1_S4_S2_S2_S2_S2_S2_.private_seg_size, 0
	.set _ZN9rocsparseL29gtsv_spike_block_level_kernelILj256ELj128EfEEviiiPT1_PKS1_S4_S2_S2_S2_S2_S2_.uses_vcc, 1
	.set _ZN9rocsparseL29gtsv_spike_block_level_kernelILj256ELj128EfEEviiiPT1_PKS1_S4_S2_S2_S2_S2_S2_.uses_flat_scratch, 0
	.set _ZN9rocsparseL29gtsv_spike_block_level_kernelILj256ELj128EfEEviiiPT1_PKS1_S4_S2_S2_S2_S2_S2_.has_dyn_sized_stack, 0
	.set _ZN9rocsparseL29gtsv_spike_block_level_kernelILj256ELj128EfEEviiiPT1_PKS1_S4_S2_S2_S2_S2_S2_.has_recursion, 0
	.set _ZN9rocsparseL29gtsv_spike_block_level_kernelILj256ELj128EfEEviiiPT1_PKS1_S4_S2_S2_S2_S2_S2_.has_indirect_call, 0
	.section	.AMDGPU.csdata,"",@progbits
; Kernel info:
; codeLenInByte = 3764
; TotalNumSgprs: 30
; NumVgprs: 27
; NumAgprs: 0
; TotalNumVgprs: 27
; ScratchSize: 0
; MemoryBound: 0
; FloatMode: 240
; IeeeMode: 1
; LDSByteSize: 6144 bytes/workgroup (compile time only)
; SGPRBlocks: 3
; VGPRBlocks: 3
; NumSGPRsForWavesPerEU: 30
; NumVGPRsForWavesPerEU: 27
; AccumOffset: 28
; Occupancy: 8
; WaveLimiterHint : 0
; COMPUTE_PGM_RSRC2:SCRATCH_EN: 0
; COMPUTE_PGM_RSRC2:USER_SGPR: 2
; COMPUTE_PGM_RSRC2:TRAP_HANDLER: 0
; COMPUTE_PGM_RSRC2:TGID_X_EN: 1
; COMPUTE_PGM_RSRC2:TGID_Y_EN: 1
; COMPUTE_PGM_RSRC2:TGID_Z_EN: 0
; COMPUTE_PGM_RSRC2:TIDIG_COMP_CNT: 0
; COMPUTE_PGM_RSRC3_GFX90A:ACCUM_OFFSET: 6
; COMPUTE_PGM_RSRC3_GFX90A:TG_SPLIT: 0
	.section	.text._ZN9rocsparseL33gtsv_solve_spike_propagate_kernelILj256ELj128EfEEviiiPT1_PKS1_S4_S4_,"axG",@progbits,_ZN9rocsparseL33gtsv_solve_spike_propagate_kernelILj256ELj128EfEEviiiPT1_PKS1_S4_S4_,comdat
	.globl	_ZN9rocsparseL33gtsv_solve_spike_propagate_kernelILj256ELj128EfEEviiiPT1_PKS1_S4_S4_ ; -- Begin function _ZN9rocsparseL33gtsv_solve_spike_propagate_kernelILj256ELj128EfEEviiiPT1_PKS1_S4_S4_
	.p2align	8
	.type	_ZN9rocsparseL33gtsv_solve_spike_propagate_kernelILj256ELj128EfEEviiiPT1_PKS1_S4_S4_,@function
_ZN9rocsparseL33gtsv_solve_spike_propagate_kernelILj256ELj128EfEEviiiPT1_PKS1_S4_S4_: ; @_ZN9rocsparseL33gtsv_solve_spike_propagate_kernelILj256ELj128EfEEviiiPT1_PKS1_S4_S4_
; %bb.0:
	s_load_dword s8, s[0:1], 0x0
	v_lshl_or_b32 v2, s2, 8, v0
	v_mov_b32_e32 v4, 0
	v_ashrrev_i32_e32 v3, 31, v2
	v_mov_b32_e32 v5, 0
	s_waitcnt lgkmcnt(0)
	s_lshr_b32 s12, s8, 7
	v_cmp_le_i32_e64 s[4:5], s12, v2
	v_cmp_gt_i32_e32 vcc, s12, v2
	s_mulk_i32 s12, 0x7f
	s_and_saveexec_b64 s[6:7], vcc
	s_cbranch_execz .LBB76_2
; %bb.1:
	s_load_dwordx2 s[10:11], s[0:1], 0x18
	v_add_u32_e32 v4, s12, v2
	v_mov_b32_e32 v5, 0
	s_waitcnt lgkmcnt(0)
	v_lshl_add_u64 v[6:7], v[2:3], 2, s[10:11]
	v_lshl_add_u64 v[8:9], v[4:5], 2, s[10:11]
	global_load_dword v4, v[6:7], off
	global_load_dword v5, v[8:9], off
.LBB76_2:
	s_or_b64 exec, exec, s[6:7]
	s_load_dwordx2 s[6:7], s[0:1], 0x10
	v_lshlrev_b32_e32 v1, 2, v0
	v_add_u32_e32 v6, 16, v1
	s_waitcnt vmcnt(0)
	ds_write2st64_b32 v6, v4, v5 offset0:16 offset1:20
	s_and_saveexec_b64 s[10:11], s[4:5]
	s_xor_b64 s[4:5], exec, s[10:11]
; %bb.3:
	v_mov_b32_e32 v3, 0
	ds_write2st64_b32 v6, v3, v3 offset0:8 offset1:12
; %bb.4:
	s_or_saveexec_b64 s[4:5], s[4:5]
	v_mov_b32_e32 v4, 0
	s_mul_i32 s8, s8, s3
	v_mov_b32_e32 v5, 0
	s_xor_b64 exec, exec, s[4:5]
	s_cbranch_execz .LBB76_6
; %bb.5:
	s_load_dwordx2 s[10:11], s[0:1], 0x20
	v_add_u32_e32 v6, s12, v2
	v_mov_b32_e32 v7, 0
	s_waitcnt lgkmcnt(0)
	v_lshl_add_u64 v[10:11], v[6:7], 2, s[10:11]
	v_add_u32_e32 v6, s8, v6
	v_lshl_add_u64 v[8:9], v[2:3], 2, s[10:11]
	v_lshl_add_u64 v[6:7], v[6:7], 2, s[6:7]
	global_load_dword v3, v[8:9], off
	global_load_dword v12, v[10:11], off
	;; [unrolled: 1-line block ×3, first 2 shown]
	v_add_u32_e32 v6, 16, v1
	s_waitcnt vmcnt(1)
	ds_write2st64_b32 v6, v3, v12 offset0:8 offset1:12
.LBB76_6:
	s_or_b64 exec, exec, s[4:5]
	v_add_u32_e32 v2, s8, v2
	s_waitcnt vmcnt(0)
	ds_write_b32 v1, v5 offset:4
	s_and_saveexec_b64 s[4:5], vcc
	s_cbranch_execz .LBB76_8
; %bb.7:
	v_ashrrev_i32_e32 v3, 31, v2
	s_waitcnt lgkmcnt(0)
	v_lshl_add_u64 v[4:5], v[2:3], 2, s[6:7]
	global_load_dword v4, v[4:5], off
.LBB76_8:
	s_or_b64 exec, exec, s[4:5]
	s_mov_b32 s14, 0
	v_cmp_eq_u32_e64 s[4:5], 0, v0
	s_waitcnt vmcnt(0)
	ds_write_b32 v1, v4 offset:1028
	s_waitcnt lgkmcnt(0)
	s_barrier
	s_and_saveexec_b64 s[8:9], s[4:5]
	s_cbranch_execz .LBB76_14
; %bb.9:
	s_load_dword s13, s[0:1], 0x30
	s_load_dwordx2 s[10:11], s[0:1], 0x28
	s_cmp_lt_i32 s2, 1
	s_waitcnt lgkmcnt(0)
	s_mul_i32 s3, s3, s13
	s_cbranch_scc1 .LBB76_11
; %bb.10:
	s_lshl_b32 s0, s3, 1
	s_add_i32 s1, s2, s13
	s_add_i32 s0, s1, s0
	s_add_i32 s0, s0, -1
	s_mov_b32 s1, 0
	s_lshl_b64 s[0:1], s[0:1], 2
	s_add_u32 s0, s10, s0
	s_addc_u32 s1, s11, s1
	s_load_dword s14, s[0:1], 0x0
.LBB76_11:
	s_add_i32 s0, s13, -1
	v_mov_b32_e32 v3, 0
	s_waitcnt lgkmcnt(0)
	v_mov_b32_e32 v4, s14
	s_mov_b32 s1, 0
	s_cmp_ge_u32 s2, s0
	s_mov_b32 s14, 0
	ds_write_b32 v3, v4
	s_cbranch_scc1 .LBB76_13
; %bb.12:
	s_lshl_b32 s0, s3, 1
	s_add_i32 s0, s2, s0
	s_add_i32 s14, s0, 1
	s_mov_b32 s15, 0
	s_lshl_b64 s[14:15], s[14:15], 2
	s_add_u32 s14, s10, s14
	s_addc_u32 s15, s11, s15
	s_load_dword s14, s[14:15], 0x0
.LBB76_13:
	s_lshl_b32 s0, s3, 1
	s_add_i32 s0, s0, s2
	s_lshl_b64 s[2:3], s[0:1], 2
	s_add_u32 s2, s10, s2
	s_addc_u32 s3, s11, s3
	s_add_i32 s0, s0, s13
	s_lshl_b64 s[0:1], s[0:1], 2
	s_add_u32 s0, s10, s0
	s_addc_u32 s1, s11, s1
	s_load_dword s10, s[0:1], 0x0
	s_load_dword s11, s[2:3], 0x0
	s_waitcnt lgkmcnt(0)
	v_mov_b32_e32 v4, s14
	ds_write_b32 v3, v4 offset:2052
	v_mov_b32_e32 v4, s10
	v_mov_b32_e32 v5, s11
	ds_write_b64 v3, v[4:5] offset:1024
.LBB76_14:
	s_or_b64 exec, exec, s[8:9]
	s_waitcnt lgkmcnt(0)
	s_barrier
	s_and_saveexec_b64 s[0:1], s[4:5]
	s_cbranch_execz .LBB76_16
; %bb.15:
	s_movk_i32 s2, 0xa10
	v_mov_b32_e32 v3, 0
	v_add_u32_e64 v6, s2, 0
	v_add_u32_e64 v8, 4, 0
	s_movk_i32 s2, 0x1210
	ds_read2st64_b32 v[4:5], v3 offset1:2
	ds_read2_b32 v[6:7], v6 offset1:255
	ds_read2st64_b32 v[8:9], v8 offset0:6 offset1:8
	v_add_u32_e64 v10, s2, 0
	ds_read2_b32 v[10:11], v10 offset1:255
	s_waitcnt lgkmcnt(1)
	v_fma_f32 v5, -v7, v9, v5
	s_waitcnt lgkmcnt(0)
	v_fma_f32 v5, -v11, v4, v5
	ds_write_b32 v3, v5 offset:512
	v_fma_f32 v5, -v6, v9, v8
	v_fma_f32 v4, -v10, v4, v5
	ds_write_b32 v3, v4 offset:1540
.LBB76_16:
	s_or_b64 exec, exec, s[0:1]
	v_cmp_gt_u32_e64 s[0:1], 2, v0
	s_waitcnt lgkmcnt(0)
	s_barrier
	s_and_saveexec_b64 s[2:3], s[0:1]
	s_cbranch_execz .LBB76_18
; %bb.17:
	s_movk_i32 s0, 0x1fc
	v_mad_u32_u24 v3, v0, s0, v1
	v_lshlrev_b32_e32 v10, 9, v0
	v_add_u32_e32 v6, 0x910, v10
	v_add_u32_e32 v8, 4, v3
	ds_read2st64_b32 v[4:5], v3 offset1:1
	ds_read2_b32 v[6:7], v6 offset1:255
	ds_read2st64_b32 v[8:9], v8 offset0:5 offset1:6
	v_add_u32_e32 v10, 0x1110, v10
	ds_read2_b32 v[10:11], v10 offset1:255
	s_waitcnt lgkmcnt(1)
	v_fma_f32 v5, -v7, v9, v5
	s_waitcnt lgkmcnt(0)
	v_fma_f32 v5, -v11, v4, v5
	ds_write_b32 v3, v5 offset:256
	v_fma_f32 v5, -v6, v9, v8
	v_fma_f32 v4, -v10, v4, v5
	ds_write_b32 v3, v4 offset:1284
.LBB76_18:
	s_or_b64 exec, exec, s[2:3]
	v_cmp_gt_u32_e64 s[0:1], 4, v0
	s_waitcnt lgkmcnt(0)
	s_barrier
	s_and_saveexec_b64 s[2:3], s[0:1]
	s_cbranch_execz .LBB76_20
; %bb.19:
	v_lshlrev_b32_e32 v3, 8, v0
	v_add_u32_e32 v6, 0x890, v3
	v_add_u32_e32 v8, 0x400, v3
	ds_read2_b32 v[4:5], v3 offset1:32
	ds_read2_b32 v[6:7], v6 offset1:255
	ds_read2_b32 v[8:9], v8 offset0:33 offset1:65
	v_add_u32_e32 v10, 0x1090, v3
	ds_read2_b32 v[10:11], v10 offset1:255
	s_waitcnt lgkmcnt(1)
	v_fma_f32 v5, -v7, v9, v5
	s_waitcnt lgkmcnt(0)
	v_fma_f32 v5, -v11, v4, v5
	ds_write_b32 v3, v5 offset:128
	v_fma_f32 v5, -v6, v9, v8
	v_fma_f32 v4, -v10, v4, v5
	ds_write_b32 v3, v4 offset:1156
.LBB76_20:
	s_or_b64 exec, exec, s[2:3]
	v_cmp_gt_u32_e64 s[0:1], 8, v0
	s_waitcnt lgkmcnt(0)
	s_barrier
	s_and_saveexec_b64 s[2:3], s[0:1]
	s_cbranch_execz .LBB76_22
; %bb.21:
	v_lshlrev_b32_e32 v3, 7, v0
	v_add_u32_e32 v6, 0x850, v3
	v_add_u32_e32 v8, 0x400, v3
	ds_read2_b32 v[4:5], v3 offset1:16
	ds_read2_b32 v[6:7], v6 offset1:255
	ds_read2_b32 v[8:9], v8 offset0:17 offset1:33
	v_add_u32_e32 v10, 0x1050, v3
	ds_read2_b32 v[10:11], v10 offset1:255
	s_waitcnt lgkmcnt(1)
	v_fma_f32 v5, -v7, v9, v5
	s_waitcnt lgkmcnt(0)
	v_fma_f32 v5, -v11, v4, v5
	ds_write_b32 v3, v5 offset:64
	v_fma_f32 v5, -v6, v9, v8
	v_fma_f32 v4, -v10, v4, v5
	ds_write_b32 v3, v4 offset:1092
.LBB76_22:
	;; [unrolled: 24-line block ×5, first 2 shown]
	s_or_b64 exec, exec, s[2:3]
	s_movk_i32 s0, 0x80
	v_cmp_gt_u32_e64 s[0:1], s0, v0
	s_waitcnt lgkmcnt(0)
	s_barrier
	s_and_saveexec_b64 s[2:3], s[0:1]
	s_cbranch_execz .LBB76_30
; %bb.29:
	v_lshlrev_b32_e32 v0, 3, v0
	v_add_u32_e32 v3, 0x814, v0
	ds_read2_b64 v[4:7], v0 offset1:129
	ds_read2_b32 v[8:9], v3 offset1:255
	v_add_u32_e32 v3, 0x1014, v0
	ds_read2_b32 v[10:11], v3 offset1:255
	s_waitcnt lgkmcnt(1)
	v_fma_f32 v3, -v9, v7, v5
	v_fma_f32 v5, -v8, v7, v6
	s_waitcnt lgkmcnt(0)
	v_fma_f32 v3, -v11, v4, v3
	ds_write_b32 v0, v3 offset:4
	v_fma_f32 v3, -v10, v4, v5
	ds_write_b32 v0, v3 offset:1032
.LBB76_30:
	s_or_b64 exec, exec, s[2:3]
	s_waitcnt lgkmcnt(0)
	s_barrier
	s_and_saveexec_b64 s[0:1], vcc
	s_cbranch_execz .LBB76_32
; %bb.31:
	v_add_u32_e32 v0, 4, v1
	ds_read2st64_b32 v[0:1], v0 offset1:4
	v_ashrrev_i32_e32 v3, 31, v2
	v_add_u32_e32 v4, s12, v2
	v_mov_b32_e32 v5, 0
	v_lshl_add_u64 v[2:3], v[2:3], 2, s[6:7]
	s_waitcnt lgkmcnt(0)
	global_store_dword v[2:3], v1, off
	v_lshl_add_u64 v[2:3], v[4:5], 2, s[6:7]
	global_store_dword v[2:3], v0, off
.LBB76_32:
	s_endpgm
	.section	.rodata,"a",@progbits
	.p2align	6, 0x0
	.amdhsa_kernel _ZN9rocsparseL33gtsv_solve_spike_propagate_kernelILj256ELj128EfEEviiiPT1_PKS1_S4_S4_
		.amdhsa_group_segment_fixed_size 6160
		.amdhsa_private_segment_fixed_size 0
		.amdhsa_kernarg_size 304
		.amdhsa_user_sgpr_count 2
		.amdhsa_user_sgpr_dispatch_ptr 0
		.amdhsa_user_sgpr_queue_ptr 0
		.amdhsa_user_sgpr_kernarg_segment_ptr 1
		.amdhsa_user_sgpr_dispatch_id 0
		.amdhsa_user_sgpr_kernarg_preload_length 0
		.amdhsa_user_sgpr_kernarg_preload_offset 0
		.amdhsa_user_sgpr_private_segment_size 0
		.amdhsa_uses_dynamic_stack 0
		.amdhsa_enable_private_segment 0
		.amdhsa_system_sgpr_workgroup_id_x 1
		.amdhsa_system_sgpr_workgroup_id_y 1
		.amdhsa_system_sgpr_workgroup_id_z 0
		.amdhsa_system_sgpr_workgroup_info 0
		.amdhsa_system_vgpr_workitem_id 0
		.amdhsa_next_free_vgpr 13
		.amdhsa_next_free_sgpr 16
		.amdhsa_accum_offset 16
		.amdhsa_reserve_vcc 1
		.amdhsa_float_round_mode_32 0
		.amdhsa_float_round_mode_16_64 0
		.amdhsa_float_denorm_mode_32 3
		.amdhsa_float_denorm_mode_16_64 3
		.amdhsa_dx10_clamp 1
		.amdhsa_ieee_mode 1
		.amdhsa_fp16_overflow 0
		.amdhsa_tg_split 0
		.amdhsa_exception_fp_ieee_invalid_op 0
		.amdhsa_exception_fp_denorm_src 0
		.amdhsa_exception_fp_ieee_div_zero 0
		.amdhsa_exception_fp_ieee_overflow 0
		.amdhsa_exception_fp_ieee_underflow 0
		.amdhsa_exception_fp_ieee_inexact 0
		.amdhsa_exception_int_div_zero 0
	.end_amdhsa_kernel
	.section	.text._ZN9rocsparseL33gtsv_solve_spike_propagate_kernelILj256ELj128EfEEviiiPT1_PKS1_S4_S4_,"axG",@progbits,_ZN9rocsparseL33gtsv_solve_spike_propagate_kernelILj256ELj128EfEEviiiPT1_PKS1_S4_S4_,comdat
.Lfunc_end76:
	.size	_ZN9rocsparseL33gtsv_solve_spike_propagate_kernelILj256ELj128EfEEviiiPT1_PKS1_S4_S4_, .Lfunc_end76-_ZN9rocsparseL33gtsv_solve_spike_propagate_kernelILj256ELj128EfEEviiiPT1_PKS1_S4_S4_
                                        ; -- End function
	.set _ZN9rocsparseL33gtsv_solve_spike_propagate_kernelILj256ELj128EfEEviiiPT1_PKS1_S4_S4_.num_vgpr, 13
	.set _ZN9rocsparseL33gtsv_solve_spike_propagate_kernelILj256ELj128EfEEviiiPT1_PKS1_S4_S4_.num_agpr, 0
	.set _ZN9rocsparseL33gtsv_solve_spike_propagate_kernelILj256ELj128EfEEviiiPT1_PKS1_S4_S4_.numbered_sgpr, 16
	.set _ZN9rocsparseL33gtsv_solve_spike_propagate_kernelILj256ELj128EfEEviiiPT1_PKS1_S4_S4_.num_named_barrier, 0
	.set _ZN9rocsparseL33gtsv_solve_spike_propagate_kernelILj256ELj128EfEEviiiPT1_PKS1_S4_S4_.private_seg_size, 0
	.set _ZN9rocsparseL33gtsv_solve_spike_propagate_kernelILj256ELj128EfEEviiiPT1_PKS1_S4_S4_.uses_vcc, 1
	.set _ZN9rocsparseL33gtsv_solve_spike_propagate_kernelILj256ELj128EfEEviiiPT1_PKS1_S4_S4_.uses_flat_scratch, 0
	.set _ZN9rocsparseL33gtsv_solve_spike_propagate_kernelILj256ELj128EfEEviiiPT1_PKS1_S4_S4_.has_dyn_sized_stack, 0
	.set _ZN9rocsparseL33gtsv_solve_spike_propagate_kernelILj256ELj128EfEEviiiPT1_PKS1_S4_S4_.has_recursion, 0
	.set _ZN9rocsparseL33gtsv_solve_spike_propagate_kernelILj256ELj128EfEEviiiPT1_PKS1_S4_S4_.has_indirect_call, 0
	.section	.AMDGPU.csdata,"",@progbits
; Kernel info:
; codeLenInByte = 1836
; TotalNumSgprs: 22
; NumVgprs: 13
; NumAgprs: 0
; TotalNumVgprs: 13
; ScratchSize: 0
; MemoryBound: 0
; FloatMode: 240
; IeeeMode: 1
; LDSByteSize: 6160 bytes/workgroup (compile time only)
; SGPRBlocks: 2
; VGPRBlocks: 1
; NumSGPRsForWavesPerEU: 22
; NumVGPRsForWavesPerEU: 13
; AccumOffset: 16
; Occupancy: 8
; WaveLimiterHint : 0
; COMPUTE_PGM_RSRC2:SCRATCH_EN: 0
; COMPUTE_PGM_RSRC2:USER_SGPR: 2
; COMPUTE_PGM_RSRC2:TRAP_HANDLER: 0
; COMPUTE_PGM_RSRC2:TGID_X_EN: 1
; COMPUTE_PGM_RSRC2:TGID_Y_EN: 1
; COMPUTE_PGM_RSRC2:TGID_Z_EN: 0
; COMPUTE_PGM_RSRC2:TIDIG_COMP_CNT: 0
; COMPUTE_PGM_RSRC3_GFX90A:ACCUM_OFFSET: 3
; COMPUTE_PGM_RSRC3_GFX90A:TG_SPLIT: 0
	.section	.text._ZN9rocsparseL39gtsv_spike_backward_substitution_kernelILj256ELj128EfEEviiiPT1_PKS1_S4_,"axG",@progbits,_ZN9rocsparseL39gtsv_spike_backward_substitution_kernelILj256ELj128EfEEviiiPT1_PKS1_S4_,comdat
	.globl	_ZN9rocsparseL39gtsv_spike_backward_substitution_kernelILj256ELj128EfEEviiiPT1_PKS1_S4_ ; -- Begin function _ZN9rocsparseL39gtsv_spike_backward_substitution_kernelILj256ELj128EfEEviiiPT1_PKS1_S4_
	.p2align	8
	.type	_ZN9rocsparseL39gtsv_spike_backward_substitution_kernelILj256ELj128EfEEviiiPT1_PKS1_S4_,@function
_ZN9rocsparseL39gtsv_spike_backward_substitution_kernelILj256ELj128EfEEviiiPT1_PKS1_S4_: ; @_ZN9rocsparseL39gtsv_spike_backward_substitution_kernelILj256ELj128EfEEviiiPT1_PKS1_S4_
; %bb.0:
	s_load_dword s6, s[0:1], 0x0
	s_lshl_b32 s10, s2, 8
	v_or_b32_e32 v4, s10, v0
	s_waitcnt lgkmcnt(0)
	s_lshr_b32 s11, s6, 7
	v_cmp_gt_i32_e32 vcc, s11, v4
	s_and_saveexec_b64 s[4:5], vcc
	s_cbranch_execz .LBB77_9
; %bb.1:
	s_load_dwordx2 s[8:9], s[0:1], 0x10
	v_cmp_lt_i32_e32 vcc, 0, v4
	v_mov_b32_e32 v2, 0
	s_mul_i32 s2, s6, s3
	s_and_saveexec_b64 s[4:5], vcc
	s_cbranch_execz .LBB77_3
; %bb.2:
	s_mul_i32 s7, s11, 0x7f
	s_mul_i32 s3, s6, s3
	s_add_i32 s7, s7, s3
	v_add3_u32 v2, v4, s7, -1
	v_mov_b32_e32 v3, 0
	s_waitcnt lgkmcnt(0)
	v_lshl_add_u64 v[2:3], v[2:3], 2, s[8:9]
	global_load_dword v2, v[2:3], off
.LBB77_3:
	s_or_b64 exec, exec, s[4:5]
	v_add_u32_e32 v1, 0x80, v4
	v_cmp_le_u32_e32 vcc, s6, v1
	s_and_saveexec_b64 s[4:5], vcc
	s_xor_b64 s[4:5], exec, s[4:5]
; %bb.4:
                                        ; implicit-def: $vgpr4
; %bb.5:
	s_or_saveexec_b64 s[4:5], s[4:5]
	v_mov_b32_e32 v3, 0
	v_mov_b32_e32 v15, s2
	s_xor_b64 exec, exec, s[4:5]
	s_cbranch_execz .LBB77_7
; %bb.6:
	s_ashr_i32 s3, s2, 31
	v_ashrrev_i32_e32 v5, 31, v4
	v_lshl_add_u64 v[4:5], v[4:5], 0, s[2:3]
	s_waitcnt lgkmcnt(0)
	v_lshl_add_u64 v[4:5], v[4:5], 2, s[8:9]
	global_load_dword v3, v[4:5], off offset:4
	v_mov_b32_e32 v15, s2
.LBB77_7:
	s_or_b64 exec, exec, s[4:5]
	s_load_dwordx4 s[4:7], s[0:1], 0x18
	v_add_u32_e32 v13, v0, v15
	s_lshl_b32 s1, s11, 1
	v_add_u32_e32 v1, s1, v13
	v_add_u32_e32 v4, s1, v0
	s_mul_i32 s1, s11, 3
	v_add_u32_e32 v5, s1, v13
	v_add_u32_e32 v6, s1, v0
	s_lshl_b32 s1, s11, 2
	v_add_u32_e32 v7, s1, v13
	v_add_u32_e32 v8, s1, v0
	s_mul_i32 s1, s11, 5
	s_mul_i32 s0, s11, 7
	v_add_u32_e32 v9, s1, v13
	v_add_u32_e32 v10, s1, v0
	s_mul_i32 s1, s11, 6
	v_add_u32_e32 v12, s1, v0
	v_add_u32_e32 v14, s0, v0
	v_add_u32_e32 v0, s11, v0
	v_add_u32_e32 v11, s1, v13
	v_add_u32_e32 v13, s0, v13
	v_add_u32_e32 v15, v0, v15
	s_movk_i32 s1, 0x7e
.LBB77_8:                               ; =>This Inner Loop Header: Depth=1
	v_add_u32_e32 v16, s10, v0
	v_ashrrev_i32_e32 v17, 31, v16
	v_add_u32_e32 v18, s10, v15
	v_lshlrev_b64 v[16:17], 2, v[16:17]
	v_ashrrev_i32_e32 v19, 31, v18
	s_waitcnt lgkmcnt(0)
	v_lshl_add_u64 v[20:21], s[4:5], 0, v[16:17]
	v_lshl_add_u64 v[18:19], v[18:19], 2, s[8:9]
	;; [unrolled: 1-line block ×3, first 2 shown]
	global_load_dword v22, v[20:21], off
	global_load_dword v23, v[16:17], off
	;; [unrolled: 1-line block ×3, first 2 shown]
	v_add_u32_e32 v16, s10, v4
	v_ashrrev_i32_e32 v17, 31, v16
	v_lshlrev_b64 v[16:17], 2, v[16:17]
	v_lshl_add_u64 v[24:25], s[4:5], 0, v[16:17]
	v_lshl_add_u64 v[16:17], s[6:7], 0, v[16:17]
	global_load_dword v26, v[24:25], off
	global_load_dword v27, v[16:17], off
	v_add_u32_e32 v20, s10, v1
	v_ashrrev_i32_e32 v21, 31, v20
	v_lshl_add_u64 v[20:21], v[20:21], 2, s[8:9]
	s_add_i32 s1, s1, -7
	v_add_u32_e32 v1, s0, v1
	v_add_u32_e32 v4, s0, v4
	;; [unrolled: 1-line block ×4, first 2 shown]
	s_cmp_lg_u32 s1, 0
	s_waitcnt vmcnt(3)
	v_pk_mul_f32 v[16:17], v[2:3], v[22:23]
	s_waitcnt vmcnt(2)
	v_sub_f32_e32 v16, v28, v16
	v_sub_f32_e32 v16, v16, v17
	global_store_dword v[18:19], v16, off
	global_load_dword v28, v[20:21], off
	v_add_u32_e32 v16, s10, v6
	v_ashrrev_i32_e32 v17, 31, v16
	v_lshlrev_b64 v[16:17], 2, v[16:17]
	v_lshl_add_u64 v[22:23], s[4:5], 0, v[16:17]
	v_lshl_add_u64 v[16:17], s[6:7], 0, v[16:17]
	global_load_dword v24, v[22:23], off
	global_load_dword v25, v[16:17], off
	s_waitcnt vmcnt(4)
	v_pk_mul_f32 v[16:17], v[2:3], v[26:27]
	v_add_u32_e32 v18, s10, v5
	v_ashrrev_i32_e32 v19, 31, v18
	v_lshl_add_u64 v[18:19], v[18:19], 2, s[8:9]
	v_add_u32_e32 v5, s0, v5
	v_add_u32_e32 v6, s0, v6
	s_waitcnt vmcnt(2)
	v_sub_f32_e32 v16, v28, v16
	v_sub_f32_e32 v16, v16, v17
	global_store_dword v[20:21], v16, off
	global_load_dword v28, v[18:19], off
	v_add_u32_e32 v16, s10, v8
	v_ashrrev_i32_e32 v17, 31, v16
	v_lshlrev_b64 v[16:17], 2, v[16:17]
	v_lshl_add_u64 v[22:23], s[4:5], 0, v[16:17]
	v_lshl_add_u64 v[16:17], s[6:7], 0, v[16:17]
	global_load_dword v26, v[22:23], off
	global_load_dword v27, v[16:17], off
	s_waitcnt vmcnt(4)
	v_pk_mul_f32 v[16:17], v[2:3], v[24:25]
	v_add_u32_e32 v20, s10, v7
	v_ashrrev_i32_e32 v21, 31, v20
	v_lshl_add_u64 v[20:21], v[20:21], 2, s[8:9]
	v_add_u32_e32 v7, s0, v7
	v_add_u32_e32 v8, s0, v8
	s_waitcnt vmcnt(2)
	v_sub_f32_e32 v16, v28, v16
	v_sub_f32_e32 v16, v16, v17
	global_store_dword v[18:19], v16, off
	global_load_dword v28, v[20:21], off
	v_add_u32_e32 v16, s10, v10
	v_ashrrev_i32_e32 v17, 31, v16
	v_lshlrev_b64 v[16:17], 2, v[16:17]
	v_lshl_add_u64 v[22:23], s[4:5], 0, v[16:17]
	v_lshl_add_u64 v[16:17], s[6:7], 0, v[16:17]
	global_load_dword v24, v[22:23], off
	global_load_dword v25, v[16:17], off
	s_waitcnt vmcnt(4)
	v_pk_mul_f32 v[16:17], v[2:3], v[26:27]
	v_add_u32_e32 v18, s10, v9
	v_ashrrev_i32_e32 v19, 31, v18
	v_lshl_add_u64 v[18:19], v[18:19], 2, s[8:9]
	v_add_u32_e32 v9, s0, v9
	v_add_u32_e32 v10, s0, v10
	s_waitcnt vmcnt(2)
	v_sub_f32_e32 v16, v28, v16
	v_sub_f32_e32 v16, v16, v17
	global_store_dword v[20:21], v16, off
	global_load_dword v28, v[18:19], off
	v_add_u32_e32 v16, s10, v12
	v_ashrrev_i32_e32 v17, 31, v16
	v_lshlrev_b64 v[16:17], 2, v[16:17]
	v_lshl_add_u64 v[22:23], s[4:5], 0, v[16:17]
	v_lshl_add_u64 v[16:17], s[6:7], 0, v[16:17]
	global_load_dword v26, v[22:23], off
	global_load_dword v27, v[16:17], off
	s_waitcnt vmcnt(4)
	v_pk_mul_f32 v[16:17], v[2:3], v[24:25]
	v_add_u32_e32 v20, s10, v11
	v_ashrrev_i32_e32 v21, 31, v20
	v_lshl_add_u64 v[20:21], v[20:21], 2, s[8:9]
	v_add_u32_e32 v11, s0, v11
	v_add_u32_e32 v12, s0, v12
	s_waitcnt vmcnt(2)
	v_sub_f32_e32 v16, v28, v16
	v_sub_f32_e32 v16, v16, v17
	global_store_dword v[18:19], v16, off
	global_load_dword v28, v[20:21], off
	v_add_u32_e32 v16, s10, v14
	v_ashrrev_i32_e32 v17, 31, v16
	v_lshlrev_b64 v[16:17], 2, v[16:17]
	v_lshl_add_u64 v[22:23], s[4:5], 0, v[16:17]
	v_lshl_add_u64 v[16:17], s[6:7], 0, v[16:17]
	global_load_dword v24, v[22:23], off
	global_load_dword v25, v[16:17], off
	s_waitcnt vmcnt(4)
	v_pk_mul_f32 v[16:17], v[2:3], v[26:27]
	v_add_u32_e32 v18, s10, v13
	v_ashrrev_i32_e32 v19, 31, v18
	v_lshl_add_u64 v[18:19], v[18:19], 2, s[8:9]
	v_add_u32_e32 v13, s0, v13
	v_add_u32_e32 v14, s0, v14
	s_waitcnt vmcnt(2)
	v_sub_f32_e32 v16, v28, v16
	v_sub_f32_e32 v16, v16, v17
	global_store_dword v[20:21], v16, off
	global_load_dword v20, v[18:19], off
	s_waitcnt vmcnt(2)
	v_pk_mul_f32 v[16:17], v[2:3], v[24:25]
	s_waitcnt vmcnt(0)
	v_sub_f32_e32 v16, v20, v16
	v_sub_f32_e32 v16, v16, v17
	global_store_dword v[18:19], v16, off
	s_cbranch_scc1 .LBB77_8
.LBB77_9:
	s_endpgm
	.section	.rodata,"a",@progbits
	.p2align	6, 0x0
	.amdhsa_kernel _ZN9rocsparseL39gtsv_spike_backward_substitution_kernelILj256ELj128EfEEviiiPT1_PKS1_S4_
		.amdhsa_group_segment_fixed_size 0
		.amdhsa_private_segment_fixed_size 0
		.amdhsa_kernarg_size 40
		.amdhsa_user_sgpr_count 2
		.amdhsa_user_sgpr_dispatch_ptr 0
		.amdhsa_user_sgpr_queue_ptr 0
		.amdhsa_user_sgpr_kernarg_segment_ptr 1
		.amdhsa_user_sgpr_dispatch_id 0
		.amdhsa_user_sgpr_kernarg_preload_length 0
		.amdhsa_user_sgpr_kernarg_preload_offset 0
		.amdhsa_user_sgpr_private_segment_size 0
		.amdhsa_uses_dynamic_stack 0
		.amdhsa_enable_private_segment 0
		.amdhsa_system_sgpr_workgroup_id_x 1
		.amdhsa_system_sgpr_workgroup_id_y 1
		.amdhsa_system_sgpr_workgroup_id_z 0
		.amdhsa_system_sgpr_workgroup_info 0
		.amdhsa_system_vgpr_workitem_id 0
		.amdhsa_next_free_vgpr 29
		.amdhsa_next_free_sgpr 12
		.amdhsa_accum_offset 32
		.amdhsa_reserve_vcc 1
		.amdhsa_float_round_mode_32 0
		.amdhsa_float_round_mode_16_64 0
		.amdhsa_float_denorm_mode_32 3
		.amdhsa_float_denorm_mode_16_64 3
		.amdhsa_dx10_clamp 1
		.amdhsa_ieee_mode 1
		.amdhsa_fp16_overflow 0
		.amdhsa_tg_split 0
		.amdhsa_exception_fp_ieee_invalid_op 0
		.amdhsa_exception_fp_denorm_src 0
		.amdhsa_exception_fp_ieee_div_zero 0
		.amdhsa_exception_fp_ieee_overflow 0
		.amdhsa_exception_fp_ieee_underflow 0
		.amdhsa_exception_fp_ieee_inexact 0
		.amdhsa_exception_int_div_zero 0
	.end_amdhsa_kernel
	.section	.text._ZN9rocsparseL39gtsv_spike_backward_substitution_kernelILj256ELj128EfEEviiiPT1_PKS1_S4_,"axG",@progbits,_ZN9rocsparseL39gtsv_spike_backward_substitution_kernelILj256ELj128EfEEviiiPT1_PKS1_S4_,comdat
.Lfunc_end77:
	.size	_ZN9rocsparseL39gtsv_spike_backward_substitution_kernelILj256ELj128EfEEviiiPT1_PKS1_S4_, .Lfunc_end77-_ZN9rocsparseL39gtsv_spike_backward_substitution_kernelILj256ELj128EfEEviiiPT1_PKS1_S4_
                                        ; -- End function
	.set _ZN9rocsparseL39gtsv_spike_backward_substitution_kernelILj256ELj128EfEEviiiPT1_PKS1_S4_.num_vgpr, 29
	.set _ZN9rocsparseL39gtsv_spike_backward_substitution_kernelILj256ELj128EfEEviiiPT1_PKS1_S4_.num_agpr, 0
	.set _ZN9rocsparseL39gtsv_spike_backward_substitution_kernelILj256ELj128EfEEviiiPT1_PKS1_S4_.numbered_sgpr, 12
	.set _ZN9rocsparseL39gtsv_spike_backward_substitution_kernelILj256ELj128EfEEviiiPT1_PKS1_S4_.num_named_barrier, 0
	.set _ZN9rocsparseL39gtsv_spike_backward_substitution_kernelILj256ELj128EfEEviiiPT1_PKS1_S4_.private_seg_size, 0
	.set _ZN9rocsparseL39gtsv_spike_backward_substitution_kernelILj256ELj128EfEEviiiPT1_PKS1_S4_.uses_vcc, 1
	.set _ZN9rocsparseL39gtsv_spike_backward_substitution_kernelILj256ELj128EfEEviiiPT1_PKS1_S4_.uses_flat_scratch, 0
	.set _ZN9rocsparseL39gtsv_spike_backward_substitution_kernelILj256ELj128EfEEviiiPT1_PKS1_S4_.has_dyn_sized_stack, 0
	.set _ZN9rocsparseL39gtsv_spike_backward_substitution_kernelILj256ELj128EfEEviiiPT1_PKS1_S4_.has_recursion, 0
	.set _ZN9rocsparseL39gtsv_spike_backward_substitution_kernelILj256ELj128EfEEviiiPT1_PKS1_S4_.has_indirect_call, 0
	.section	.AMDGPU.csdata,"",@progbits
; Kernel info:
; codeLenInByte = 1100
; TotalNumSgprs: 18
; NumVgprs: 29
; NumAgprs: 0
; TotalNumVgprs: 29
; ScratchSize: 0
; MemoryBound: 0
; FloatMode: 240
; IeeeMode: 1
; LDSByteSize: 0 bytes/workgroup (compile time only)
; SGPRBlocks: 2
; VGPRBlocks: 3
; NumSGPRsForWavesPerEU: 18
; NumVGPRsForWavesPerEU: 29
; AccumOffset: 32
; Occupancy: 8
; WaveLimiterHint : 0
; COMPUTE_PGM_RSRC2:SCRATCH_EN: 0
; COMPUTE_PGM_RSRC2:USER_SGPR: 2
; COMPUTE_PGM_RSRC2:TRAP_HANDLER: 0
; COMPUTE_PGM_RSRC2:TGID_X_EN: 1
; COMPUTE_PGM_RSRC2:TGID_Y_EN: 1
; COMPUTE_PGM_RSRC2:TGID_Z_EN: 0
; COMPUTE_PGM_RSRC2:TIDIG_COMP_CNT: 0
; COMPUTE_PGM_RSRC3_GFX90A:ACCUM_OFFSET: 7
; COMPUTE_PGM_RSRC3_GFX90A:TG_SPLIT: 0
	.section	.text._ZN9rocsparseL32gtsv_transpose_back_array_kernelILj256ELj128EfEEviiiPKT1_PS1_,"axG",@progbits,_ZN9rocsparseL32gtsv_transpose_back_array_kernelILj256ELj128EfEEviiiPKT1_PS1_,comdat
	.globl	_ZN9rocsparseL32gtsv_transpose_back_array_kernelILj256ELj128EfEEviiiPKT1_PS1_ ; -- Begin function _ZN9rocsparseL32gtsv_transpose_back_array_kernelILj256ELj128EfEEviiiPKT1_PS1_
	.p2align	8
	.type	_ZN9rocsparseL32gtsv_transpose_back_array_kernelILj256ELj128EfEEviiiPKT1_PS1_,@function
_ZN9rocsparseL32gtsv_transpose_back_array_kernelILj256ELj128EfEEviiiPKT1_PS1_: ; @_ZN9rocsparseL32gtsv_transpose_back_array_kernelILj256ELj128EfEEviiiPKT1_PS1_
; %bb.0:
	s_load_dwordx4 s[4:7], s[0:1], 0x0
	v_lshl_or_b32 v0, s2, 8, v0
	v_lshlrev_b32_e32 v2, 7, v0
	s_waitcnt lgkmcnt(0)
	v_cvt_f32_u32_e32 v1, s5
	s_sub_i32 s2, 0, s5
	v_rcp_iflag_f32_e32 v1, v1
	s_nop 0
	v_mul_f32_e32 v1, 0x4f7ffffe, v1
	v_cvt_u32_f32_e32 v1, v1
	v_mul_lo_u32 v3, s2, v1
	v_mul_hi_u32 v3, v1, v3
	v_add_u32_e32 v1, v1, v3
	v_mul_hi_u32 v1, v2, v1
	v_mul_lo_u32 v3, v1, s5
	v_sub_u32_e32 v3, v2, v3
	v_add_u32_e32 v4, 1, v1
	v_cmp_le_u32_e32 vcc, s5, v3
	s_nop 1
	v_cndmask_b32_e32 v1, v1, v4, vcc
	v_subrev_u32_e32 v4, s5, v3
	v_cndmask_b32_e32 v3, v3, v4, vcc
	v_add_u32_e32 v4, 1, v1
	v_cmp_le_u32_e32 vcc, s5, v3
	s_nop 1
	v_cndmask_b32_e32 v1, v1, v4, vcc
	v_mul_lo_u32 v3, v1, s5
	v_sub_u32_e32 v2, v2, v3
	v_add_u32_e32 v1, v1, v2
	v_cmp_gt_i32_e32 vcc, s4, v1
	s_and_saveexec_b64 s[8:9], vcc
	s_cbranch_execz .LBB78_2
; %bb.1:
	s_load_dwordx4 s[8:11], s[0:1], 0x10
	s_mul_i32 s0, s5, s3
	v_add_u32_e32 v2, s0, v0
	v_ashrrev_i32_e32 v3, 31, v2
	s_mul_i32 s0, s6, s3
	s_waitcnt lgkmcnt(0)
	v_lshl_add_u64 v[2:3], v[2:3], 2, s[8:9]
	global_load_dword v2, v[2:3], off
	v_add_u32_e32 v0, s0, v1
	v_ashrrev_i32_e32 v1, 31, v0
	v_lshl_add_u64 v[0:1], v[0:1], 2, s[10:11]
	s_waitcnt vmcnt(0)
	global_store_dword v[0:1], v2, off
.LBB78_2:
	s_endpgm
	.section	.rodata,"a",@progbits
	.p2align	6, 0x0
	.amdhsa_kernel _ZN9rocsparseL32gtsv_transpose_back_array_kernelILj256ELj128EfEEviiiPKT1_PS1_
		.amdhsa_group_segment_fixed_size 0
		.amdhsa_private_segment_fixed_size 0
		.amdhsa_kernarg_size 32
		.amdhsa_user_sgpr_count 2
		.amdhsa_user_sgpr_dispatch_ptr 0
		.amdhsa_user_sgpr_queue_ptr 0
		.amdhsa_user_sgpr_kernarg_segment_ptr 1
		.amdhsa_user_sgpr_dispatch_id 0
		.amdhsa_user_sgpr_kernarg_preload_length 0
		.amdhsa_user_sgpr_kernarg_preload_offset 0
		.amdhsa_user_sgpr_private_segment_size 0
		.amdhsa_uses_dynamic_stack 0
		.amdhsa_enable_private_segment 0
		.amdhsa_system_sgpr_workgroup_id_x 1
		.amdhsa_system_sgpr_workgroup_id_y 1
		.amdhsa_system_sgpr_workgroup_id_z 0
		.amdhsa_system_sgpr_workgroup_info 0
		.amdhsa_system_vgpr_workitem_id 0
		.amdhsa_next_free_vgpr 5
		.amdhsa_next_free_sgpr 12
		.amdhsa_accum_offset 8
		.amdhsa_reserve_vcc 1
		.amdhsa_float_round_mode_32 0
		.amdhsa_float_round_mode_16_64 0
		.amdhsa_float_denorm_mode_32 3
		.amdhsa_float_denorm_mode_16_64 3
		.amdhsa_dx10_clamp 1
		.amdhsa_ieee_mode 1
		.amdhsa_fp16_overflow 0
		.amdhsa_tg_split 0
		.amdhsa_exception_fp_ieee_invalid_op 0
		.amdhsa_exception_fp_denorm_src 0
		.amdhsa_exception_fp_ieee_div_zero 0
		.amdhsa_exception_fp_ieee_overflow 0
		.amdhsa_exception_fp_ieee_underflow 0
		.amdhsa_exception_fp_ieee_inexact 0
		.amdhsa_exception_int_div_zero 0
	.end_amdhsa_kernel
	.section	.text._ZN9rocsparseL32gtsv_transpose_back_array_kernelILj256ELj128EfEEviiiPKT1_PS1_,"axG",@progbits,_ZN9rocsparseL32gtsv_transpose_back_array_kernelILj256ELj128EfEEviiiPKT1_PS1_,comdat
.Lfunc_end78:
	.size	_ZN9rocsparseL32gtsv_transpose_back_array_kernelILj256ELj128EfEEviiiPKT1_PS1_, .Lfunc_end78-_ZN9rocsparseL32gtsv_transpose_back_array_kernelILj256ELj128EfEEviiiPKT1_PS1_
                                        ; -- End function
	.set _ZN9rocsparseL32gtsv_transpose_back_array_kernelILj256ELj128EfEEviiiPKT1_PS1_.num_vgpr, 5
	.set _ZN9rocsparseL32gtsv_transpose_back_array_kernelILj256ELj128EfEEviiiPKT1_PS1_.num_agpr, 0
	.set _ZN9rocsparseL32gtsv_transpose_back_array_kernelILj256ELj128EfEEviiiPKT1_PS1_.numbered_sgpr, 12
	.set _ZN9rocsparseL32gtsv_transpose_back_array_kernelILj256ELj128EfEEviiiPKT1_PS1_.num_named_barrier, 0
	.set _ZN9rocsparseL32gtsv_transpose_back_array_kernelILj256ELj128EfEEviiiPKT1_PS1_.private_seg_size, 0
	.set _ZN9rocsparseL32gtsv_transpose_back_array_kernelILj256ELj128EfEEviiiPKT1_PS1_.uses_vcc, 1
	.set _ZN9rocsparseL32gtsv_transpose_back_array_kernelILj256ELj128EfEEviiiPKT1_PS1_.uses_flat_scratch, 0
	.set _ZN9rocsparseL32gtsv_transpose_back_array_kernelILj256ELj128EfEEviiiPKT1_PS1_.has_dyn_sized_stack, 0
	.set _ZN9rocsparseL32gtsv_transpose_back_array_kernelILj256ELj128EfEEviiiPKT1_PS1_.has_recursion, 0
	.set _ZN9rocsparseL32gtsv_transpose_back_array_kernelILj256ELj128EfEEviiiPKT1_PS1_.has_indirect_call, 0
	.section	.AMDGPU.csdata,"",@progbits
; Kernel info:
; codeLenInByte = 236
; TotalNumSgprs: 18
; NumVgprs: 5
; NumAgprs: 0
; TotalNumVgprs: 5
; ScratchSize: 0
; MemoryBound: 0
; FloatMode: 240
; IeeeMode: 1
; LDSByteSize: 0 bytes/workgroup (compile time only)
; SGPRBlocks: 2
; VGPRBlocks: 0
; NumSGPRsForWavesPerEU: 18
; NumVGPRsForWavesPerEU: 5
; AccumOffset: 8
; Occupancy: 8
; WaveLimiterHint : 0
; COMPUTE_PGM_RSRC2:SCRATCH_EN: 0
; COMPUTE_PGM_RSRC2:USER_SGPR: 2
; COMPUTE_PGM_RSRC2:TRAP_HANDLER: 0
; COMPUTE_PGM_RSRC2:TGID_X_EN: 1
; COMPUTE_PGM_RSRC2:TGID_Y_EN: 1
; COMPUTE_PGM_RSRC2:TGID_Z_EN: 0
; COMPUTE_PGM_RSRC2:TIDIG_COMP_CNT: 0
; COMPUTE_PGM_RSRC3_GFX90A:ACCUM_OFFSET: 1
; COMPUTE_PGM_RSRC3_GFX90A:TG_SPLIT: 0
	.section	.text._ZN9rocsparseL42gtsv_transpose_and_pad_array_shared_kernelILj256ELj256EfEEviiiPKT1_PS1_S1_,"axG",@progbits,_ZN9rocsparseL42gtsv_transpose_and_pad_array_shared_kernelILj256ELj256EfEEviiiPKT1_PS1_S1_,comdat
	.globl	_ZN9rocsparseL42gtsv_transpose_and_pad_array_shared_kernelILj256ELj256EfEEviiiPKT1_PS1_S1_ ; -- Begin function _ZN9rocsparseL42gtsv_transpose_and_pad_array_shared_kernelILj256ELj256EfEEviiiPKT1_PS1_S1_
	.p2align	8
	.type	_ZN9rocsparseL42gtsv_transpose_and_pad_array_shared_kernelILj256ELj256EfEEviiiPKT1_PS1_S1_,@function
_ZN9rocsparseL42gtsv_transpose_and_pad_array_shared_kernelILj256ELj256EfEEviiiPKT1_PS1_S1_: ; @_ZN9rocsparseL42gtsv_transpose_and_pad_array_shared_kernelILj256ELj256EfEEviiiPKT1_PS1_S1_
; %bb.0:
	s_load_dwordx4 s[4:7], s[0:1], 0x0
	s_waitcnt lgkmcnt(0)
	s_load_dword s7, s[0:1], 0x20
	v_lshl_or_b32 v1, s2, 8, v0
	v_cmp_gt_i32_e32 vcc, s4, v1
	s_waitcnt lgkmcnt(0)
	v_mov_b32_e32 v2, s7
	s_and_saveexec_b64 s[8:9], vcc
	s_cbranch_execz .LBB79_2
; %bb.1:
	s_load_dwordx2 s[10:11], s[0:1], 0x10
	s_mul_i32 s4, s6, s3
	v_add_u32_e32 v2, s4, v1
	v_ashrrev_i32_e32 v3, 31, v2
	s_waitcnt lgkmcnt(0)
	v_lshl_add_u64 v[2:3], v[2:3], 2, s[10:11]
	global_load_dword v2, v[2:3], off
.LBB79_2:
	s_or_b64 exec, exec, s[8:9]
	v_lshlrev_b32_e32 v1, 2, v0
	s_waitcnt vmcnt(0)
	ds_write_b32 v1, v2
	s_lshr_b32 s4, s5, 8
	v_mov_b32_e32 v2, s2
	v_mad_u32_u24 v0, s4, v0, v2
	v_cmp_gt_i32_e32 vcc, s5, v0
	s_waitcnt lgkmcnt(0)
	s_barrier
	s_and_saveexec_b64 s[6:7], vcc
	s_cbranch_execz .LBB79_4
; %bb.3:
	s_load_dwordx2 s[0:1], s[0:1], 0x18
	ds_read_b32 v2, v1
	s_mul_i32 s2, s5, s3
	v_add_u32_e32 v0, s2, v0
	v_ashrrev_i32_e32 v1, 31, v0
	s_waitcnt lgkmcnt(0)
	v_lshl_add_u64 v[0:1], v[0:1], 2, s[0:1]
	global_store_dword v[0:1], v2, off
.LBB79_4:
	s_endpgm
	.section	.rodata,"a",@progbits
	.p2align	6, 0x0
	.amdhsa_kernel _ZN9rocsparseL42gtsv_transpose_and_pad_array_shared_kernelILj256ELj256EfEEviiiPKT1_PS1_S1_
		.amdhsa_group_segment_fixed_size 1024
		.amdhsa_private_segment_fixed_size 0
		.amdhsa_kernarg_size 36
		.amdhsa_user_sgpr_count 2
		.amdhsa_user_sgpr_dispatch_ptr 0
		.amdhsa_user_sgpr_queue_ptr 0
		.amdhsa_user_sgpr_kernarg_segment_ptr 1
		.amdhsa_user_sgpr_dispatch_id 0
		.amdhsa_user_sgpr_kernarg_preload_length 0
		.amdhsa_user_sgpr_kernarg_preload_offset 0
		.amdhsa_user_sgpr_private_segment_size 0
		.amdhsa_uses_dynamic_stack 0
		.amdhsa_enable_private_segment 0
		.amdhsa_system_sgpr_workgroup_id_x 1
		.amdhsa_system_sgpr_workgroup_id_y 1
		.amdhsa_system_sgpr_workgroup_id_z 0
		.amdhsa_system_sgpr_workgroup_info 0
		.amdhsa_system_vgpr_workitem_id 0
		.amdhsa_next_free_vgpr 4
		.amdhsa_next_free_sgpr 12
		.amdhsa_accum_offset 4
		.amdhsa_reserve_vcc 1
		.amdhsa_float_round_mode_32 0
		.amdhsa_float_round_mode_16_64 0
		.amdhsa_float_denorm_mode_32 3
		.amdhsa_float_denorm_mode_16_64 3
		.amdhsa_dx10_clamp 1
		.amdhsa_ieee_mode 1
		.amdhsa_fp16_overflow 0
		.amdhsa_tg_split 0
		.amdhsa_exception_fp_ieee_invalid_op 0
		.amdhsa_exception_fp_denorm_src 0
		.amdhsa_exception_fp_ieee_div_zero 0
		.amdhsa_exception_fp_ieee_overflow 0
		.amdhsa_exception_fp_ieee_underflow 0
		.amdhsa_exception_fp_ieee_inexact 0
		.amdhsa_exception_int_div_zero 0
	.end_amdhsa_kernel
	.section	.text._ZN9rocsparseL42gtsv_transpose_and_pad_array_shared_kernelILj256ELj256EfEEviiiPKT1_PS1_S1_,"axG",@progbits,_ZN9rocsparseL42gtsv_transpose_and_pad_array_shared_kernelILj256ELj256EfEEviiiPKT1_PS1_S1_,comdat
.Lfunc_end79:
	.size	_ZN9rocsparseL42gtsv_transpose_and_pad_array_shared_kernelILj256ELj256EfEEviiiPKT1_PS1_S1_, .Lfunc_end79-_ZN9rocsparseL42gtsv_transpose_and_pad_array_shared_kernelILj256ELj256EfEEviiiPKT1_PS1_S1_
                                        ; -- End function
	.set _ZN9rocsparseL42gtsv_transpose_and_pad_array_shared_kernelILj256ELj256EfEEviiiPKT1_PS1_S1_.num_vgpr, 4
	.set _ZN9rocsparseL42gtsv_transpose_and_pad_array_shared_kernelILj256ELj256EfEEviiiPKT1_PS1_S1_.num_agpr, 0
	.set _ZN9rocsparseL42gtsv_transpose_and_pad_array_shared_kernelILj256ELj256EfEEviiiPKT1_PS1_S1_.numbered_sgpr, 12
	.set _ZN9rocsparseL42gtsv_transpose_and_pad_array_shared_kernelILj256ELj256EfEEviiiPKT1_PS1_S1_.num_named_barrier, 0
	.set _ZN9rocsparseL42gtsv_transpose_and_pad_array_shared_kernelILj256ELj256EfEEviiiPKT1_PS1_S1_.private_seg_size, 0
	.set _ZN9rocsparseL42gtsv_transpose_and_pad_array_shared_kernelILj256ELj256EfEEviiiPKT1_PS1_S1_.uses_vcc, 1
	.set _ZN9rocsparseL42gtsv_transpose_and_pad_array_shared_kernelILj256ELj256EfEEviiiPKT1_PS1_S1_.uses_flat_scratch, 0
	.set _ZN9rocsparseL42gtsv_transpose_and_pad_array_shared_kernelILj256ELj256EfEEviiiPKT1_PS1_S1_.has_dyn_sized_stack, 0
	.set _ZN9rocsparseL42gtsv_transpose_and_pad_array_shared_kernelILj256ELj256EfEEviiiPKT1_PS1_S1_.has_recursion, 0
	.set _ZN9rocsparseL42gtsv_transpose_and_pad_array_shared_kernelILj256ELj256EfEEviiiPKT1_PS1_S1_.has_indirect_call, 0
	.section	.AMDGPU.csdata,"",@progbits
; Kernel info:
; codeLenInByte = 196
; TotalNumSgprs: 18
; NumVgprs: 4
; NumAgprs: 0
; TotalNumVgprs: 4
; ScratchSize: 0
; MemoryBound: 0
; FloatMode: 240
; IeeeMode: 1
; LDSByteSize: 1024 bytes/workgroup (compile time only)
; SGPRBlocks: 2
; VGPRBlocks: 0
; NumSGPRsForWavesPerEU: 18
; NumVGPRsForWavesPerEU: 4
; AccumOffset: 4
; Occupancy: 8
; WaveLimiterHint : 0
; COMPUTE_PGM_RSRC2:SCRATCH_EN: 0
; COMPUTE_PGM_RSRC2:USER_SGPR: 2
; COMPUTE_PGM_RSRC2:TRAP_HANDLER: 0
; COMPUTE_PGM_RSRC2:TGID_X_EN: 1
; COMPUTE_PGM_RSRC2:TGID_Y_EN: 1
; COMPUTE_PGM_RSRC2:TGID_Z_EN: 0
; COMPUTE_PGM_RSRC2:TIDIG_COMP_CNT: 0
; COMPUTE_PGM_RSRC3_GFX90A:ACCUM_OFFSET: 0
; COMPUTE_PGM_RSRC3_GFX90A:TG_SPLIT: 0
	.section	.text._ZN9rocsparseL18gtsv_LBM_wv_kernelILj256ELj256EfEEviiiPKT1_S3_S3_PS1_S4_S4_Pi,"axG",@progbits,_ZN9rocsparseL18gtsv_LBM_wv_kernelILj256ELj256EfEEviiiPKT1_S3_S3_PS1_S4_S4_Pi,comdat
	.globl	_ZN9rocsparseL18gtsv_LBM_wv_kernelILj256ELj256EfEEviiiPKT1_S3_S3_PS1_S4_S4_Pi ; -- Begin function _ZN9rocsparseL18gtsv_LBM_wv_kernelILj256ELj256EfEEviiiPKT1_S3_S3_PS1_S4_S4_Pi
	.p2align	8
	.type	_ZN9rocsparseL18gtsv_LBM_wv_kernelILj256ELj256EfEEviiiPKT1_S3_S3_PS1_S4_S4_Pi,@function
_ZN9rocsparseL18gtsv_LBM_wv_kernelILj256ELj256EfEEviiiPKT1_S3_S3_PS1_S4_S4_Pi: ; @_ZN9rocsparseL18gtsv_LBM_wv_kernelILj256ELj256EfEEviiiPKT1_S3_S3_PS1_S4_S4_Pi
; %bb.0:
	s_load_dword s27, s[0:1], 0x0
	v_lshl_or_b32 v0, s2, 8, v0
	s_waitcnt lgkmcnt(0)
	s_lshr_b32 s26, s27, 8
	v_cmp_gt_i32_e32 vcc, s26, v0
	s_and_saveexec_b64 s[2:3], vcc
	s_cbranch_execz .LBB80_30
; %bb.1:
	s_load_dwordx2 s[16:17], s[0:1], 0x10
	s_load_dwordx8 s[8:15], s[0:1], 0x20
	v_ashrrev_i32_e32 v1, 31, v0
	v_lshlrev_b64 v[2:3], 2, v[0:1]
	s_mul_i32 s28, s26, 0xff
	s_waitcnt lgkmcnt(0)
	v_lshl_add_u64 v[4:5], s[16:17], 0, v[2:3]
	global_load_dword v10, v[4:5], off
	v_add_u32_e32 v4, s28, v0
	v_mov_b32_e32 v5, 0
	v_lshlrev_b64 v[6:7], 2, v[4:5]
	v_lshl_add_u64 v[8:9], s[8:9], 0, v[6:7]
	global_load_dword v4, v[8:9], off
	s_load_dwordx2 s[6:7], s[0:1], 0x40
	v_lshl_add_u64 v[2:3], s[10:11], 0, v[2:3]
	s_cmp_lt_i32 s27, 1
	v_add_u32_e32 v13, s26, v0
	v_lshl_add_u64 v[6:7], s[12:13], 0, v[6:7]
	s_waitcnt vmcnt(1)
	global_store_dword v[2:3], v10, off
	s_waitcnt vmcnt(1)
	global_store_dword v[6:7], v4, off
	v_mov_b32_e32 v4, v5
	s_cbranch_scc1 .LBB80_23
; %bb.2:
	s_load_dwordx2 s[18:19], s[0:1], 0x18
	s_mov_b32 s22, 0x372fe950
	s_mul_i32 s29, s26, 0xfe
	s_lshl_b32 s30, s26, 1
	s_mov_b64 s[20:21], 0
	s_waitcnt lgkmcnt(0)
	v_lshl_add_u64 v[4:5], v[0:1], 2, s[18:19]
	global_load_dword v6, v[4:5], off
	v_add_u32_e32 v1, s26, v13
	v_mov_b32_e32 v4, 0
	s_mov_b32 s23, 0x3fe3c6ef
	v_mov_b32_e32 v24, 2
	v_mov_b32_e32 v25, 1
	s_branch .LBB80_5
.LBB80_3:                               ;   in Loop: Header=BB80_5 Depth=1
	s_or_b64 exec, exec, s[4:5]
	v_fma_f32 v6, -v6, v27, v8
	v_mov_b32_e32 v5, s26
.LBB80_4:                               ;   in Loop: Header=BB80_5 Depth=1
	s_or_b64 exec, exec, s[2:3]
	v_add_u32_e32 v4, v5, v4
	v_cmp_le_i32_e32 vcc, s27, v4
	s_or_b64 s[20:21], vcc, s[20:21]
	s_andn2_b64 exec, exec, s[20:21]
	s_cbranch_execz .LBB80_22
.LBB80_5:                               ; =>This Inner Loop Header: Depth=1
	v_add_u32_e32 v10, v4, v0
	v_ashrrev_i32_e32 v11, 31, v10
	v_lshl_add_u64 v[8:9], v[10:11], 2, s[8:9]
	global_load_dword v9, v[8:9], off
	v_cmp_gt_u32_e64 s[0:1], s28, v4
	v_mov_b32_e32 v7, 0
	s_and_saveexec_b64 s[2:3], s[0:1]
	s_cbranch_execz .LBB80_7
; %bb.6:                                ;   in Loop: Header=BB80_5 Depth=1
	v_add_u32_e32 v14, v13, v4
	v_ashrrev_i32_e32 v15, 31, v14
	v_lshl_add_u64 v[14:15], v[14:15], 2, s[16:17]
	global_load_dword v7, v[14:15], off
.LBB80_7:                               ;   in Loop: Header=BB80_5 Depth=1
	s_or_b64 exec, exec, s[2:3]
	v_mov_b32_e32 v26, 0
	v_mov_b32_e32 v8, 0
	s_and_saveexec_b64 s[2:3], s[0:1]
	s_cbranch_execz .LBB80_9
; %bb.8:                                ;   in Loop: Header=BB80_5 Depth=1
	v_add_u32_e32 v14, v13, v4
	v_ashrrev_i32_e32 v15, 31, v14
	v_lshl_add_u64 v[14:15], v[14:15], 2, s[18:19]
	global_load_dword v8, v[14:15], off
.LBB80_9:                               ;   in Loop: Header=BB80_5 Depth=1
	s_or_b64 exec, exec, s[2:3]
	s_and_saveexec_b64 s[2:3], s[0:1]
	s_cbranch_execz .LBB80_11
; %bb.10:                               ;   in Loop: Header=BB80_5 Depth=1
	v_add_u32_e32 v14, v13, v4
	v_ashrrev_i32_e32 v15, 31, v14
	v_lshl_add_u64 v[14:15], v[14:15], 2, s[8:9]
	global_load_dword v26, v[14:15], off
.LBB80_11:                              ;   in Loop: Header=BB80_5 Depth=1
	s_or_b64 exec, exec, s[2:3]
	v_cmp_gt_u32_e64 s[2:3], s29, v4
	v_mov_b32_e32 v12, 0
	s_and_saveexec_b64 s[4:5], s[2:3]
	s_cbranch_execz .LBB80_13
; %bb.12:                               ;   in Loop: Header=BB80_5 Depth=1
	v_add_u32_e32 v14, v1, v4
	v_ashrrev_i32_e32 v15, 31, v14
	v_lshl_add_u64 v[14:15], v[14:15], 2, s[16:17]
	global_load_dword v12, v[14:15], off
.LBB80_13:                              ;   in Loop: Header=BB80_5 Depth=1
	s_or_b64 exec, exec, s[4:5]
	s_waitcnt vmcnt(0)
	v_cmp_gt_f32_e32 vcc, 0, v7
	v_mul_f32_e32 v27, v9, v7
	v_cmp_ne_u32_e64 s[4:5], s28, v4
	v_cndmask_b32_e64 v5, v7, -v7, vcc
	v_cmp_gt_f32_e32 vcc, 0, v12
	s_nop 1
	v_cndmask_b32_e64 v14, v12, -v12, vcc
	v_cmp_lt_f32_e32 vcc, v5, v14
	s_nop 1
	v_cndmask_b32_e32 v5, v5, v14, vcc
	v_cmp_gt_f32_e32 vcc, 0, v8
	s_nop 1
	v_cndmask_b32_e64 v14, v8, -v8, vcc
	v_cmp_lt_f32_e32 vcc, v14, v5
	s_nop 1
	v_cndmask_b32_e32 v5, v14, v5, vcc
	;; [unrolled: 6-line block ×4, first 2 shown]
	v_cmp_gt_f32_e32 vcc, 0, v6
	v_cvt_f64_f32_e32 v[14:15], v5
	s_nop 0
	v_cndmask_b32_e64 v5, v6, -v6, vcc
	v_cmp_gt_f32_e32 vcc, 0, v27
	v_cvt_f64_f32_e32 v[16:17], v5
	v_mul_f64 v[14:15], v[16:17], v[14:15]
	v_cndmask_b32_e64 v5, v27, -v27, vcc
	v_cvt_f64_f32_e32 v[16:17], v5
	v_mul_f64 v[16:17], v[16:17], s[22:23]
	v_cmp_nge_f64_e32 vcc, v[14:15], v[16:17]
	s_and_b64 s[4:5], s[4:5], vcc
	s_and_saveexec_b64 s[24:25], s[4:5]
	s_xor_b64 s[4:5], exec, s[24:25]
	s_cbranch_execz .LBB80_19
; %bb.14:                               ;   in Loop: Header=BB80_5 Depth=1
	v_add_u32_e32 v16, v13, v4
	v_ashrrev_i32_e32 v17, 31, v16
	v_ashrrev_i32_e32 v5, 31, v4
	v_lshlrev_b64 v[16:17], 2, v[16:17]
	v_lshl_add_u64 v[28:29], v[4:5], 2, v[2:3]
	v_lshl_add_u64 v[20:21], s[10:11], 0, v[16:17]
	v_lshlrev_b64 v[10:11], 2, v[10:11]
	global_load_dword v14, v[28:29], off
	global_load_dword v15, v[20:21], off
	v_lshl_add_u64 v[30:31], s[12:13], 0, v[10:11]
	v_lshl_add_u64 v[18:19], s[12:13], 0, v[16:17]
	global_load_dword v22, v[30:31], off
	global_load_dword v23, v[18:19], off
	v_fma_f32 v5, v6, v8, -v27
	v_div_scale_f32 v36, s[24:25], v5, v5, 1.0
	v_rcp_f32_e32 v37, v36
	v_lshl_add_u64 v[32:33], s[14:15], 0, v[10:11]
	v_lshl_add_u64 v[34:35], s[6:7], 0, v[10:11]
	v_div_scale_f32 v38, vcc, 1.0, v5, 1.0
	v_fma_f32 v10, -v36, v37, 1.0
	v_fmac_f32_e32 v37, v10, v37
	v_mul_f32_e32 v10, v38, v37
	v_fma_f32 v11, -v36, v10, v38
	v_fmac_f32_e32 v10, v11, v37
	v_fma_f32 v11, -v36, v10, v38
	v_div_fmas_f32 v10, v11, v37, v10
	v_mul_f32_e64 v27, v26, -v9
	v_div_fixup_f32 v10, v10, v5, 1.0
	v_mul_f32_e32 v5, v10, v27
	global_store_dword v[32:33], v5, off
	s_waitcnt vmcnt(3)
	v_pk_mul_f32 v[32:33], v[8:9], v[14:15]
	s_nop 0
	v_sub_f32_e32 v5, v32, v33
	v_mul_f32_e32 v5, v10, v5
	s_waitcnt vmcnt(1)
	v_pk_mul_f32 v[8:9], v[8:9], v[22:23]
	s_nop 0
	v_sub_f32_e32 v8, v8, v9
	v_mul_f32_e32 v8, v10, v8
	global_store_dword v[28:29], v5, off
	global_store_dword v[30:31], v8, off
	;; [unrolled: 1-line block ×3, first 2 shown]
	s_and_saveexec_b64 s[24:25], s[0:1]
	s_cbranch_execz .LBB80_16
; %bb.15:                               ;   in Loop: Header=BB80_5 Depth=1
	v_mov_b32_e32 v8, v15
	v_mov_b32_e32 v9, v14
	v_pk_mul_f32 v[8:9], v[6:7], v[8:9]
	s_nop 0
	v_sub_f32_e32 v5, v8, v9
	v_mov_b32_e32 v8, v23
	v_mov_b32_e32 v9, v22
	v_mul_f32_e32 v5, v10, v5
	v_pk_mul_f32 v[8:9], v[6:7], v[8:9]
	global_store_dword v[20:21], v5, off
	v_sub_f32_e32 v5, v8, v9
	v_mul_f32_e32 v5, v10, v5
	global_store_dword v[18:19], v5, off
	v_mul_f32_e32 v5, v6, v26
	v_mul_f32_e32 v5, v10, v5
	v_lshl_add_u64 v[8:9], s[14:15], 0, v[16:17]
	global_store_dword v[8:9], v5, off
	v_lshl_add_u64 v[8:9], s[6:7], 0, v[16:17]
	global_store_dword v[8:9], v24, off
.LBB80_16:                              ;   in Loop: Header=BB80_5 Depth=1
	s_or_b64 exec, exec, s[24:25]
	v_mov_b32_e32 v5, 0
	s_and_saveexec_b64 s[24:25], s[2:3]
	s_cbranch_execz .LBB80_18
; %bb.17:                               ;   in Loop: Header=BB80_5 Depth=1
	v_add_u32_e32 v8, v1, v4
	v_ashrrev_i32_e32 v9, 31, v8
	v_lshlrev_b64 v[8:9], 2, v[8:9]
	v_lshl_add_u64 v[16:17], s[10:11], 0, v[8:9]
	v_lshl_add_u64 v[8:9], s[18:19], 0, v[8:9]
	global_load_dword v11, v[8:9], off
	global_load_dword v5, v[16:17], off
	v_xor_b32_e32 v8, 0x80000000, v7
	v_mov_b32_e32 v9, v6
	v_pk_mul_f32 v[6:7], v[12:13], v[8:9] op_sel_hi:[0,1]
	v_mul_f32_e32 v12, v26, v7
	s_waitcnt vmcnt(1)
	v_pk_mul_f32 v[8:9], v[6:7], v[10:11] op_sel_hi:[1,0] neg_lo:[0,1]
	s_nop 0
	v_pk_mul_f32 v[6:7], v[8:9], v[14:15]
	s_nop 0
	v_sub_f32_e32 v6, v6, v7
	s_waitcnt vmcnt(0)
	v_add_f32_e32 v5, v6, v5
	global_store_dword v[16:17], v5, off
	v_fma_f32 v5, -v10, v12, v11
.LBB80_18:                              ;   in Loop: Header=BB80_5 Depth=1
	s_or_b64 exec, exec, s[24:25]
	v_mov_b32_e32 v6, v5
                                        ; implicit-def: $vgpr27
                                        ; implicit-def: $vgpr8
                                        ; implicit-def: $vgpr10_vgpr11
.LBB80_19:                              ;   in Loop: Header=BB80_5 Depth=1
	s_or_saveexec_b64 s[2:3], s[4:5]
	v_mov_b32_e32 v5, s30
	s_xor_b64 exec, exec, s[2:3]
	s_cbranch_execz .LBB80_4
; %bb.20:                               ;   in Loop: Header=BB80_5 Depth=1
	v_ashrrev_i32_e32 v5, 31, v4
	v_lshl_add_u64 v[14:15], v[4:5], 2, v[2:3]
	v_lshlrev_b64 v[10:11], 2, v[10:11]
	global_load_dword v5, v[14:15], off
	v_lshl_add_u64 v[16:17], s[12:13], 0, v[10:11]
	global_load_dword v12, v[16:17], off
	v_div_scale_f32 v20, s[4:5], v6, v6, 1.0
	v_rcp_f32_e32 v21, v20
	v_div_scale_f32 v22, vcc, 1.0, v6, 1.0
	v_lshl_add_u64 v[18:19], s[14:15], 0, v[10:11]
	v_fma_f32 v23, -v20, v21, 1.0
	v_fmac_f32_e32 v21, v23, v21
	v_mul_f32_e32 v23, v22, v21
	v_fma_f32 v26, -v20, v23, v22
	v_fmac_f32_e32 v23, v26, v21
	v_fma_f32 v20, -v20, v23, v22
	v_div_fmas_f32 v20, v20, v21, v23
	v_div_fixup_f32 v6, v20, v6, 1.0
	v_mul_f32_e32 v9, v6, v9
	global_store_dword v[18:19], v9, off
	v_lshl_add_u64 v[10:11], s[6:7], 0, v[10:11]
	s_waitcnt vmcnt(2)
	v_mul_f32_e32 v9, v6, v5
	s_waitcnt vmcnt(1)
	v_mul_f32_e32 v12, v6, v12
	global_store_dword v[14:15], v9, off
	global_store_dword v[16:17], v12, off
	;; [unrolled: 1-line block ×3, first 2 shown]
	s_and_saveexec_b64 s[4:5], s[0:1]
	s_cbranch_execz .LBB80_3
; %bb.21:                               ;   in Loop: Header=BB80_5 Depth=1
	v_add_u32_e32 v10, v13, v4
	v_ashrrev_i32_e32 v11, 31, v10
	v_lshl_add_u64 v[10:11], v[10:11], 2, s[10:11]
	global_load_dword v9, v[10:11], off
	v_mul_f32_e32 v7, v7, v6
	s_waitcnt vmcnt(0)
	v_fma_f32 v5, -v7, v5, v9
	global_store_dword v[10:11], v5, off
	s_branch .LBB80_3
.LBB80_22:
	s_or_b64 exec, exec, s[20:21]
.LBB80_23:
	v_subrev_u32_e32 v1, s26, v4
	v_add_u32_e32 v4, v1, v0
	v_ashrrev_i32_e32 v5, 31, v4
	s_waitcnt lgkmcnt(0)
	v_lshl_add_u64 v[4:5], v[4:5], 2, s[6:7]
	buffer_wbl2 sc1
	s_waitcnt vmcnt(0)
	buffer_inv sc1
	global_load_dword v4, v[4:5], off
	s_waitcnt vmcnt(0)
	v_mul_lo_u32 v4, v4, s26
	v_sub_u32_e32 v4, v1, v4
	v_cmp_lt_i32_e32 vcc, -1, v4
	s_and_b64 exec, exec, vcc
	s_cbranch_execz .LBB80_30
; %bb.24:
	v_subrev_u32_e32 v1, s26, v0
	s_lshl_b32 s4, s26, 1
	s_mov_b64 s[0:1], 0
	s_branch .LBB80_26
.LBB80_25:                              ;   in Loop: Header=BB80_26 Depth=1
	s_or_b64 exec, exec, s[2:3]
	v_sub_u32_e32 v4, v4, v5
	v_cmp_gt_i32_e32 vcc, 0, v4
	s_or_b64 s[0:1], vcc, s[0:1]
	s_andn2_b64 exec, exec, s[0:1]
	s_cbranch_execz .LBB80_30
.LBB80_26:                              ; =>This Inner Loop Header: Depth=1
	v_add_u32_e32 v6, v4, v0
	v_ashrrev_i32_e32 v7, 31, v6
	s_waitcnt vmcnt(0)
	v_lshlrev_b64 v[8:9], 2, v[6:7]
	v_lshl_add_u64 v[10:11], s[6:7], 0, v[8:9]
	global_load_dword v5, v[10:11], off
	v_lshl_add_u64 v[8:9], s[14:15], 0, v[8:9]
	global_load_dword v8, v[8:9], off
	s_waitcnt vmcnt(1)
	v_cmp_ne_u32_e32 vcc, 1, v5
	s_and_saveexec_b64 s[2:3], vcc
	s_xor_b64 s[2:3], exec, s[2:3]
	s_cbranch_execz .LBB80_28
; %bb.27:                               ;   in Loop: Header=BB80_26 Depth=1
	v_add_u32_e32 v10, v13, v4
	v_ashrrev_i32_e32 v11, 31, v10
	v_lshlrev_b64 v[10:11], 2, v[10:11]
	v_lshl_add_u64 v[14:15], s[10:11], 0, v[10:11]
	v_ashrrev_i32_e32 v5, 31, v4
	v_lshl_add_u64 v[16:17], v[4:5], 2, v[2:3]
	global_load_dword v5, v[14:15], off
	global_load_dword v9, v[16:17], off
	v_lshl_add_u64 v[10:11], s[12:13], 0, v[10:11]
	v_lshl_add_u64 v[6:7], v[6:7], 2, s[12:13]
	global_load_dword v12, v[10:11], off
	global_load_dword v24, v[6:7], off
	v_add_u32_e32 v18, v1, v4
	v_ashrrev_i32_e32 v19, 31, v18
	v_lshlrev_b64 v[18:19], 2, v[18:19]
	v_lshl_add_u64 v[20:21], s[14:15], 0, v[18:19]
	global_load_dword v20, v[20:21], off
	v_lshl_add_u64 v[22:23], s[10:11], 0, v[18:19]
	v_lshl_add_u64 v[18:19], s[12:13], 0, v[18:19]
	s_waitcnt vmcnt(3)
	v_fma_f32 v5, -v8, v5, v9
	s_waitcnt vmcnt(1)
	v_fma_f32 v8, -v8, v12, v24
	global_store_dword v[16:17], v5, off
	global_store_dword v[6:7], v8, off
	global_load_dword v5, v[14:15], off
	s_nop 0
	global_load_dword v6, v[22:23], off
	global_load_dword v7, v[10:11], off
	global_load_dword v8, v[18:19], off
	s_waitcnt vmcnt(2)
	v_fma_f32 v5, -v20, v5, v6
	s_waitcnt vmcnt(0)
	v_fma_f32 v6, -v20, v7, v8
	global_store_dword v[22:23], v5, off
	global_store_dword v[18:19], v6, off
                                        ; implicit-def: $vgpr8
                                        ; implicit-def: $vgpr6_vgpr7
.LBB80_28:                              ;   in Loop: Header=BB80_26 Depth=1
	s_or_saveexec_b64 s[2:3], s[2:3]
	v_mov_b32_e32 v5, s4
	s_xor_b64 exec, exec, s[2:3]
	s_cbranch_execz .LBB80_25
; %bb.29:                               ;   in Loop: Header=BB80_26 Depth=1
	v_add_u32_e32 v10, v13, v4
	v_ashrrev_i32_e32 v11, 31, v10
	v_lshlrev_b64 v[10:11], 2, v[10:11]
	v_lshl_add_u64 v[14:15], s[10:11], 0, v[10:11]
	v_ashrrev_i32_e32 v5, 31, v4
	v_lshl_add_u64 v[16:17], v[4:5], 2, v[2:3]
	global_load_dword v5, v[14:15], off
	global_load_dword v9, v[16:17], off
	v_lshl_add_u64 v[10:11], s[12:13], 0, v[10:11]
	v_lshl_add_u64 v[6:7], v[6:7], 2, s[12:13]
	global_load_dword v12, v[10:11], off
	global_load_dword v14, v[6:7], off
	s_waitcnt vmcnt(2)
	v_fma_f32 v5, -v8, v5, v9
	s_waitcnt vmcnt(0)
	v_fma_f32 v8, -v8, v12, v14
	global_store_dword v[16:17], v5, off
	global_store_dword v[6:7], v8, off
	v_mov_b32_e32 v5, s26
	s_branch .LBB80_25
.LBB80_30:
	s_endpgm
	.section	.rodata,"a",@progbits
	.p2align	6, 0x0
	.amdhsa_kernel _ZN9rocsparseL18gtsv_LBM_wv_kernelILj256ELj256EfEEviiiPKT1_S3_S3_PS1_S4_S4_Pi
		.amdhsa_group_segment_fixed_size 0
		.amdhsa_private_segment_fixed_size 0
		.amdhsa_kernarg_size 72
		.amdhsa_user_sgpr_count 2
		.amdhsa_user_sgpr_dispatch_ptr 0
		.amdhsa_user_sgpr_queue_ptr 0
		.amdhsa_user_sgpr_kernarg_segment_ptr 1
		.amdhsa_user_sgpr_dispatch_id 0
		.amdhsa_user_sgpr_kernarg_preload_length 0
		.amdhsa_user_sgpr_kernarg_preload_offset 0
		.amdhsa_user_sgpr_private_segment_size 0
		.amdhsa_uses_dynamic_stack 0
		.amdhsa_enable_private_segment 0
		.amdhsa_system_sgpr_workgroup_id_x 1
		.amdhsa_system_sgpr_workgroup_id_y 0
		.amdhsa_system_sgpr_workgroup_id_z 0
		.amdhsa_system_sgpr_workgroup_info 0
		.amdhsa_system_vgpr_workitem_id 0
		.amdhsa_next_free_vgpr 39
		.amdhsa_next_free_sgpr 31
		.amdhsa_accum_offset 40
		.amdhsa_reserve_vcc 1
		.amdhsa_float_round_mode_32 0
		.amdhsa_float_round_mode_16_64 0
		.amdhsa_float_denorm_mode_32 3
		.amdhsa_float_denorm_mode_16_64 3
		.amdhsa_dx10_clamp 1
		.amdhsa_ieee_mode 1
		.amdhsa_fp16_overflow 0
		.amdhsa_tg_split 0
		.amdhsa_exception_fp_ieee_invalid_op 0
		.amdhsa_exception_fp_denorm_src 0
		.amdhsa_exception_fp_ieee_div_zero 0
		.amdhsa_exception_fp_ieee_overflow 0
		.amdhsa_exception_fp_ieee_underflow 0
		.amdhsa_exception_fp_ieee_inexact 0
		.amdhsa_exception_int_div_zero 0
	.end_amdhsa_kernel
	.section	.text._ZN9rocsparseL18gtsv_LBM_wv_kernelILj256ELj256EfEEviiiPKT1_S3_S3_PS1_S4_S4_Pi,"axG",@progbits,_ZN9rocsparseL18gtsv_LBM_wv_kernelILj256ELj256EfEEviiiPKT1_S3_S3_PS1_S4_S4_Pi,comdat
.Lfunc_end80:
	.size	_ZN9rocsparseL18gtsv_LBM_wv_kernelILj256ELj256EfEEviiiPKT1_S3_S3_PS1_S4_S4_Pi, .Lfunc_end80-_ZN9rocsparseL18gtsv_LBM_wv_kernelILj256ELj256EfEEviiiPKT1_S3_S3_PS1_S4_S4_Pi
                                        ; -- End function
	.set _ZN9rocsparseL18gtsv_LBM_wv_kernelILj256ELj256EfEEviiiPKT1_S3_S3_PS1_S4_S4_Pi.num_vgpr, 39
	.set _ZN9rocsparseL18gtsv_LBM_wv_kernelILj256ELj256EfEEviiiPKT1_S3_S3_PS1_S4_S4_Pi.num_agpr, 0
	.set _ZN9rocsparseL18gtsv_LBM_wv_kernelILj256ELj256EfEEviiiPKT1_S3_S3_PS1_S4_S4_Pi.numbered_sgpr, 31
	.set _ZN9rocsparseL18gtsv_LBM_wv_kernelILj256ELj256EfEEviiiPKT1_S3_S3_PS1_S4_S4_Pi.num_named_barrier, 0
	.set _ZN9rocsparseL18gtsv_LBM_wv_kernelILj256ELj256EfEEviiiPKT1_S3_S3_PS1_S4_S4_Pi.private_seg_size, 0
	.set _ZN9rocsparseL18gtsv_LBM_wv_kernelILj256ELj256EfEEviiiPKT1_S3_S3_PS1_S4_S4_Pi.uses_vcc, 1
	.set _ZN9rocsparseL18gtsv_LBM_wv_kernelILj256ELj256EfEEviiiPKT1_S3_S3_PS1_S4_S4_Pi.uses_flat_scratch, 0
	.set _ZN9rocsparseL18gtsv_LBM_wv_kernelILj256ELj256EfEEviiiPKT1_S3_S3_PS1_S4_S4_Pi.has_dyn_sized_stack, 0
	.set _ZN9rocsparseL18gtsv_LBM_wv_kernelILj256ELj256EfEEviiiPKT1_S3_S3_PS1_S4_S4_Pi.has_recursion, 0
	.set _ZN9rocsparseL18gtsv_LBM_wv_kernelILj256ELj256EfEEviiiPKT1_S3_S3_PS1_S4_S4_Pi.has_indirect_call, 0
	.section	.AMDGPU.csdata,"",@progbits
; Kernel info:
; codeLenInByte = 2128
; TotalNumSgprs: 37
; NumVgprs: 39
; NumAgprs: 0
; TotalNumVgprs: 39
; ScratchSize: 0
; MemoryBound: 0
; FloatMode: 240
; IeeeMode: 1
; LDSByteSize: 0 bytes/workgroup (compile time only)
; SGPRBlocks: 4
; VGPRBlocks: 4
; NumSGPRsForWavesPerEU: 37
; NumVGPRsForWavesPerEU: 39
; AccumOffset: 40
; Occupancy: 8
; WaveLimiterHint : 0
; COMPUTE_PGM_RSRC2:SCRATCH_EN: 0
; COMPUTE_PGM_RSRC2:USER_SGPR: 2
; COMPUTE_PGM_RSRC2:TRAP_HANDLER: 0
; COMPUTE_PGM_RSRC2:TGID_X_EN: 1
; COMPUTE_PGM_RSRC2:TGID_Y_EN: 0
; COMPUTE_PGM_RSRC2:TGID_Z_EN: 0
; COMPUTE_PGM_RSRC2:TIDIG_COMP_CNT: 0
; COMPUTE_PGM_RSRC3_GFX90A:ACCUM_OFFSET: 9
; COMPUTE_PGM_RSRC3_GFX90A:TG_SPLIT: 0
	.section	.text._ZN9rocsparseL19gtsv_LBM_rhs_kernelILj256ELj256ELj8EfEEviiiPKT2_S3_S3_PS1_S3_PKi,"axG",@progbits,_ZN9rocsparseL19gtsv_LBM_rhs_kernelILj256ELj256ELj8EfEEviiiPKT2_S3_S3_PS1_S3_PKi,comdat
	.globl	_ZN9rocsparseL19gtsv_LBM_rhs_kernelILj256ELj256ELj8EfEEviiiPKT2_S3_S3_PS1_S3_PKi ; -- Begin function _ZN9rocsparseL19gtsv_LBM_rhs_kernelILj256ELj256ELj8EfEEviiiPKT2_S3_S3_PS1_S3_PKi
	.p2align	8
	.type	_ZN9rocsparseL19gtsv_LBM_rhs_kernelILj256ELj256ELj8EfEEviiiPKT2_S3_S3_PS1_S3_PKi,@function
_ZN9rocsparseL19gtsv_LBM_rhs_kernelILj256ELj256ELj8EfEEviiiPKT2_S3_S3_PS1_S3_PKi: ; @_ZN9rocsparseL19gtsv_LBM_rhs_kernelILj256ELj256ELj8EfEEviiiPKT2_S3_S3_PS1_S3_PKi
; %bb.0:
	s_load_dword s23, s[0:1], 0x0
	v_lshl_or_b32 v0, s2, 8, v0
	s_waitcnt lgkmcnt(0)
	s_lshr_b32 s22, s23, 8
	v_cmp_gt_i32_e32 vcc, s22, v0
	s_and_saveexec_b64 s[4:5], vcc
	s_cbranch_execz .LBB81_29
; %bb.1:
	s_load_dwordx4 s[8:11], s[0:1], 0x28
	s_load_dwordx2 s[6:7], s[0:1], 0x38
	s_cmp_lt_i32 s23, 1
	v_add_u32_e32 v20, s22, v0
	s_mul_i32 s24, s3, s23
	s_cbranch_scc1 .LBB81_21
; %bb.2:
	s_load_dwordx4 s[12:15], s[0:1], 0x10
	s_load_dwordx2 s[16:17], s[0:1], 0x20
	v_ashrrev_i32_e32 v1, 31, v0
	s_lshl_b32 s28, s24, 3
	s_add_i32 s29, s28, s23
	s_waitcnt lgkmcnt(0)
	v_lshl_add_u64 v[2:3], v[0:1], 2, s[14:15]
	global_load_dword v23, v[2:3], off
	s_add_i32 s30, s29, s23
	s_add_i32 s31, s30, s23
	;; [unrolled: 1-line block ×5, first 2 shown]
	s_mul_i32 s25, s22, 0xff
	s_mul_i32 s26, s22, 0xfe
	s_lshl_b32 s27, s22, 1
	v_add_u32_e32 v1, s22, v20
	s_add_i32 s36, s35, s23
	v_mov_b32_e32 v3, 0
	s_mov_b64 s[18:19], 0
	v_mov_b32_e32 v21, 0
	s_branch .LBB81_5
.LBB81_3:                               ;   in Loop: Header=BB81_5 Depth=1
	s_or_b64 exec, exec, s[4:5]
	v_fma_f32 v23, -v23, v28, v24
	v_mov_b32_e32 v2, s22
.LBB81_4:                               ;   in Loop: Header=BB81_5 Depth=1
	s_or_b64 exec, exec, s[2:3]
	v_add_u32_e32 v21, v2, v21
	v_cmp_le_i32_e32 vcc, s23, v21
	s_or_b64 s[18:19], vcc, s[18:19]
	s_andn2_b64 exec, exec, s[18:19]
	s_cbranch_execz .LBB81_20
.LBB81_5:                               ; =>This Inner Loop Header: Depth=1
	v_add_u32_e32 v18, v21, v0
	v_ashrrev_i32_e32 v19, 31, v18
	v_lshl_add_u64 v[4:5], v[18:19], 2, s[16:17]
	global_load_dword v26, v[4:5], off
	v_cmp_gt_u32_e64 s[0:1], s25, v21
	v_mov_b32_e32 v22, 0
	s_and_saveexec_b64 s[2:3], s[0:1]
	s_cbranch_execz .LBB81_7
; %bb.6:                                ;   in Loop: Header=BB81_5 Depth=1
	v_add_u32_e32 v4, v20, v21
	v_ashrrev_i32_e32 v5, 31, v4
	v_lshl_add_u64 v[4:5], v[4:5], 2, s[12:13]
	global_load_dword v22, v[4:5], off
.LBB81_7:                               ;   in Loop: Header=BB81_5 Depth=1
	s_or_b64 exec, exec, s[2:3]
	v_mov_b32_e32 v25, 0
	v_mov_b32_e32 v24, 0
	s_and_saveexec_b64 s[2:3], s[0:1]
	s_cbranch_execz .LBB81_9
; %bb.8:                                ;   in Loop: Header=BB81_5 Depth=1
	v_add_u32_e32 v4, v20, v21
	v_ashrrev_i32_e32 v5, 31, v4
	v_lshl_add_u64 v[4:5], v[4:5], 2, s[14:15]
	global_load_dword v24, v[4:5], off
.LBB81_9:                               ;   in Loop: Header=BB81_5 Depth=1
	s_or_b64 exec, exec, s[2:3]
	s_and_saveexec_b64 s[2:3], s[0:1]
	s_cbranch_execz .LBB81_11
; %bb.10:                               ;   in Loop: Header=BB81_5 Depth=1
	v_add_u32_e32 v4, v20, v21
	v_ashrrev_i32_e32 v5, 31, v4
	v_lshl_add_u64 v[4:5], v[4:5], 2, s[16:17]
	global_load_dword v25, v[4:5], off
.LBB81_11:                              ;   in Loop: Header=BB81_5 Depth=1
	s_or_b64 exec, exec, s[2:3]
	v_cmp_gt_u32_e64 s[2:3], s26, v21
	v_mov_b32_e32 v27, 0
	s_and_saveexec_b64 s[4:5], s[2:3]
	s_cbranch_execz .LBB81_13
; %bb.12:                               ;   in Loop: Header=BB81_5 Depth=1
	v_add_u32_e32 v4, v1, v21
	v_ashrrev_i32_e32 v5, 31, v4
	v_lshl_add_u64 v[4:5], v[4:5], 2, s[12:13]
	global_load_dword v27, v[4:5], off
.LBB81_13:                              ;   in Loop: Header=BB81_5 Depth=1
	s_or_b64 exec, exec, s[4:5]
	v_add_u32_e32 v2, s28, v18
	v_lshl_add_u64 v[16:17], v[2:3], 2, s[8:9]
	v_add_u32_e32 v2, s29, v18
	v_lshl_add_u64 v[4:5], v[18:19], 2, s[6:7]
	v_lshl_add_u64 v[12:13], v[2:3], 2, s[8:9]
	v_add_u32_e32 v2, s30, v18
	global_load_dword v28, v[4:5], off
	v_lshl_add_u64 v[4:5], v[2:3], 2, s[8:9]
	v_add_u32_e32 v2, s31, v18
	v_lshl_add_u64 v[6:7], v[2:3], 2, s[8:9]
	v_add_u32_e32 v2, s33, v18
	;; [unrolled: 2-line block ×5, first 2 shown]
	v_lshl_add_u64 v[18:19], v[2:3], 2, s[8:9]
	global_load_dword v29, v[16:17], off
	global_load_dword v30, v[12:13], off
	;; [unrolled: 1-line block ×8, first 2 shown]
	v_cmp_ne_u32_e64 s[4:5], s25, v21
	s_waitcnt vmcnt(8)
	v_cmp_ne_u32_e32 vcc, 1, v28
	s_and_b64 s[4:5], s[4:5], vcc
	v_mul_f32_e32 v28, v26, v22
	s_and_saveexec_b64 s[20:21], s[4:5]
	s_xor_b64 s[4:5], exec, s[20:21]
	s_cbranch_execz .LBB81_17
; %bb.14:                               ;   in Loop: Header=BB81_5 Depth=1
	v_fma_f32 v28, v23, v24, -v28
	v_div_scale_f32 v37, s[20:21], v28, v28, 1.0
	v_rcp_f32_e32 v38, v37
	v_add_u32_e32 v39, v20, v21
	v_add_u32_e32 v2, s28, v39
	v_lshl_add_u64 v[40:41], v[2:3], 2, s[8:9]
	global_load_dword v56, v[40:41], off
	v_fma_f32 v2, -v37, v38, 1.0
	v_fmac_f32_e32 v38, v2, v38
	v_add_u32_e32 v2, s29, v39
	v_lshl_add_u64 v[42:43], v[2:3], 2, s[8:9]
	v_add_u32_e32 v2, s30, v39
	global_load_dword v57, v[42:43], off
	v_lshl_add_u64 v[44:45], v[2:3], 2, s[8:9]
	v_add_u32_e32 v2, s31, v39
	v_div_scale_f32 v54, vcc, 1.0, v28, 1.0
	v_lshl_add_u64 v[46:47], v[2:3], 2, s[8:9]
	v_add_u32_e32 v2, s33, v39
	global_load_dword v58, v[44:45], off
	global_load_dword v59, v[46:47], off
	v_lshl_add_u64 v[48:49], v[2:3], 2, s[8:9]
	v_mul_f32_e32 v61, v54, v38
	v_add_u32_e32 v2, s34, v39
	v_lshl_add_u64 v[50:51], v[2:3], 2, s[8:9]
	v_fma_f32 v2, -v37, v61, v54
	global_load_dword v60, v[48:49], off
	global_load_dword v62, v[50:51], off
	v_fmac_f32_e32 v61, v2, v38
	v_add_u32_e32 v2, s35, v39
	v_lshl_add_u64 v[52:53], v[2:3], 2, s[8:9]
	v_add_u32_e32 v2, s36, v39
	global_load_dword v63, v[52:53], off
	v_fma_f32 v37, -v37, v61, v54
	v_lshl_add_u64 v[54:55], v[2:3], 2, s[8:9]
	global_load_dword v2, v[54:55], off
	v_div_fmas_f32 v37, v37, v38, v61
	v_div_fixup_f32 v28, v37, v28, 1.0
	s_waitcnt vmcnt(14)
	v_mul_f32_e32 v37, v28, v30
	s_waitcnt vmcnt(9)
	v_mul_f32_e32 v30, v28, v35
	v_mul_f32_e32 v39, v28, v29
	;; [unrolled: 1-line block ×7, first 2 shown]
	s_waitcnt vmcnt(8)
	v_mul_f32_e32 v29, v28, v36
	v_mul_f32_e32 v36, v22, v37
	s_waitcnt vmcnt(7)
	v_mul_f32_e32 v35, v28, v56
	v_mul_f32_e32 v56, v26, v35
	v_fma_f32 v56, v24, v39, -v56
	global_store_dword v[16:17], v56, off
	v_fma_f32 v61, v23, v35, -v34
	v_mul_f32_e32 v16, v22, v38
	s_waitcnt vmcnt(7)
	v_mul_f32_e32 v17, v28, v57
	v_mul_f32_e32 v57, v26, v17
	v_fma_f32 v57, v24, v37, -v57
	global_store_dword v[12:13], v57, off
	v_mul_f32_e32 v56, v22, v32
	v_mul_f32_e32 v57, v22, v33
	v_fma_f32 v36, v23, v17, -v36
	s_waitcnt vmcnt(7)
	v_mul_f32_e32 v34, v28, v58
	s_waitcnt vmcnt(6)
	v_mul_f32_e32 v13, v28, v59
	v_mul_f32_e32 v12, v26, v34
	v_fma_f32 v58, v23, v34, -v16
	v_fma_f32 v59, v24, v38, -v12
	global_store_dword v[4:5], v59, off
	v_fma_f32 v56, v23, v13, -v56
	s_waitcnt vmcnt(6)
	v_mul_f32_e32 v16, v28, v60
	v_mul_f32_e32 v60, v26, v13
	s_waitcnt vmcnt(5)
	v_mul_f32_e32 v12, v28, v62
	v_fma_f32 v4, v24, v32, -v60
	v_mul_f32_e32 v59, v26, v16
	global_store_dword v[6:7], v4, off
	s_waitcnt vmcnt(5)
	v_mul_f32_e32 v5, v28, v63
	v_fma_f32 v6, v24, v33, -v59
	v_mul_f32_e32 v7, v26, v12
	s_waitcnt vmcnt(4)
	v_mul_f32_e32 v4, v28, v2
	global_store_dword v[8:9], v6, off
	v_fma_f32 v2, v24, v31, -v7
	v_mul_f32_e32 v6, v26, v5
	global_store_dword v[10:11], v2, off
	v_fma_f32 v2, v24, v30, -v6
	;; [unrolled: 3-line block ×3, first 2 shown]
	v_fma_f32 v57, v23, v16, -v57
	global_store_dword v[18:19], v2, off
	global_store_dword v[40:41], v61, off
	;; [unrolled: 1-line block ×6, first 2 shown]
	v_mul_f32_e32 v2, v22, v31
	v_fma_f32 v2, v23, v12, -v2
	global_store_dword v[50:51], v2, off
	v_mul_f32_e32 v2, v22, v30
	v_fma_f32 v2, v23, v5, -v2
	global_store_dword v[52:53], v2, off
	;; [unrolled: 3-line block ×3, first 2 shown]
	v_mov_b32_e32 v2, 0
	s_and_saveexec_b64 s[20:21], s[2:3]
	s_cbranch_execz .LBB81_16
; %bb.15:                               ;   in Loop: Header=BB81_5 Depth=1
	v_add_u32_e32 v6, v1, v21
	v_add_u32_e32 v2, s28, v6
	v_lshl_add_u64 v[8:9], v[2:3], 2, s[8:9]
	global_load_dword v7, v[8:9], off
	v_mul_f32_e32 v23, v23, v27
	v_mul_f32_e32 v22, v22, v27
	;; [unrolled: 1-line block ×3, first 2 shown]
	v_fma_f32 v18, v22, v39, -v2
	v_add_u32_e32 v2, s29, v6
	v_lshl_add_u64 v[10:11], v[2:3], 2, s[8:9]
	v_add_u32_e32 v2, s30, v6
	global_load_dword v24, v[10:11], off
	v_lshl_add_u64 v[14:15], v[2:3], 2, s[8:9]
	v_mul_f32_e32 v4, v23, v4
	v_fma_f32 v4, v22, v29, -v4
	s_waitcnt vmcnt(1)
	v_add_f32_e32 v2, v18, v7
	global_store_dword v[8:9], v2, off
	global_load_dword v7, v[14:15], off
	v_mul_f32_e32 v2, v23, v17
	v_mul_f32_e32 v8, v23, v34
	v_fma_f32 v17, v22, v37, -v2
	v_add_u32_e32 v2, s31, v6
	v_fma_f32 v26, v22, v38, -v8
	v_lshl_add_u64 v[8:9], v[2:3], 2, s[8:9]
	v_add_u32_e32 v2, s33, v6
	v_lshl_add_u64 v[18:19], v[2:3], 2, s[8:9]
	s_waitcnt vmcnt(2)
	v_add_f32_e32 v2, v17, v24
	global_store_dword v[10:11], v2, off
	global_load_dword v17, v[8:9], off
	v_mul_f32_e32 v10, v23, v16
	s_waitcnt vmcnt(2)
	v_add_f32_e32 v2, v26, v7
	global_store_dword v[14:15], v2, off
	global_load_dword v7, v[18:19], off
	v_mul_f32_e32 v2, v23, v13
	v_fma_f32 v13, v22, v32, -v2
	v_add_u32_e32 v2, s34, v6
	v_fma_f32 v14, v22, v33, -v10
	v_lshl_add_u64 v[10:11], v[2:3], 2, s[8:9]
	s_waitcnt vmcnt(2)
	v_add_f32_e32 v2, v13, v17
	global_store_dword v[8:9], v2, off
	s_waitcnt vmcnt(1)
	v_add_f32_e32 v2, v14, v7
	global_store_dword v[18:19], v2, off
	global_load_dword v7, v[10:11], off
	v_mul_f32_e32 v2, v23, v12
	v_fma_f32 v12, v22, v31, -v2
	v_add_u32_e32 v2, s35, v6
	v_lshl_add_u64 v[8:9], v[2:3], 2, s[8:9]
	s_waitcnt vmcnt(0)
	v_add_f32_e32 v2, v12, v7
	global_store_dword v[10:11], v2, off
	global_load_dword v12, v[8:9], off
	v_mul_f32_e32 v2, v23, v5
	v_fma_f32 v5, v22, v30, -v2
	v_add_u32_e32 v2, s36, v6
	v_lshl_add_u64 v[10:11], v[2:3], 2, s[8:9]
	v_ashrrev_i32_e32 v7, 31, v6
	v_lshl_add_u64 v[6:7], v[6:7], 2, s[14:15]
	s_waitcnt vmcnt(0)
	v_add_f32_e32 v2, v5, v12
	global_store_dword v[8:9], v2, off
	global_load_dword v2, v[10:11], off
	s_waitcnt vmcnt(0)
	v_add_f32_e32 v2, v4, v2
	global_load_dword v5, v[6:7], off
	v_mul_f32_e32 v6, v25, v23
	global_store_dword v[10:11], v2, off
	s_waitcnt vmcnt(1)
	v_fma_f32 v2, -v28, v6, v5
.LBB81_16:                              ;   in Loop: Header=BB81_5 Depth=1
	s_or_b64 exec, exec, s[20:21]
	v_mov_b32_e32 v23, v2
                                        ; implicit-def: $vgpr22
                                        ; implicit-def: $vgpr24
                                        ; implicit-def: $vgpr28
                                        ; implicit-def: $vgpr16_vgpr17
                                        ; implicit-def: $vgpr29
                                        ; implicit-def: $vgpr12_vgpr13
                                        ; implicit-def: $vgpr30
                                        ; implicit-def: $vgpr4_vgpr5
                                        ; implicit-def: $vgpr31
                                        ; implicit-def: $vgpr6_vgpr7
                                        ; implicit-def: $vgpr32
                                        ; implicit-def: $vgpr8_vgpr9
                                        ; implicit-def: $vgpr33
                                        ; implicit-def: $vgpr10_vgpr11
                                        ; implicit-def: $vgpr34
                                        ; implicit-def: $vgpr14_vgpr15
                                        ; implicit-def: $vgpr35
                                        ; implicit-def: $vgpr18_vgpr19
                                        ; implicit-def: $vgpr36
.LBB81_17:                              ;   in Loop: Header=BB81_5 Depth=1
	s_or_saveexec_b64 s[2:3], s[4:5]
	v_mov_b32_e32 v2, s27
	s_xor_b64 exec, exec, s[2:3]
	s_cbranch_execz .LBB81_4
; %bb.18:                               ;   in Loop: Header=BB81_5 Depth=1
	v_div_scale_f32 v2, s[4:5], v23, v23, 1.0
	v_rcp_f32_e32 v25, v2
	v_div_scale_f32 v26, vcc, 1.0, v23, 1.0
	v_fma_f32 v27, -v2, v25, 1.0
	v_fmac_f32_e32 v25, v27, v25
	v_mul_f32_e32 v27, v26, v25
	v_fma_f32 v37, -v2, v27, v26
	v_fmac_f32_e32 v27, v37, v25
	v_fma_f32 v2, -v2, v27, v26
	v_div_fmas_f32 v2, v2, v25, v27
	v_div_fixup_f32 v23, v2, v23, 1.0
	s_waitcnt vmcnt(7)
	v_mul_f32_e32 v38, v23, v29
	s_waitcnt vmcnt(6)
	v_mul_f32_e32 v37, v23, v30
	;; [unrolled: 2-line block ×8, first 2 shown]
	global_store_dword v[16:17], v38, off
	global_store_dword v[12:13], v37, off
	;; [unrolled: 1-line block ×8, first 2 shown]
	s_and_saveexec_b64 s[4:5], s[0:1]
	s_cbranch_execz .LBB81_3
; %bb.19:                               ;   in Loop: Header=BB81_5 Depth=1
	v_add_u32_e32 v12, v20, v21
	v_add_u32_e32 v2, s28, v12
	v_lshl_add_u64 v[4:5], v[2:3], 2, s[8:9]
	global_load_dword v10, v[4:5], off
	v_add_u32_e32 v2, s29, v12
	v_lshl_add_u64 v[6:7], v[2:3], 2, s[8:9]
	v_add_u32_e32 v2, s30, v12
	global_load_dword v13, v[6:7], off
	v_lshl_add_u64 v[8:9], v[2:3], 2, s[8:9]
	s_waitcnt vmcnt(1)
	v_fma_f32 v2, -v22, v38, v10
	global_store_dword v[4:5], v2, off
	global_load_dword v14, v[8:9], off
	v_add_u32_e32 v2, s31, v12
	v_lshl_add_u64 v[4:5], v[2:3], 2, s[8:9]
	v_add_u32_e32 v2, s33, v12
	v_lshl_add_u64 v[10:11], v[2:3], 2, s[8:9]
	s_waitcnt vmcnt(2)
	v_fma_f32 v2, -v22, v37, v13
	global_store_dword v[6:7], v2, off
	global_load_dword v13, v[4:5], off
	s_waitcnt vmcnt(2)
	v_fma_f32 v2, -v22, v31, v14
	global_store_dword v[8:9], v2, off
	global_load_dword v8, v[10:11], off
	v_add_u32_e32 v2, s34, v12
	v_lshl_add_u64 v[6:7], v[2:3], 2, s[8:9]
	s_waitcnt vmcnt(2)
	v_fma_f32 v2, -v22, v30, v13
	global_store_dword v[4:5], v2, off
	s_waitcnt vmcnt(1)
	v_fma_f32 v2, -v22, v29, v8
	global_store_dword v[10:11], v2, off
	global_load_dword v8, v[6:7], off
	v_add_u32_e32 v2, s35, v12
	v_lshl_add_u64 v[4:5], v[2:3], 2, s[8:9]
	s_waitcnt vmcnt(0)
	v_fma_f32 v2, -v22, v27, v8
	global_store_dword v[6:7], v2, off
	global_load_dword v6, v[4:5], off
	v_add_u32_e32 v2, s36, v12
	s_waitcnt vmcnt(0)
	v_fma_f32 v6, -v22, v26, v6
	global_store_dword v[4:5], v6, off
	v_lshl_add_u64 v[4:5], v[2:3], 2, s[8:9]
	global_load_dword v2, v[4:5], off
	s_waitcnt vmcnt(0)
	v_fma_f32 v2, -v22, v25, v2
	global_store_dword v[4:5], v2, off
	s_branch .LBB81_3
.LBB81_20:
	s_or_b64 exec, exec, s[18:19]
	s_branch .LBB81_22
.LBB81_21:
	v_mov_b32_e32 v21, 0
.LBB81_22:
	v_subrev_u32_e32 v1, s22, v21
	v_add_u32_e32 v2, v1, v0
	v_ashrrev_i32_e32 v3, 31, v2
	s_waitcnt lgkmcnt(0)
	v_lshl_add_u64 v[2:3], v[2:3], 2, s[6:7]
	buffer_wbl2 sc1
	s_waitcnt vmcnt(0)
	buffer_inv sc1
	global_load_dword v2, v[2:3], off
	s_waitcnt vmcnt(0)
	v_mul_lo_u32 v2, v2, s22
	v_sub_u32_e32 v1, v1, v2
	v_cmp_lt_i32_e32 vcc, -1, v1
	s_and_b64 exec, exec, vcc
	s_cbranch_execz .LBB81_29
; %bb.23:
	s_lshl_b32 s4, s24, 3
	s_add_i32 s5, s4, s23
	s_add_i32 s12, s5, s23
	;; [unrolled: 1-line block ×7, first 2 shown]
	s_lshl_b32 s18, s22, 1
	s_mov_b64 s[0:1], 0
	v_mov_b32_e32 v3, 0
	s_branch .LBB81_25
.LBB81_24:                              ;   in Loop: Header=BB81_25 Depth=1
	s_or_b64 exec, exec, s[2:3]
	v_sub_u32_e32 v1, v1, v2
	v_cmp_gt_i32_e32 vcc, 0, v1
	s_or_b64 s[0:1], vcc, s[0:1]
	s_andn2_b64 exec, exec, s[0:1]
	s_cbranch_execz .LBB81_29
.LBB81_25:                              ; =>This Inner Loop Header: Depth=1
	v_add_u32_e32 v4, v1, v0
	s_waitcnt vmcnt(0)
	v_ashrrev_i32_e32 v5, 31, v4
	v_lshlrev_b64 v[6:7], 2, v[4:5]
	v_lshl_add_u64 v[8:9], s[6:7], 0, v[6:7]
	global_load_dword v2, v[8:9], off
	v_lshl_add_u64 v[6:7], s[10:11], 0, v[6:7]
	global_load_dword v5, v[6:7], off
	s_waitcnt vmcnt(1)
	v_cmp_ne_u32_e32 vcc, 1, v2
	s_and_saveexec_b64 s[2:3], vcc
	s_xor_b64 s[2:3], exec, s[2:3]
	s_cbranch_execz .LBB81_27
; %bb.26:                               ;   in Loop: Header=BB81_25 Depth=1
	v_add_u32_e32 v21, v20, v1
	v_add_u32_e32 v2, s4, v21
	v_lshl_add_u64 v[6:7], v[2:3], 2, s[8:9]
	v_add_u32_e32 v2, s5, v21
	v_lshl_add_u64 v[8:9], v[2:3], 2, s[8:9]
	;; [unrolled: 2-line block ×9, first 2 shown]
	global_load_dword v21, v[24:25], off
	global_load_dword v26, v[6:7], off
	;; [unrolled: 1-line block ×9, first 2 shown]
	v_add_u32_e32 v2, s5, v4
	v_lshl_add_u64 v[6:7], v[2:3], 2, s[8:9]
	s_waitcnt vmcnt(7)
	v_fma_f32 v2, -v5, v26, v21
	global_store_dword v[24:25], v2, off
	global_load_dword v10, v[6:7], off
	v_add_u32_e32 v2, s12, v4
	v_lshl_add_u64 v[8:9], v[2:3], 2, s[8:9]
	s_waitcnt vmcnt(0)
	v_fma_f32 v2, -v5, v27, v10
	global_store_dword v[6:7], v2, off
	global_load_dword v10, v[8:9], off
	;; [unrolled: 6-line block ×7, first 2 shown]
	v_subrev_u32_e32 v2, s22, v1
	v_add_u32_e32 v8, v2, v0
	v_ashrrev_i32_e32 v9, 31, v8
	v_lshl_add_u64 v[10:11], v[8:9], 2, s[10:11]
	v_add_u32_e32 v2, s4, v8
	global_load_dword v9, v[10:11], off
	v_lshl_add_u64 v[10:11], v[2:3], 2, s[8:9]
	s_waitcnt vmcnt(1)
	v_fma_f32 v2, -v5, v33, v4
	global_store_dword v[6:7], v2, off
	global_load_dword v6, v[10:11], off
	v_add_u32_e32 v2, s5, v8
	v_lshl_add_u64 v[4:5], v[2:3], 2, s[8:9]
	s_waitcnt vmcnt(0)
	v_fma_f32 v2, -v9, v26, v6
	global_store_dword v[10:11], v2, off
	global_load_dword v10, v[4:5], off
	v_add_u32_e32 v2, s12, v8
	;; [unrolled: 6-line block ×7, first 2 shown]
	s_waitcnt vmcnt(0)
	v_fma_f32 v4, -v9, v32, v4
	global_store_dword v[6:7], v4, off
	v_lshl_add_u64 v[4:5], v[2:3], 2, s[8:9]
	global_load_dword v2, v[4:5], off
	s_waitcnt vmcnt(0)
	v_fma_f32 v2, -v9, v33, v2
	global_store_dword v[4:5], v2, off
                                        ; implicit-def: $vgpr4
                                        ; implicit-def: $vgpr5
.LBB81_27:                              ;   in Loop: Header=BB81_25 Depth=1
	s_or_saveexec_b64 s[2:3], s[2:3]
	v_mov_b32_e32 v2, s18
	s_xor_b64 exec, exec, s[2:3]
	s_cbranch_execz .LBB81_24
; %bb.28:                               ;   in Loop: Header=BB81_25 Depth=1
	v_add_u32_e32 v12, v20, v1
	v_add_u32_e32 v2, s4, v12
	v_lshl_add_u64 v[6:7], v[2:3], 2, s[8:9]
	v_add_u32_e32 v2, s4, v4
	v_lshl_add_u64 v[8:9], v[2:3], 2, s[8:9]
	global_load_dword v13, v[6:7], off
	global_load_dword v14, v[8:9], off
	v_add_u32_e32 v2, s5, v12
	v_lshl_add_u64 v[6:7], v[2:3], 2, s[8:9]
	v_add_u32_e32 v2, s5, v4
	v_lshl_add_u64 v[10:11], v[2:3], 2, s[8:9]
	s_waitcnt vmcnt(0)
	v_fma_f32 v2, -v5, v13, v14
	global_store_dword v[8:9], v2, off
	global_load_dword v13, v[6:7], off
	global_load_dword v14, v[10:11], off
	v_add_u32_e32 v2, s12, v12
	v_lshl_add_u64 v[6:7], v[2:3], 2, s[8:9]
	v_add_u32_e32 v2, s12, v4
	v_lshl_add_u64 v[8:9], v[2:3], 2, s[8:9]
	s_waitcnt vmcnt(0)
	v_fma_f32 v2, -v5, v13, v14
	global_store_dword v[10:11], v2, off
	;; [unrolled: 9-line block ×7, first 2 shown]
	global_load_dword v2, v[6:7], off
	s_nop 0
	global_load_dword v4, v[10:11], off
	s_waitcnt vmcnt(0)
	v_fma_f32 v2, -v5, v2, v4
	global_store_dword v[10:11], v2, off
	v_mov_b32_e32 v2, s22
	s_branch .LBB81_24
.LBB81_29:
	s_endpgm
	.section	.rodata,"a",@progbits
	.p2align	6, 0x0
	.amdhsa_kernel _ZN9rocsparseL19gtsv_LBM_rhs_kernelILj256ELj256ELj8EfEEviiiPKT2_S3_S3_PS1_S3_PKi
		.amdhsa_group_segment_fixed_size 0
		.amdhsa_private_segment_fixed_size 0
		.amdhsa_kernarg_size 64
		.amdhsa_user_sgpr_count 2
		.amdhsa_user_sgpr_dispatch_ptr 0
		.amdhsa_user_sgpr_queue_ptr 0
		.amdhsa_user_sgpr_kernarg_segment_ptr 1
		.amdhsa_user_sgpr_dispatch_id 0
		.amdhsa_user_sgpr_kernarg_preload_length 0
		.amdhsa_user_sgpr_kernarg_preload_offset 0
		.amdhsa_user_sgpr_private_segment_size 0
		.amdhsa_uses_dynamic_stack 0
		.amdhsa_enable_private_segment 0
		.amdhsa_system_sgpr_workgroup_id_x 1
		.amdhsa_system_sgpr_workgroup_id_y 1
		.amdhsa_system_sgpr_workgroup_id_z 0
		.amdhsa_system_sgpr_workgroup_info 0
		.amdhsa_system_vgpr_workitem_id 0
		.amdhsa_next_free_vgpr 64
		.amdhsa_next_free_sgpr 37
		.amdhsa_accum_offset 64
		.amdhsa_reserve_vcc 1
		.amdhsa_float_round_mode_32 0
		.amdhsa_float_round_mode_16_64 0
		.amdhsa_float_denorm_mode_32 3
		.amdhsa_float_denorm_mode_16_64 3
		.amdhsa_dx10_clamp 1
		.amdhsa_ieee_mode 1
		.amdhsa_fp16_overflow 0
		.amdhsa_tg_split 0
		.amdhsa_exception_fp_ieee_invalid_op 0
		.amdhsa_exception_fp_denorm_src 0
		.amdhsa_exception_fp_ieee_div_zero 0
		.amdhsa_exception_fp_ieee_overflow 0
		.amdhsa_exception_fp_ieee_underflow 0
		.amdhsa_exception_fp_ieee_inexact 0
		.amdhsa_exception_int_div_zero 0
	.end_amdhsa_kernel
	.section	.text._ZN9rocsparseL19gtsv_LBM_rhs_kernelILj256ELj256ELj8EfEEviiiPKT2_S3_S3_PS1_S3_PKi,"axG",@progbits,_ZN9rocsparseL19gtsv_LBM_rhs_kernelILj256ELj256ELj8EfEEviiiPKT2_S3_S3_PS1_S3_PKi,comdat
.Lfunc_end81:
	.size	_ZN9rocsparseL19gtsv_LBM_rhs_kernelILj256ELj256ELj8EfEEviiiPKT2_S3_S3_PS1_S3_PKi, .Lfunc_end81-_ZN9rocsparseL19gtsv_LBM_rhs_kernelILj256ELj256ELj8EfEEviiiPKT2_S3_S3_PS1_S3_PKi
                                        ; -- End function
	.set _ZN9rocsparseL19gtsv_LBM_rhs_kernelILj256ELj256ELj8EfEEviiiPKT2_S3_S3_PS1_S3_PKi.num_vgpr, 64
	.set _ZN9rocsparseL19gtsv_LBM_rhs_kernelILj256ELj256ELj8EfEEviiiPKT2_S3_S3_PS1_S3_PKi.num_agpr, 0
	.set _ZN9rocsparseL19gtsv_LBM_rhs_kernelILj256ELj256ELj8EfEEviiiPKT2_S3_S3_PS1_S3_PKi.numbered_sgpr, 37
	.set _ZN9rocsparseL19gtsv_LBM_rhs_kernelILj256ELj256ELj8EfEEviiiPKT2_S3_S3_PS1_S3_PKi.num_named_barrier, 0
	.set _ZN9rocsparseL19gtsv_LBM_rhs_kernelILj256ELj256ELj8EfEEviiiPKT2_S3_S3_PS1_S3_PKi.private_seg_size, 0
	.set _ZN9rocsparseL19gtsv_LBM_rhs_kernelILj256ELj256ELj8EfEEviiiPKT2_S3_S3_PS1_S3_PKi.uses_vcc, 1
	.set _ZN9rocsparseL19gtsv_LBM_rhs_kernelILj256ELj256ELj8EfEEviiiPKT2_S3_S3_PS1_S3_PKi.uses_flat_scratch, 0
	.set _ZN9rocsparseL19gtsv_LBM_rhs_kernelILj256ELj256ELj8EfEEviiiPKT2_S3_S3_PS1_S3_PKi.has_dyn_sized_stack, 0
	.set _ZN9rocsparseL19gtsv_LBM_rhs_kernelILj256ELj256ELj8EfEEviiiPKT2_S3_S3_PS1_S3_PKi.has_recursion, 0
	.set _ZN9rocsparseL19gtsv_LBM_rhs_kernelILj256ELj256ELj8EfEEviiiPKT2_S3_S3_PS1_S3_PKi.has_indirect_call, 0
	.section	.AMDGPU.csdata,"",@progbits
; Kernel info:
; codeLenInByte = 3892
; TotalNumSgprs: 43
; NumVgprs: 64
; NumAgprs: 0
; TotalNumVgprs: 64
; ScratchSize: 0
; MemoryBound: 0
; FloatMode: 240
; IeeeMode: 1
; LDSByteSize: 0 bytes/workgroup (compile time only)
; SGPRBlocks: 5
; VGPRBlocks: 7
; NumSGPRsForWavesPerEU: 43
; NumVGPRsForWavesPerEU: 64
; AccumOffset: 64
; Occupancy: 8
; WaveLimiterHint : 0
; COMPUTE_PGM_RSRC2:SCRATCH_EN: 0
; COMPUTE_PGM_RSRC2:USER_SGPR: 2
; COMPUTE_PGM_RSRC2:TRAP_HANDLER: 0
; COMPUTE_PGM_RSRC2:TGID_X_EN: 1
; COMPUTE_PGM_RSRC2:TGID_Y_EN: 1
; COMPUTE_PGM_RSRC2:TGID_Z_EN: 0
; COMPUTE_PGM_RSRC2:TIDIG_COMP_CNT: 0
; COMPUTE_PGM_RSRC3_GFX90A:ACCUM_OFFSET: 15
; COMPUTE_PGM_RSRC3_GFX90A:TG_SPLIT: 0
	.section	.text._ZN9rocsparseL19gtsv_LBM_rhs_kernelILj256ELj256ELj4EfEEviiiPKT2_S3_S3_PS1_S3_PKi,"axG",@progbits,_ZN9rocsparseL19gtsv_LBM_rhs_kernelILj256ELj256ELj4EfEEviiiPKT2_S3_S3_PS1_S3_PKi,comdat
	.globl	_ZN9rocsparseL19gtsv_LBM_rhs_kernelILj256ELj256ELj4EfEEviiiPKT2_S3_S3_PS1_S3_PKi ; -- Begin function _ZN9rocsparseL19gtsv_LBM_rhs_kernelILj256ELj256ELj4EfEEviiiPKT2_S3_S3_PS1_S3_PKi
	.p2align	8
	.type	_ZN9rocsparseL19gtsv_LBM_rhs_kernelILj256ELj256ELj4EfEEviiiPKT2_S3_S3_PS1_S3_PKi,@function
_ZN9rocsparseL19gtsv_LBM_rhs_kernelILj256ELj256ELj4EfEEviiiPKT2_S3_S3_PS1_S3_PKi: ; @_ZN9rocsparseL19gtsv_LBM_rhs_kernelILj256ELj256ELj4EfEEviiiPKT2_S3_S3_PS1_S3_PKi
; %bb.0:
	s_load_dword s23, s[0:1], 0x0
	v_lshl_or_b32 v0, s2, 8, v0
	s_waitcnt lgkmcnt(0)
	s_lshr_b32 s22, s23, 8
	v_cmp_gt_i32_e32 vcc, s22, v0
	s_and_saveexec_b64 s[4:5], vcc
	s_cbranch_execz .LBB82_29
; %bb.1:
	s_load_dwordx4 s[8:11], s[0:1], 0x28
	s_load_dwordx2 s[6:7], s[0:1], 0x38
	s_cmp_lt_i32 s23, 1
	v_add_u32_e32 v12, s22, v0
	s_mul_i32 s24, s3, s23
	s_cbranch_scc1 .LBB82_21
; %bb.2:
	s_load_dwordx4 s[12:15], s[0:1], 0x10
	s_load_dwordx2 s[16:17], s[0:1], 0x20
	v_ashrrev_i32_e32 v1, 31, v0
	s_lshl_b32 s28, s24, 2
	s_add_i32 s29, s28, s23
	s_waitcnt lgkmcnt(0)
	v_lshl_add_u64 v[2:3], v[0:1], 2, s[14:15]
	global_load_dword v14, v[2:3], off
	s_add_i32 s30, s29, s23
	s_mul_i32 s25, s22, 0xff
	s_mul_i32 s26, s22, 0xfe
	s_lshl_b32 s27, s22, 1
	v_add_u32_e32 v13, s22, v12
	s_add_i32 s31, s30, s23
	v_mov_b32_e32 v3, 0
	s_mov_b64 s[18:19], 0
	v_mov_b32_e32 v1, 0
	s_branch .LBB82_5
.LBB82_3:                               ;   in Loop: Header=BB82_5 Depth=1
	s_or_b64 exec, exec, s[4:5]
	v_fma_f32 v14, -v14, v20, v16
	v_mov_b32_e32 v2, s22
.LBB82_4:                               ;   in Loop: Header=BB82_5 Depth=1
	s_or_b64 exec, exec, s[2:3]
	v_add_u32_e32 v1, v2, v1
	v_cmp_le_i32_e32 vcc, s23, v1
	s_or_b64 s[18:19], vcc, s[18:19]
	s_andn2_b64 exec, exec, s[18:19]
	s_cbranch_execz .LBB82_20
.LBB82_5:                               ; =>This Inner Loop Header: Depth=1
	v_add_u32_e32 v10, v1, v0
	v_ashrrev_i32_e32 v11, 31, v10
	v_lshl_add_u64 v[4:5], v[10:11], 2, s[16:17]
	global_load_dword v18, v[4:5], off
	v_cmp_gt_u32_e64 s[0:1], s25, v1
	v_mov_b32_e32 v15, 0
	s_and_saveexec_b64 s[2:3], s[0:1]
	s_cbranch_execz .LBB82_7
; %bb.6:                                ;   in Loop: Header=BB82_5 Depth=1
	v_add_u32_e32 v4, v12, v1
	v_ashrrev_i32_e32 v5, 31, v4
	v_lshl_add_u64 v[4:5], v[4:5], 2, s[12:13]
	global_load_dword v15, v[4:5], off
.LBB82_7:                               ;   in Loop: Header=BB82_5 Depth=1
	s_or_b64 exec, exec, s[2:3]
	v_mov_b32_e32 v17, 0
	v_mov_b32_e32 v16, 0
	s_and_saveexec_b64 s[2:3], s[0:1]
	s_cbranch_execz .LBB82_9
; %bb.8:                                ;   in Loop: Header=BB82_5 Depth=1
	v_add_u32_e32 v4, v12, v1
	v_ashrrev_i32_e32 v5, 31, v4
	v_lshl_add_u64 v[4:5], v[4:5], 2, s[14:15]
	global_load_dword v16, v[4:5], off
.LBB82_9:                               ;   in Loop: Header=BB82_5 Depth=1
	s_or_b64 exec, exec, s[2:3]
	s_and_saveexec_b64 s[2:3], s[0:1]
	s_cbranch_execz .LBB82_11
; %bb.10:                               ;   in Loop: Header=BB82_5 Depth=1
	v_add_u32_e32 v4, v12, v1
	v_ashrrev_i32_e32 v5, 31, v4
	v_lshl_add_u64 v[4:5], v[4:5], 2, s[16:17]
	global_load_dword v17, v[4:5], off
.LBB82_11:                              ;   in Loop: Header=BB82_5 Depth=1
	s_or_b64 exec, exec, s[2:3]
	v_cmp_gt_u32_e64 s[2:3], s26, v1
	v_mov_b32_e32 v19, 0
	s_and_saveexec_b64 s[4:5], s[2:3]
	s_cbranch_execz .LBB82_13
; %bb.12:                               ;   in Loop: Header=BB82_5 Depth=1
	v_add_u32_e32 v4, v13, v1
	v_ashrrev_i32_e32 v5, 31, v4
	v_lshl_add_u64 v[4:5], v[4:5], 2, s[12:13]
	global_load_dword v19, v[4:5], off
.LBB82_13:                              ;   in Loop: Header=BB82_5 Depth=1
	s_or_b64 exec, exec, s[4:5]
	v_lshl_add_u64 v[4:5], v[10:11], 2, s[6:7]
	v_add_u32_e32 v2, s28, v10
	global_load_dword v20, v[4:5], off
	v_lshl_add_u64 v[4:5], v[2:3], 2, s[8:9]
	v_add_u32_e32 v2, s29, v10
	v_lshl_add_u64 v[6:7], v[2:3], 2, s[8:9]
	v_add_u32_e32 v2, s30, v10
	;; [unrolled: 2-line block ×3, first 2 shown]
	v_lshl_add_u64 v[10:11], v[2:3], 2, s[8:9]
	global_load_dword v21, v[4:5], off
	global_load_dword v22, v[6:7], off
	;; [unrolled: 1-line block ×4, first 2 shown]
	v_cmp_ne_u32_e64 s[4:5], s25, v1
	s_waitcnt vmcnt(4)
	v_cmp_ne_u32_e32 vcc, 1, v20
	s_and_b64 s[4:5], s[4:5], vcc
	v_mul_f32_e32 v20, v18, v15
	s_and_saveexec_b64 s[20:21], s[4:5]
	s_xor_b64 s[4:5], exec, s[20:21]
	s_cbranch_execz .LBB82_17
; %bb.14:                               ;   in Loop: Header=BB82_5 Depth=1
	v_add_u32_e32 v25, v12, v1
	v_add_u32_e32 v2, s28, v25
	v_lshl_add_u64 v[30:31], v[2:3], 2, s[8:9]
	v_add_u32_e32 v2, s29, v25
	v_lshl_add_u64 v[32:33], v[2:3], 2, s[8:9]
	v_add_u32_e32 v2, s30, v25
	global_load_dword v27, v[30:31], off
	global_load_dword v28, v[32:33], off
	v_lshl_add_u64 v[34:35], v[2:3], 2, s[8:9]
	v_add_u32_e32 v2, s31, v25
	global_load_dword v29, v[34:35], off
	v_lshl_add_u64 v[36:37], v[2:3], 2, s[8:9]
	global_load_dword v2, v[36:37], off
	v_fma_f32 v20, v14, v16, -v20
	v_div_scale_f32 v25, s[20:21], v20, v20, 1.0
	v_rcp_f32_e32 v26, v25
	v_div_scale_f32 v38, vcc, 1.0, v20, 1.0
	v_fma_f32 v39, -v25, v26, 1.0
	v_fmac_f32_e32 v26, v39, v26
	v_mul_f32_e32 v39, v38, v26
	v_fma_f32 v40, -v25, v39, v38
	v_fmac_f32_e32 v39, v40, v26
	v_fma_f32 v25, -v25, v39, v38
	v_div_fmas_f32 v25, v25, v26, v39
	v_div_fixup_f32 v20, v25, v20, 1.0
	s_waitcnt vmcnt(7)
	v_mul_f32_e32 v25, v20, v21
	s_waitcnt vmcnt(6)
	v_mul_f32_e32 v26, v20, v22
	;; [unrolled: 2-line block ×3, first 2 shown]
	v_mul_f32_e32 v23, v15, v25
	s_waitcnt vmcnt(4)
	v_mul_f32_e32 v22, v20, v24
	v_mul_f32_e32 v24, v15, v26
	;; [unrolled: 1-line block ×4, first 2 shown]
	s_waitcnt vmcnt(3)
	v_mul_f32_e32 v27, v20, v27
	s_waitcnt vmcnt(2)
	v_mul_f32_e32 v28, v20, v28
	v_mul_f32_e32 v40, v18, v27
	v_fma_f32 v41, v14, v27, -v23
	s_waitcnt vmcnt(1)
	v_mul_f32_e32 v23, v20, v29
	v_fma_f32 v29, v16, v25, -v40
	v_mul_f32_e32 v40, v18, v28
	v_fma_f32 v42, v14, v28, -v24
	s_waitcnt vmcnt(0)
	v_mul_f32_e32 v24, v20, v2
	global_store_dword v[4:5], v29, off
	v_fma_f32 v2, v16, v26, -v40
	v_mul_f32_e32 v4, v18, v23
	global_store_dword v[6:7], v2, off
	v_fma_f32 v2, v16, v21, -v4
	;; [unrolled: 3-line block ×3, first 2 shown]
	v_fma_f32 v5, v14, v23, -v38
	v_fma_f32 v6, v14, v24, -v39
	global_store_dword v[10:11], v2, off
	global_store_dword v[30:31], v41, off
	;; [unrolled: 1-line block ×5, first 2 shown]
	v_mov_b32_e32 v2, 0
	s_and_saveexec_b64 s[20:21], s[2:3]
	s_cbranch_execz .LBB82_16
; %bb.15:                               ;   in Loop: Header=BB82_5 Depth=1
	v_add_u32_e32 v4, v13, v1
	v_add_u32_e32 v2, s28, v4
	v_lshl_add_u64 v[6:7], v[2:3], 2, s[8:9]
	v_add_u32_e32 v2, s29, v4
	global_load_dword v16, v[6:7], off
	v_lshl_add_u64 v[8:9], v[2:3], 2, s[8:9]
	global_load_dword v18, v[8:9], off
	v_mul_f32_e32 v29, v15, v19
	v_mul_f32_e32 v19, v14, v19
	v_mul_f32_e32 v2, v19, v27
	v_mul_f32_e32 v10, v19, v28
	v_fma_f32 v25, v29, v25, -v2
	v_add_u32_e32 v2, s30, v4
	v_fma_f32 v26, v29, v26, -v10
	v_lshl_add_u64 v[10:11], v[2:3], 2, s[8:9]
	v_add_u32_e32 v2, s31, v4
	v_lshl_add_u64 v[14:15], v[2:3], 2, s[8:9]
	v_ashrrev_i32_e32 v5, 31, v4
	v_lshl_add_u64 v[4:5], v[4:5], 2, s[14:15]
	global_load_dword v4, v[4:5], off
	v_mul_f32_e32 v5, v19, v23
	v_fma_f32 v5, v29, v21, -v5
	s_waitcnt vmcnt(2)
	v_add_f32_e32 v2, v25, v16
	global_store_dword v[6:7], v2, off
	s_waitcnt vmcnt(2)
	v_add_f32_e32 v2, v26, v18
	global_store_dword v[8:9], v2, off
	global_load_dword v6, v[10:11], off
	v_mul_f32_e32 v7, v19, v24
	global_load_dword v2, v[14:15], off
	v_fma_f32 v7, v29, v22, -v7
	v_mul_f32_e32 v8, v17, v19
	s_waitcnt vmcnt(1)
	v_add_f32_e32 v5, v5, v6
	global_store_dword v[10:11], v5, off
	s_waitcnt vmcnt(1)
	v_add_f32_e32 v2, v7, v2
	global_store_dword v[14:15], v2, off
	v_fma_f32 v2, -v20, v8, v4
.LBB82_16:                              ;   in Loop: Header=BB82_5 Depth=1
	s_or_b64 exec, exec, s[20:21]
	v_mov_b32_e32 v14, v2
                                        ; implicit-def: $vgpr15
                                        ; implicit-def: $vgpr16
                                        ; implicit-def: $vgpr20
                                        ; implicit-def: $vgpr4_vgpr5
                                        ; implicit-def: $vgpr21
                                        ; implicit-def: $vgpr6_vgpr7
                                        ; implicit-def: $vgpr22
                                        ; implicit-def: $vgpr8_vgpr9
                                        ; implicit-def: $vgpr23
                                        ; implicit-def: $vgpr10_vgpr11
                                        ; implicit-def: $vgpr24
.LBB82_17:                              ;   in Loop: Header=BB82_5 Depth=1
	s_or_saveexec_b64 s[2:3], s[4:5]
	v_mov_b32_e32 v2, s27
	s_xor_b64 exec, exec, s[2:3]
	s_cbranch_execz .LBB82_4
; %bb.18:                               ;   in Loop: Header=BB82_5 Depth=1
	v_div_scale_f32 v2, s[4:5], v14, v14, 1.0
	v_rcp_f32_e32 v17, v2
	v_div_scale_f32 v18, vcc, 1.0, v14, 1.0
	v_fma_f32 v19, -v2, v17, 1.0
	v_fmac_f32_e32 v17, v19, v17
	v_mul_f32_e32 v19, v18, v17
	v_fma_f32 v25, -v2, v19, v18
	v_fmac_f32_e32 v19, v25, v17
	v_fma_f32 v2, -v2, v19, v18
	v_div_fmas_f32 v2, v2, v17, v19
	v_div_fixup_f32 v14, v2, v14, 1.0
	s_waitcnt vmcnt(3)
	v_mul_f32_e32 v21, v14, v21
	s_waitcnt vmcnt(2)
	v_mul_f32_e32 v19, v14, v22
	;; [unrolled: 2-line block ×4, first 2 shown]
	global_store_dword v[4:5], v21, off
	global_store_dword v[6:7], v19, off
	global_store_dword v[8:9], v18, off
	global_store_dword v[10:11], v17, off
	s_and_saveexec_b64 s[4:5], s[0:1]
	s_cbranch_execz .LBB82_3
; %bb.19:                               ;   in Loop: Header=BB82_5 Depth=1
	v_add_u32_e32 v10, v12, v1
	v_add_u32_e32 v2, s28, v10
	v_lshl_add_u64 v[4:5], v[2:3], 2, s[8:9]
	v_add_u32_e32 v2, s29, v10
	global_load_dword v22, v[4:5], off
	v_lshl_add_u64 v[6:7], v[2:3], 2, s[8:9]
	global_load_dword v23, v[6:7], off
	v_add_u32_e32 v2, s30, v10
	v_lshl_add_u64 v[8:9], v[2:3], 2, s[8:9]
	v_add_u32_e32 v2, s31, v10
	v_lshl_add_u64 v[10:11], v[2:3], 2, s[8:9]
	s_waitcnt vmcnt(1)
	v_fma_f32 v2, -v15, v21, v22
	global_store_dword v[4:5], v2, off
	s_waitcnt vmcnt(1)
	v_fma_f32 v2, -v15, v19, v23
	global_store_dword v[6:7], v2, off
	global_load_dword v4, v[8:9], off
	s_nop 0
	global_load_dword v2, v[10:11], off
	s_waitcnt vmcnt(1)
	v_fma_f32 v4, -v15, v18, v4
	global_store_dword v[8:9], v4, off
	s_waitcnt vmcnt(1)
	v_fma_f32 v2, -v15, v17, v2
	global_store_dword v[10:11], v2, off
	s_branch .LBB82_3
.LBB82_20:
	s_or_b64 exec, exec, s[18:19]
	s_branch .LBB82_22
.LBB82_21:
	v_mov_b32_e32 v1, 0
.LBB82_22:
	v_subrev_u32_e32 v1, s22, v1
	v_add_u32_e32 v2, v1, v0
	v_ashrrev_i32_e32 v3, 31, v2
	s_waitcnt lgkmcnt(0)
	v_lshl_add_u64 v[2:3], v[2:3], 2, s[6:7]
	buffer_wbl2 sc1
	s_waitcnt vmcnt(0)
	buffer_inv sc1
	global_load_dword v2, v[2:3], off
	s_waitcnt vmcnt(0)
	v_mul_lo_u32 v2, v2, s22
	v_sub_u32_e32 v1, v1, v2
	v_cmp_lt_i32_e32 vcc, -1, v1
	s_and_b64 exec, exec, vcc
	s_cbranch_execz .LBB82_29
; %bb.23:
	s_lshl_b32 s4, s24, 2
	s_add_i32 s5, s4, s23
	s_add_i32 s12, s5, s23
	;; [unrolled: 1-line block ×3, first 2 shown]
	s_lshl_b32 s14, s22, 1
	s_mov_b64 s[0:1], 0
	v_mov_b32_e32 v3, 0
	s_branch .LBB82_25
.LBB82_24:                              ;   in Loop: Header=BB82_25 Depth=1
	s_or_b64 exec, exec, s[2:3]
	v_sub_u32_e32 v1, v1, v2
	v_cmp_gt_i32_e32 vcc, 0, v1
	s_or_b64 s[0:1], vcc, s[0:1]
	s_andn2_b64 exec, exec, s[0:1]
	s_cbranch_execz .LBB82_29
.LBB82_25:                              ; =>This Inner Loop Header: Depth=1
	v_add_u32_e32 v4, v1, v0
	s_waitcnt vmcnt(0)
	v_ashrrev_i32_e32 v5, 31, v4
	v_lshlrev_b64 v[6:7], 2, v[4:5]
	v_lshl_add_u64 v[8:9], s[6:7], 0, v[6:7]
	global_load_dword v2, v[8:9], off
	v_lshl_add_u64 v[6:7], s[10:11], 0, v[6:7]
	global_load_dword v5, v[6:7], off
	s_waitcnt vmcnt(1)
	v_cmp_ne_u32_e32 vcc, 1, v2
	s_and_saveexec_b64 s[2:3], vcc
	s_xor_b64 s[2:3], exec, s[2:3]
	s_cbranch_execz .LBB82_27
; %bb.26:                               ;   in Loop: Header=BB82_25 Depth=1
	v_add_u32_e32 v13, v12, v1
	v_add_u32_e32 v2, s4, v13
	v_lshl_add_u64 v[6:7], v[2:3], 2, s[8:9]
	v_add_u32_e32 v2, s5, v13
	v_lshl_add_u64 v[8:9], v[2:3], 2, s[8:9]
	;; [unrolled: 2-line block ×5, first 2 shown]
	global_load_dword v13, v[6:7], off
	global_load_dword v18, v[16:17], off
	;; [unrolled: 1-line block ×5, first 2 shown]
	v_add_u32_e32 v2, s5, v4
	v_lshl_add_u64 v[6:7], v[2:3], 2, s[8:9]
	s_waitcnt vmcnt(3)
	v_fma_f32 v2, -v5, v13, v18
	global_store_dword v[16:17], v2, off
	global_load_dword v10, v[6:7], off
	v_add_u32_e32 v2, s12, v4
	v_lshl_add_u64 v[8:9], v[2:3], 2, s[8:9]
	s_waitcnt vmcnt(0)
	v_fma_f32 v2, -v5, v19, v10
	global_store_dword v[6:7], v2, off
	global_load_dword v10, v[8:9], off
	v_add_u32_e32 v2, s13, v4
	v_lshl_add_u64 v[6:7], v[2:3], 2, s[8:9]
	s_waitcnt vmcnt(0)
	v_fma_f32 v2, -v5, v20, v10
	global_store_dword v[8:9], v2, off
	global_load_dword v4, v[6:7], off
	v_subrev_u32_e32 v2, s22, v1
	v_add_u32_e32 v8, v2, v0
	v_ashrrev_i32_e32 v9, 31, v8
	v_lshl_add_u64 v[10:11], v[8:9], 2, s[10:11]
	v_add_u32_e32 v2, s4, v8
	global_load_dword v9, v[10:11], off
	v_lshl_add_u64 v[10:11], v[2:3], 2, s[8:9]
	s_waitcnt vmcnt(1)
	v_fma_f32 v2, -v5, v21, v4
	global_store_dword v[6:7], v2, off
	global_load_dword v6, v[10:11], off
	v_add_u32_e32 v2, s5, v8
	v_lshl_add_u64 v[4:5], v[2:3], 2, s[8:9]
	s_waitcnt vmcnt(0)
	v_fma_f32 v2, -v9, v13, v6
	global_store_dword v[10:11], v2, off
	global_load_dword v10, v[4:5], off
	v_add_u32_e32 v2, s12, v8
	;; [unrolled: 6-line block ×3, first 2 shown]
	s_waitcnt vmcnt(0)
	v_fma_f32 v4, -v9, v20, v4
	global_store_dword v[6:7], v4, off
	v_lshl_add_u64 v[4:5], v[2:3], 2, s[8:9]
	global_load_dword v2, v[4:5], off
	s_waitcnt vmcnt(0)
	v_fma_f32 v2, -v9, v21, v2
	global_store_dword v[4:5], v2, off
                                        ; implicit-def: $vgpr4
                                        ; implicit-def: $vgpr5
.LBB82_27:                              ;   in Loop: Header=BB82_25 Depth=1
	s_or_saveexec_b64 s[2:3], s[2:3]
	v_mov_b32_e32 v2, s14
	s_xor_b64 exec, exec, s[2:3]
	s_cbranch_execz .LBB82_24
; %bb.28:                               ;   in Loop: Header=BB82_25 Depth=1
	v_add_u32_e32 v13, v12, v1
	v_add_u32_e32 v2, s4, v13
	v_lshl_add_u64 v[6:7], v[2:3], 2, s[8:9]
	v_add_u32_e32 v2, s4, v4
	v_lshl_add_u64 v[8:9], v[2:3], 2, s[8:9]
	global_load_dword v14, v[6:7], off
	global_load_dword v15, v[8:9], off
	v_add_u32_e32 v2, s5, v13
	v_lshl_add_u64 v[6:7], v[2:3], 2, s[8:9]
	v_add_u32_e32 v2, s5, v4
	v_lshl_add_u64 v[10:11], v[2:3], 2, s[8:9]
	s_waitcnt vmcnt(0)
	v_fma_f32 v2, -v5, v14, v15
	global_store_dword v[8:9], v2, off
	global_load_dword v14, v[6:7], off
	global_load_dword v15, v[10:11], off
	v_add_u32_e32 v2, s12, v13
	v_lshl_add_u64 v[6:7], v[2:3], 2, s[8:9]
	v_add_u32_e32 v2, s12, v4
	v_lshl_add_u64 v[8:9], v[2:3], 2, s[8:9]
	s_waitcnt vmcnt(0)
	v_fma_f32 v2, -v5, v14, v15
	global_store_dword v[10:11], v2, off
	;; [unrolled: 9-line block ×3, first 2 shown]
	global_load_dword v2, v[6:7], off
	s_nop 0
	global_load_dword v4, v[10:11], off
	s_waitcnt vmcnt(0)
	v_fma_f32 v2, -v5, v2, v4
	global_store_dword v[10:11], v2, off
	v_mov_b32_e32 v2, s22
	s_branch .LBB82_24
.LBB82_29:
	s_endpgm
	.section	.rodata,"a",@progbits
	.p2align	6, 0x0
	.amdhsa_kernel _ZN9rocsparseL19gtsv_LBM_rhs_kernelILj256ELj256ELj4EfEEviiiPKT2_S3_S3_PS1_S3_PKi
		.amdhsa_group_segment_fixed_size 0
		.amdhsa_private_segment_fixed_size 0
		.amdhsa_kernarg_size 64
		.amdhsa_user_sgpr_count 2
		.amdhsa_user_sgpr_dispatch_ptr 0
		.amdhsa_user_sgpr_queue_ptr 0
		.amdhsa_user_sgpr_kernarg_segment_ptr 1
		.amdhsa_user_sgpr_dispatch_id 0
		.amdhsa_user_sgpr_kernarg_preload_length 0
		.amdhsa_user_sgpr_kernarg_preload_offset 0
		.amdhsa_user_sgpr_private_segment_size 0
		.amdhsa_uses_dynamic_stack 0
		.amdhsa_enable_private_segment 0
		.amdhsa_system_sgpr_workgroup_id_x 1
		.amdhsa_system_sgpr_workgroup_id_y 1
		.amdhsa_system_sgpr_workgroup_id_z 0
		.amdhsa_system_sgpr_workgroup_info 0
		.amdhsa_system_vgpr_workitem_id 0
		.amdhsa_next_free_vgpr 43
		.amdhsa_next_free_sgpr 32
		.amdhsa_accum_offset 44
		.amdhsa_reserve_vcc 1
		.amdhsa_float_round_mode_32 0
		.amdhsa_float_round_mode_16_64 0
		.amdhsa_float_denorm_mode_32 3
		.amdhsa_float_denorm_mode_16_64 3
		.amdhsa_dx10_clamp 1
		.amdhsa_ieee_mode 1
		.amdhsa_fp16_overflow 0
		.amdhsa_tg_split 0
		.amdhsa_exception_fp_ieee_invalid_op 0
		.amdhsa_exception_fp_denorm_src 0
		.amdhsa_exception_fp_ieee_div_zero 0
		.amdhsa_exception_fp_ieee_overflow 0
		.amdhsa_exception_fp_ieee_underflow 0
		.amdhsa_exception_fp_ieee_inexact 0
		.amdhsa_exception_int_div_zero 0
	.end_amdhsa_kernel
	.section	.text._ZN9rocsparseL19gtsv_LBM_rhs_kernelILj256ELj256ELj4EfEEviiiPKT2_S3_S3_PS1_S3_PKi,"axG",@progbits,_ZN9rocsparseL19gtsv_LBM_rhs_kernelILj256ELj256ELj4EfEEviiiPKT2_S3_S3_PS1_S3_PKi,comdat
.Lfunc_end82:
	.size	_ZN9rocsparseL19gtsv_LBM_rhs_kernelILj256ELj256ELj4EfEEviiiPKT2_S3_S3_PS1_S3_PKi, .Lfunc_end82-_ZN9rocsparseL19gtsv_LBM_rhs_kernelILj256ELj256ELj4EfEEviiiPKT2_S3_S3_PS1_S3_PKi
                                        ; -- End function
	.set _ZN9rocsparseL19gtsv_LBM_rhs_kernelILj256ELj256ELj4EfEEviiiPKT2_S3_S3_PS1_S3_PKi.num_vgpr, 43
	.set _ZN9rocsparseL19gtsv_LBM_rhs_kernelILj256ELj256ELj4EfEEviiiPKT2_S3_S3_PS1_S3_PKi.num_agpr, 0
	.set _ZN9rocsparseL19gtsv_LBM_rhs_kernelILj256ELj256ELj4EfEEviiiPKT2_S3_S3_PS1_S3_PKi.numbered_sgpr, 32
	.set _ZN9rocsparseL19gtsv_LBM_rhs_kernelILj256ELj256ELj4EfEEviiiPKT2_S3_S3_PS1_S3_PKi.num_named_barrier, 0
	.set _ZN9rocsparseL19gtsv_LBM_rhs_kernelILj256ELj256ELj4EfEEviiiPKT2_S3_S3_PS1_S3_PKi.private_seg_size, 0
	.set _ZN9rocsparseL19gtsv_LBM_rhs_kernelILj256ELj256ELj4EfEEviiiPKT2_S3_S3_PS1_S3_PKi.uses_vcc, 1
	.set _ZN9rocsparseL19gtsv_LBM_rhs_kernelILj256ELj256ELj4EfEEviiiPKT2_S3_S3_PS1_S3_PKi.uses_flat_scratch, 0
	.set _ZN9rocsparseL19gtsv_LBM_rhs_kernelILj256ELj256ELj4EfEEviiiPKT2_S3_S3_PS1_S3_PKi.has_dyn_sized_stack, 0
	.set _ZN9rocsparseL19gtsv_LBM_rhs_kernelILj256ELj256ELj4EfEEviiiPKT2_S3_S3_PS1_S3_PKi.has_recursion, 0
	.set _ZN9rocsparseL19gtsv_LBM_rhs_kernelILj256ELj256ELj4EfEEviiiPKT2_S3_S3_PS1_S3_PKi.has_indirect_call, 0
	.section	.AMDGPU.csdata,"",@progbits
; Kernel info:
; codeLenInByte = 2440
; TotalNumSgprs: 38
; NumVgprs: 43
; NumAgprs: 0
; TotalNumVgprs: 43
; ScratchSize: 0
; MemoryBound: 0
; FloatMode: 240
; IeeeMode: 1
; LDSByteSize: 0 bytes/workgroup (compile time only)
; SGPRBlocks: 4
; VGPRBlocks: 5
; NumSGPRsForWavesPerEU: 38
; NumVGPRsForWavesPerEU: 43
; AccumOffset: 44
; Occupancy: 8
; WaveLimiterHint : 0
; COMPUTE_PGM_RSRC2:SCRATCH_EN: 0
; COMPUTE_PGM_RSRC2:USER_SGPR: 2
; COMPUTE_PGM_RSRC2:TRAP_HANDLER: 0
; COMPUTE_PGM_RSRC2:TGID_X_EN: 1
; COMPUTE_PGM_RSRC2:TGID_Y_EN: 1
; COMPUTE_PGM_RSRC2:TGID_Z_EN: 0
; COMPUTE_PGM_RSRC2:TIDIG_COMP_CNT: 0
; COMPUTE_PGM_RSRC3_GFX90A:ACCUM_OFFSET: 10
; COMPUTE_PGM_RSRC3_GFX90A:TG_SPLIT: 0
	.section	.text._ZN9rocsparseL19gtsv_LBM_rhs_kernelILj256ELj256ELj2EfEEviiiPKT2_S3_S3_PS1_S3_PKi,"axG",@progbits,_ZN9rocsparseL19gtsv_LBM_rhs_kernelILj256ELj256ELj2EfEEviiiPKT2_S3_S3_PS1_S3_PKi,comdat
	.globl	_ZN9rocsparseL19gtsv_LBM_rhs_kernelILj256ELj256ELj2EfEEviiiPKT2_S3_S3_PS1_S3_PKi ; -- Begin function _ZN9rocsparseL19gtsv_LBM_rhs_kernelILj256ELj256ELj2EfEEviiiPKT2_S3_S3_PS1_S3_PKi
	.p2align	8
	.type	_ZN9rocsparseL19gtsv_LBM_rhs_kernelILj256ELj256ELj2EfEEviiiPKT2_S3_S3_PS1_S3_PKi,@function
_ZN9rocsparseL19gtsv_LBM_rhs_kernelILj256ELj256ELj2EfEEviiiPKT2_S3_S3_PS1_S3_PKi: ; @_ZN9rocsparseL19gtsv_LBM_rhs_kernelILj256ELj256ELj2EfEEviiiPKT2_S3_S3_PS1_S3_PKi
; %bb.0:
	s_load_dword s23, s[0:1], 0x0
	v_lshl_or_b32 v0, s2, 8, v0
	s_waitcnt lgkmcnt(0)
	s_lshr_b32 s22, s23, 8
	v_cmp_gt_i32_e32 vcc, s22, v0
	s_and_saveexec_b64 s[4:5], vcc
	s_cbranch_execz .LBB83_29
; %bb.1:
	s_load_dwordx4 s[8:11], s[0:1], 0x28
	s_load_dwordx2 s[6:7], s[0:1], 0x38
	s_cmp_lt_i32 s23, 1
	v_add_u32_e32 v8, s22, v0
	s_mul_i32 s24, s3, s23
	s_cbranch_scc1 .LBB83_21
; %bb.2:
	s_load_dwordx4 s[12:15], s[0:1], 0x10
	s_load_dwordx2 s[16:17], s[0:1], 0x20
	v_ashrrev_i32_e32 v1, 31, v0
	s_lshl_b32 s28, s24, 1
	s_mul_i32 s25, s22, 0xff
	s_waitcnt lgkmcnt(0)
	v_lshl_add_u64 v[2:3], v[0:1], 2, s[14:15]
	global_load_dword v10, v[2:3], off
	s_mul_i32 s26, s22, 0xfe
	s_lshl_b32 s27, s22, 1
	v_add_u32_e32 v9, s22, v8
	s_add_i32 s29, s28, s23
	v_mov_b32_e32 v3, 0
	s_mov_b64 s[18:19], 0
	v_mov_b32_e32 v1, 0
	s_branch .LBB83_5
.LBB83_3:                               ;   in Loop: Header=BB83_5 Depth=1
	s_or_b64 exec, exec, s[4:5]
	v_fma_f32 v10, -v10, v16, v12
	v_mov_b32_e32 v2, s22
.LBB83_4:                               ;   in Loop: Header=BB83_5 Depth=1
	s_or_b64 exec, exec, s[2:3]
	v_add_u32_e32 v1, v2, v1
	v_cmp_le_i32_e32 vcc, s23, v1
	s_or_b64 s[18:19], vcc, s[18:19]
	s_andn2_b64 exec, exec, s[18:19]
	s_cbranch_execz .LBB83_20
.LBB83_5:                               ; =>This Inner Loop Header: Depth=1
	v_add_u32_e32 v6, v1, v0
	v_ashrrev_i32_e32 v7, 31, v6
	v_lshl_add_u64 v[4:5], v[6:7], 2, s[16:17]
	global_load_dword v14, v[4:5], off
	v_cmp_gt_u32_e64 s[0:1], s25, v1
	v_mov_b32_e32 v11, 0
	s_and_saveexec_b64 s[2:3], s[0:1]
	s_cbranch_execz .LBB83_7
; %bb.6:                                ;   in Loop: Header=BB83_5 Depth=1
	v_add_u32_e32 v4, v8, v1
	v_ashrrev_i32_e32 v5, 31, v4
	v_lshl_add_u64 v[4:5], v[4:5], 2, s[12:13]
	global_load_dword v11, v[4:5], off
.LBB83_7:                               ;   in Loop: Header=BB83_5 Depth=1
	s_or_b64 exec, exec, s[2:3]
	v_mov_b32_e32 v13, 0
	v_mov_b32_e32 v12, 0
	s_and_saveexec_b64 s[2:3], s[0:1]
	s_cbranch_execz .LBB83_9
; %bb.8:                                ;   in Loop: Header=BB83_5 Depth=1
	v_add_u32_e32 v4, v8, v1
	v_ashrrev_i32_e32 v5, 31, v4
	v_lshl_add_u64 v[4:5], v[4:5], 2, s[14:15]
	global_load_dword v12, v[4:5], off
.LBB83_9:                               ;   in Loop: Header=BB83_5 Depth=1
	s_or_b64 exec, exec, s[2:3]
	s_and_saveexec_b64 s[2:3], s[0:1]
	s_cbranch_execz .LBB83_11
; %bb.10:                               ;   in Loop: Header=BB83_5 Depth=1
	v_add_u32_e32 v4, v8, v1
	v_ashrrev_i32_e32 v5, 31, v4
	v_lshl_add_u64 v[4:5], v[4:5], 2, s[16:17]
	global_load_dword v13, v[4:5], off
.LBB83_11:                              ;   in Loop: Header=BB83_5 Depth=1
	s_or_b64 exec, exec, s[2:3]
	v_cmp_gt_u32_e64 s[2:3], s26, v1
	v_mov_b32_e32 v15, 0
	s_and_saveexec_b64 s[4:5], s[2:3]
	s_cbranch_execz .LBB83_13
; %bb.12:                               ;   in Loop: Header=BB83_5 Depth=1
	v_add_u32_e32 v4, v9, v1
	v_ashrrev_i32_e32 v5, 31, v4
	v_lshl_add_u64 v[4:5], v[4:5], 2, s[12:13]
	global_load_dword v15, v[4:5], off
.LBB83_13:                              ;   in Loop: Header=BB83_5 Depth=1
	s_or_b64 exec, exec, s[4:5]
	v_lshl_add_u64 v[4:5], v[6:7], 2, s[6:7]
	global_load_dword v16, v[4:5], off
	v_add_u32_e32 v2, s28, v6
	v_lshl_add_u64 v[4:5], v[2:3], 2, s[8:9]
	v_add_u32_e32 v2, s29, v6
	v_lshl_add_u64 v[6:7], v[2:3], 2, s[8:9]
	global_load_dword v17, v[4:5], off
	global_load_dword v18, v[6:7], off
	v_cmp_ne_u32_e32 vcc, s25, v1
	s_waitcnt vmcnt(2)
	v_cmp_ne_u32_e64 s[4:5], 1, v16
	s_and_b64 s[4:5], vcc, s[4:5]
	v_mul_f32_e32 v16, v14, v11
	s_and_saveexec_b64 s[20:21], s[4:5]
	s_xor_b64 s[4:5], exec, s[20:21]
	s_cbranch_execz .LBB83_17
; %bb.14:                               ;   in Loop: Header=BB83_5 Depth=1
	v_add_u32_e32 v19, v8, v1
	v_add_u32_e32 v2, s28, v19
	v_lshl_add_u64 v[22:23], v[2:3], 2, s[8:9]
	v_add_u32_e32 v2, s29, v19
	v_lshl_add_u64 v[24:25], v[2:3], 2, s[8:9]
	global_load_dword v2, v[22:23], off
	global_load_dword v20, v[24:25], off
	v_fma_f32 v16, v10, v12, -v16
	v_div_scale_f32 v19, s[20:21], v16, v16, 1.0
	v_rcp_f32_e32 v21, v19
	v_div_scale_f32 v26, vcc, 1.0, v16, 1.0
	v_fma_f32 v27, -v19, v21, 1.0
	v_fmac_f32_e32 v21, v27, v21
	v_mul_f32_e32 v27, v26, v21
	v_fma_f32 v28, -v19, v27, v26
	v_fmac_f32_e32 v27, v28, v21
	v_fma_f32 v19, -v19, v27, v26
	v_div_fmas_f32 v19, v19, v21, v27
	v_div_fixup_f32 v16, v19, v16, 1.0
	s_waitcnt vmcnt(3)
	v_mul_f32_e32 v17, v16, v17
	s_waitcnt vmcnt(2)
	v_mul_f32_e32 v18, v16, v18
	v_mul_f32_e32 v21, v11, v17
	;; [unrolled: 1-line block ×3, first 2 shown]
	s_waitcnt vmcnt(1)
	v_mul_f32_e32 v19, v16, v2
	s_waitcnt vmcnt(0)
	v_mul_f32_e32 v20, v16, v20
	v_mul_f32_e32 v2, v14, v19
	v_fma_f32 v2, v12, v17, -v2
	v_mul_f32_e32 v14, v14, v20
	global_store_dword v[4:5], v2, off
	v_fma_f32 v2, v12, v18, -v14
	v_fma_f32 v21, v10, v19, -v21
	v_fma_f32 v26, v10, v20, -v26
	global_store_dword v[6:7], v2, off
	global_store_dword v[22:23], v21, off
	;; [unrolled: 1-line block ×3, first 2 shown]
	v_mov_b32_e32 v2, 0
	s_and_saveexec_b64 s[20:21], s[2:3]
	s_cbranch_execz .LBB83_16
; %bb.15:                               ;   in Loop: Header=BB83_5 Depth=1
	v_add_u32_e32 v4, v9, v1
	v_add_u32_e32 v2, s28, v4
	v_lshl_add_u64 v[6:7], v[2:3], 2, s[8:9]
	v_add_u32_e32 v2, s29, v4
	v_ashrrev_i32_e32 v5, 31, v4
	v_lshl_add_u64 v[22:23], v[2:3], 2, s[8:9]
	global_load_dword v2, v[6:7], off
	global_load_dword v12, v[22:23], off
	v_lshl_add_u64 v[4:5], v[4:5], 2, s[14:15]
	global_load_dword v4, v[4:5], off
	v_mul_f32_e32 v10, v10, v15
	v_mul_f32_e32 v5, v11, v15
	;; [unrolled: 1-line block ×4, first 2 shown]
	v_fma_f32 v11, v5, v17, -v11
	v_fma_f32 v5, v5, v18, -v14
	v_mul_f32_e32 v10, v13, v10
	s_waitcnt vmcnt(2)
	v_add_f32_e32 v2, v11, v2
	global_store_dword v[6:7], v2, off
	s_waitcnt vmcnt(2)
	v_add_f32_e32 v2, v5, v12
	global_store_dword v[22:23], v2, off
	s_waitcnt vmcnt(2)
	v_fma_f32 v2, -v16, v10, v4
.LBB83_16:                              ;   in Loop: Header=BB83_5 Depth=1
	s_or_b64 exec, exec, s[20:21]
	v_mov_b32_e32 v10, v2
                                        ; implicit-def: $vgpr16
                                        ; implicit-def: $vgpr12
                                        ; implicit-def: $vgpr17
                                        ; implicit-def: $vgpr18
                                        ; implicit-def: $vgpr4_vgpr5
                                        ; implicit-def: $vgpr6_vgpr7
                                        ; implicit-def: $vgpr11
.LBB83_17:                              ;   in Loop: Header=BB83_5 Depth=1
	s_or_saveexec_b64 s[2:3], s[4:5]
	v_mov_b32_e32 v2, s27
	s_xor_b64 exec, exec, s[2:3]
	s_cbranch_execz .LBB83_4
; %bb.18:                               ;   in Loop: Header=BB83_5 Depth=1
	v_div_scale_f32 v2, s[4:5], v10, v10, 1.0
	v_rcp_f32_e32 v13, v2
	v_div_scale_f32 v14, vcc, 1.0, v10, 1.0
	v_fma_f32 v15, -v2, v13, 1.0
	v_fmac_f32_e32 v13, v15, v13
	v_mul_f32_e32 v15, v14, v13
	v_fma_f32 v19, -v2, v15, v14
	v_fmac_f32_e32 v15, v19, v13
	v_fma_f32 v2, -v2, v15, v14
	v_div_fmas_f32 v2, v2, v13, v15
	v_div_fixup_f32 v10, v2, v10, 1.0
	s_waitcnt vmcnt(1)
	v_mul_f32_e32 v14, v10, v17
	s_waitcnt vmcnt(0)
	v_mul_f32_e32 v13, v10, v18
	global_store_dword v[4:5], v14, off
	global_store_dword v[6:7], v13, off
	s_and_saveexec_b64 s[4:5], s[0:1]
	s_cbranch_execz .LBB83_3
; %bb.19:                               ;   in Loop: Header=BB83_5 Depth=1
	v_add_u32_e32 v6, v8, v1
	v_add_u32_e32 v2, s28, v6
	v_lshl_add_u64 v[4:5], v[2:3], 2, s[8:9]
	v_add_u32_e32 v2, s29, v6
	v_lshl_add_u64 v[6:7], v[2:3], 2, s[8:9]
	global_load_dword v15, v[4:5], off
	global_load_dword v2, v[6:7], off
	s_waitcnt vmcnt(1)
	v_fma_f32 v14, -v11, v14, v15
	s_waitcnt vmcnt(0)
	v_fma_f32 v2, -v11, v13, v2
	global_store_dword v[4:5], v14, off
	global_store_dword v[6:7], v2, off
	s_branch .LBB83_3
.LBB83_20:
	s_or_b64 exec, exec, s[18:19]
	s_branch .LBB83_22
.LBB83_21:
	v_mov_b32_e32 v1, 0
.LBB83_22:
	v_subrev_u32_e32 v1, s22, v1
	v_add_u32_e32 v2, v1, v0
	v_ashrrev_i32_e32 v3, 31, v2
	s_waitcnt lgkmcnt(0)
	v_lshl_add_u64 v[2:3], v[2:3], 2, s[6:7]
	buffer_wbl2 sc1
	s_waitcnt vmcnt(0)
	buffer_inv sc1
	global_load_dword v2, v[2:3], off
	s_waitcnt vmcnt(0)
	v_mul_lo_u32 v2, v2, s22
	v_sub_u32_e32 v1, v1, v2
	v_cmp_lt_i32_e32 vcc, -1, v1
	s_and_b64 exec, exec, vcc
	s_cbranch_execz .LBB83_29
; %bb.23:
	s_lshl_b32 s4, s24, 1
	s_add_i32 s5, s4, s23
	s_lshl_b32 s12, s22, 1
	s_mov_b64 s[0:1], 0
	v_mov_b32_e32 v3, 0
	s_branch .LBB83_25
.LBB83_24:                              ;   in Loop: Header=BB83_25 Depth=1
	s_or_b64 exec, exec, s[2:3]
	v_sub_u32_e32 v1, v1, v2
	v_cmp_gt_i32_e32 vcc, 0, v1
	s_or_b64 s[0:1], vcc, s[0:1]
	s_andn2_b64 exec, exec, s[0:1]
	s_cbranch_execz .LBB83_29
.LBB83_25:                              ; =>This Inner Loop Header: Depth=1
	v_add_u32_e32 v4, v1, v0
	s_waitcnt vmcnt(0)
	v_ashrrev_i32_e32 v5, 31, v4
	v_lshlrev_b64 v[6:7], 2, v[4:5]
	v_lshl_add_u64 v[10:11], s[6:7], 0, v[6:7]
	global_load_dword v2, v[10:11], off
	v_lshl_add_u64 v[6:7], s[10:11], 0, v[6:7]
	global_load_dword v5, v[6:7], off
	s_waitcnt vmcnt(1)
	v_cmp_ne_u32_e32 vcc, 1, v2
	s_and_saveexec_b64 s[2:3], vcc
	s_xor_b64 s[2:3], exec, s[2:3]
	s_cbranch_execz .LBB83_27
; %bb.26:                               ;   in Loop: Header=BB83_25 Depth=1
	v_add_u32_e32 v9, v8, v1
	v_add_u32_e32 v2, s4, v9
	v_lshl_add_u64 v[6:7], v[2:3], 2, s[8:9]
	v_add_u32_e32 v2, s5, v9
	v_lshl_add_u64 v[10:11], v[2:3], 2, s[8:9]
	;; [unrolled: 2-line block ×3, first 2 shown]
	global_load_dword v9, v[6:7], off
	global_load_dword v14, v[12:13], off
	;; [unrolled: 1-line block ×3, first 2 shown]
	v_add_u32_e32 v2, s5, v4
	v_lshl_add_u64 v[6:7], v[2:3], 2, s[8:9]
	s_waitcnt vmcnt(1)
	v_fma_f32 v2, -v5, v9, v14
	global_store_dword v[12:13], v2, off
	global_load_dword v4, v[6:7], off
	v_subrev_u32_e32 v2, s22, v1
	v_add_u32_e32 v10, v2, v0
	v_ashrrev_i32_e32 v11, 31, v10
	v_lshl_add_u64 v[12:13], v[10:11], 2, s[10:11]
	v_add_u32_e32 v2, s4, v10
	global_load_dword v11, v[12:13], off
	v_lshl_add_u64 v[12:13], v[2:3], 2, s[8:9]
	s_waitcnt vmcnt(1)
	v_fma_f32 v2, -v5, v15, v4
	global_store_dword v[6:7], v2, off
	global_load_dword v4, v[12:13], off
	v_add_u32_e32 v2, s5, v10
	s_waitcnt vmcnt(0)
	v_fma_f32 v4, -v11, v9, v4
	global_store_dword v[12:13], v4, off
	v_lshl_add_u64 v[4:5], v[2:3], 2, s[8:9]
	global_load_dword v2, v[4:5], off
	s_waitcnt vmcnt(0)
	v_fma_f32 v2, -v11, v15, v2
	global_store_dword v[4:5], v2, off
                                        ; implicit-def: $vgpr4
                                        ; implicit-def: $vgpr5
.LBB83_27:                              ;   in Loop: Header=BB83_25 Depth=1
	s_or_saveexec_b64 s[2:3], s[2:3]
	v_mov_b32_e32 v2, s12
	s_xor_b64 exec, exec, s[2:3]
	s_cbranch_execz .LBB83_24
; %bb.28:                               ;   in Loop: Header=BB83_25 Depth=1
	v_add_u32_e32 v9, v8, v1
	v_add_u32_e32 v2, s4, v9
	v_lshl_add_u64 v[6:7], v[2:3], 2, s[8:9]
	v_add_u32_e32 v2, s4, v4
	v_lshl_add_u64 v[10:11], v[2:3], 2, s[8:9]
	global_load_dword v14, v[6:7], off
	global_load_dword v15, v[10:11], off
	v_add_u32_e32 v2, s5, v9
	v_lshl_add_u64 v[6:7], v[2:3], 2, s[8:9]
	v_add_u32_e32 v2, s5, v4
	v_lshl_add_u64 v[12:13], v[2:3], 2, s[8:9]
	s_waitcnt vmcnt(0)
	v_fma_f32 v2, -v5, v14, v15
	global_store_dword v[10:11], v2, off
	global_load_dword v2, v[6:7], off
	s_nop 0
	global_load_dword v4, v[12:13], off
	s_waitcnt vmcnt(0)
	v_fma_f32 v2, -v5, v2, v4
	global_store_dword v[12:13], v2, off
	v_mov_b32_e32 v2, s22
	s_branch .LBB83_24
.LBB83_29:
	s_endpgm
	.section	.rodata,"a",@progbits
	.p2align	6, 0x0
	.amdhsa_kernel _ZN9rocsparseL19gtsv_LBM_rhs_kernelILj256ELj256ELj2EfEEviiiPKT2_S3_S3_PS1_S3_PKi
		.amdhsa_group_segment_fixed_size 0
		.amdhsa_private_segment_fixed_size 0
		.amdhsa_kernarg_size 64
		.amdhsa_user_sgpr_count 2
		.amdhsa_user_sgpr_dispatch_ptr 0
		.amdhsa_user_sgpr_queue_ptr 0
		.amdhsa_user_sgpr_kernarg_segment_ptr 1
		.amdhsa_user_sgpr_dispatch_id 0
		.amdhsa_user_sgpr_kernarg_preload_length 0
		.amdhsa_user_sgpr_kernarg_preload_offset 0
		.amdhsa_user_sgpr_private_segment_size 0
		.amdhsa_uses_dynamic_stack 0
		.amdhsa_enable_private_segment 0
		.amdhsa_system_sgpr_workgroup_id_x 1
		.amdhsa_system_sgpr_workgroup_id_y 1
		.amdhsa_system_sgpr_workgroup_id_z 0
		.amdhsa_system_sgpr_workgroup_info 0
		.amdhsa_system_vgpr_workitem_id 0
		.amdhsa_next_free_vgpr 29
		.amdhsa_next_free_sgpr 30
		.amdhsa_accum_offset 32
		.amdhsa_reserve_vcc 1
		.amdhsa_float_round_mode_32 0
		.amdhsa_float_round_mode_16_64 0
		.amdhsa_float_denorm_mode_32 3
		.amdhsa_float_denorm_mode_16_64 3
		.amdhsa_dx10_clamp 1
		.amdhsa_ieee_mode 1
		.amdhsa_fp16_overflow 0
		.amdhsa_tg_split 0
		.amdhsa_exception_fp_ieee_invalid_op 0
		.amdhsa_exception_fp_denorm_src 0
		.amdhsa_exception_fp_ieee_div_zero 0
		.amdhsa_exception_fp_ieee_overflow 0
		.amdhsa_exception_fp_ieee_underflow 0
		.amdhsa_exception_fp_ieee_inexact 0
		.amdhsa_exception_int_div_zero 0
	.end_amdhsa_kernel
	.section	.text._ZN9rocsparseL19gtsv_LBM_rhs_kernelILj256ELj256ELj2EfEEviiiPKT2_S3_S3_PS1_S3_PKi,"axG",@progbits,_ZN9rocsparseL19gtsv_LBM_rhs_kernelILj256ELj256ELj2EfEEviiiPKT2_S3_S3_PS1_S3_PKi,comdat
.Lfunc_end83:
	.size	_ZN9rocsparseL19gtsv_LBM_rhs_kernelILj256ELj256ELj2EfEEviiiPKT2_S3_S3_PS1_S3_PKi, .Lfunc_end83-_ZN9rocsparseL19gtsv_LBM_rhs_kernelILj256ELj256ELj2EfEEviiiPKT2_S3_S3_PS1_S3_PKi
                                        ; -- End function
	.set _ZN9rocsparseL19gtsv_LBM_rhs_kernelILj256ELj256ELj2EfEEviiiPKT2_S3_S3_PS1_S3_PKi.num_vgpr, 29
	.set _ZN9rocsparseL19gtsv_LBM_rhs_kernelILj256ELj256ELj2EfEEviiiPKT2_S3_S3_PS1_S3_PKi.num_agpr, 0
	.set _ZN9rocsparseL19gtsv_LBM_rhs_kernelILj256ELj256ELj2EfEEviiiPKT2_S3_S3_PS1_S3_PKi.numbered_sgpr, 30
	.set _ZN9rocsparseL19gtsv_LBM_rhs_kernelILj256ELj256ELj2EfEEviiiPKT2_S3_S3_PS1_S3_PKi.num_named_barrier, 0
	.set _ZN9rocsparseL19gtsv_LBM_rhs_kernelILj256ELj256ELj2EfEEviiiPKT2_S3_S3_PS1_S3_PKi.private_seg_size, 0
	.set _ZN9rocsparseL19gtsv_LBM_rhs_kernelILj256ELj256ELj2EfEEviiiPKT2_S3_S3_PS1_S3_PKi.uses_vcc, 1
	.set _ZN9rocsparseL19gtsv_LBM_rhs_kernelILj256ELj256ELj2EfEEviiiPKT2_S3_S3_PS1_S3_PKi.uses_flat_scratch, 0
	.set _ZN9rocsparseL19gtsv_LBM_rhs_kernelILj256ELj256ELj2EfEEviiiPKT2_S3_S3_PS1_S3_PKi.has_dyn_sized_stack, 0
	.set _ZN9rocsparseL19gtsv_LBM_rhs_kernelILj256ELj256ELj2EfEEviiiPKT2_S3_S3_PS1_S3_PKi.has_recursion, 0
	.set _ZN9rocsparseL19gtsv_LBM_rhs_kernelILj256ELj256ELj2EfEEviiiPKT2_S3_S3_PS1_S3_PKi.has_indirect_call, 0
	.section	.AMDGPU.csdata,"",@progbits
; Kernel info:
; codeLenInByte = 1704
; TotalNumSgprs: 36
; NumVgprs: 29
; NumAgprs: 0
; TotalNumVgprs: 29
; ScratchSize: 0
; MemoryBound: 0
; FloatMode: 240
; IeeeMode: 1
; LDSByteSize: 0 bytes/workgroup (compile time only)
; SGPRBlocks: 4
; VGPRBlocks: 3
; NumSGPRsForWavesPerEU: 36
; NumVGPRsForWavesPerEU: 29
; AccumOffset: 32
; Occupancy: 8
; WaveLimiterHint : 0
; COMPUTE_PGM_RSRC2:SCRATCH_EN: 0
; COMPUTE_PGM_RSRC2:USER_SGPR: 2
; COMPUTE_PGM_RSRC2:TRAP_HANDLER: 0
; COMPUTE_PGM_RSRC2:TGID_X_EN: 1
; COMPUTE_PGM_RSRC2:TGID_Y_EN: 1
; COMPUTE_PGM_RSRC2:TGID_Z_EN: 0
; COMPUTE_PGM_RSRC2:TIDIG_COMP_CNT: 0
; COMPUTE_PGM_RSRC3_GFX90A:ACCUM_OFFSET: 7
; COMPUTE_PGM_RSRC3_GFX90A:TG_SPLIT: 0
	.section	.text._ZN9rocsparseL19gtsv_LBM_rhs_kernelILj256ELj256ELj1EfEEviiiPKT2_S3_S3_PS1_S3_PKi,"axG",@progbits,_ZN9rocsparseL19gtsv_LBM_rhs_kernelILj256ELj256ELj1EfEEviiiPKT2_S3_S3_PS1_S3_PKi,comdat
	.globl	_ZN9rocsparseL19gtsv_LBM_rhs_kernelILj256ELj256ELj1EfEEviiiPKT2_S3_S3_PS1_S3_PKi ; -- Begin function _ZN9rocsparseL19gtsv_LBM_rhs_kernelILj256ELj256ELj1EfEEviiiPKT2_S3_S3_PS1_S3_PKi
	.p2align	8
	.type	_ZN9rocsparseL19gtsv_LBM_rhs_kernelILj256ELj256ELj1EfEEviiiPKT2_S3_S3_PS1_S3_PKi,@function
_ZN9rocsparseL19gtsv_LBM_rhs_kernelILj256ELj256ELj1EfEEviiiPKT2_S3_S3_PS1_S3_PKi: ; @_ZN9rocsparseL19gtsv_LBM_rhs_kernelILj256ELj256ELj1EfEEviiiPKT2_S3_S3_PS1_S3_PKi
; %bb.0:
	s_load_dword s24, s[0:1], 0x0
	v_lshl_or_b32 v0, s2, 8, v0
	s_waitcnt lgkmcnt(0)
	s_lshr_b32 s22, s24, 8
	v_cmp_gt_i32_e32 vcc, s22, v0
	s_and_saveexec_b64 s[4:5], vcc
	s_cbranch_execz .LBB84_29
; %bb.1:
	s_load_dwordx4 s[8:11], s[0:1], 0x28
	s_load_dwordx2 s[6:7], s[0:1], 0x38
	s_cmp_lt_i32 s24, 1
	s_mul_i32 s23, s24, s3
	s_cbranch_scc1 .LBB84_21
; %bb.2:
	s_load_dwordx4 s[12:15], s[0:1], 0x10
	s_load_dwordx2 s[16:17], s[0:1], 0x20
	v_ashrrev_i32_e32 v1, 31, v0
	v_add_u32_e32 v13, s22, v0
	s_mul_i32 s25, s22, 0xff
	s_waitcnt lgkmcnt(0)
	v_lshl_add_u64 v[2:3], v[0:1], 2, s[14:15]
	global_load_dword v5, v[2:3], off
	s_mul_i32 s26, s22, 0xfe
	s_lshl_b32 s27, s22, 1
	v_add_u32_e32 v14, s22, v13
	v_add_u32_e32 v15, s23, v13
	v_mov_b32_e32 v3, 0
	s_mov_b64 s[18:19], 0
	v_mov_b32_e32 v1, 0
	s_branch .LBB84_5
.LBB84_3:                               ;   in Loop: Header=BB84_5 Depth=1
	s_or_b64 exec, exec, s[4:5]
	v_fma_f32 v5, -v5, v7, v16
	v_mov_b32_e32 v2, s22
.LBB84_4:                               ;   in Loop: Header=BB84_5 Depth=1
	s_or_b64 exec, exec, s[2:3]
	v_add_u32_e32 v1, v2, v1
	v_cmp_le_i32_e32 vcc, s24, v1
	s_or_b64 s[18:19], vcc, s[18:19]
	s_andn2_b64 exec, exec, s[18:19]
	s_cbranch_execz .LBB84_20
.LBB84_5:                               ; =>This Inner Loop Header: Depth=1
	v_add_u32_e32 v8, v1, v0
	v_ashrrev_i32_e32 v9, 31, v8
	v_lshl_add_u64 v[6:7], v[8:9], 2, s[16:17]
	global_load_dword v18, v[6:7], off
	v_cmp_gt_u32_e64 s[0:1], s25, v1
	v_add_u32_e32 v6, v13, v1
	v_mov_b32_e32 v4, 0
	s_and_saveexec_b64 s[2:3], s[0:1]
	s_cbranch_execz .LBB84_7
; %bb.6:                                ;   in Loop: Header=BB84_5 Depth=1
	v_ashrrev_i32_e32 v7, 31, v6
	s_waitcnt vmcnt(1)
	v_lshl_add_u64 v[10:11], v[6:7], 2, s[12:13]
	global_load_dword v4, v[10:11], off
.LBB84_7:                               ;   in Loop: Header=BB84_5 Depth=1
	s_or_b64 exec, exec, s[2:3]
	v_mov_b32_e32 v17, 0
	v_mov_b32_e32 v16, 0
	s_and_saveexec_b64 s[2:3], s[0:1]
	s_cbranch_execz .LBB84_9
; %bb.8:                                ;   in Loop: Header=BB84_5 Depth=1
	v_ashrrev_i32_e32 v7, 31, v6
	s_waitcnt vmcnt(1)
	v_lshl_add_u64 v[10:11], v[6:7], 2, s[14:15]
	global_load_dword v16, v[10:11], off
.LBB84_9:                               ;   in Loop: Header=BB84_5 Depth=1
	s_or_b64 exec, exec, s[2:3]
	s_and_saveexec_b64 s[2:3], s[0:1]
	s_cbranch_execz .LBB84_11
; %bb.10:                               ;   in Loop: Header=BB84_5 Depth=1
	v_ashrrev_i32_e32 v7, 31, v6
	v_lshl_add_u64 v[6:7], v[6:7], 2, s[16:17]
	global_load_dword v17, v[6:7], off
.LBB84_11:                              ;   in Loop: Header=BB84_5 Depth=1
	s_or_b64 exec, exec, s[2:3]
	v_cmp_gt_u32_e64 s[2:3], s26, v1
	v_mov_b32_e32 v6, 0
	s_and_saveexec_b64 s[4:5], s[2:3]
	s_cbranch_execz .LBB84_13
; %bb.12:                               ;   in Loop: Header=BB84_5 Depth=1
	v_add_u32_e32 v6, v14, v1
	v_ashrrev_i32_e32 v7, 31, v6
	v_lshl_add_u64 v[6:7], v[6:7], 2, s[12:13]
	global_load_dword v6, v[6:7], off
.LBB84_13:                              ;   in Loop: Header=BB84_5 Depth=1
	s_or_b64 exec, exec, s[4:5]
	s_waitcnt vmcnt(1)
	v_lshl_add_u64 v[10:11], v[8:9], 2, s[6:7]
	global_load_dword v7, v[10:11], off
	v_add_u32_e32 v2, s23, v8
	v_lshl_add_u64 v[8:9], v[2:3], 2, s[8:9]
	global_load_dword v10, v[8:9], off
	v_cmp_ne_u32_e32 vcc, s25, v1
	s_waitcnt vmcnt(1)
	v_cmp_ne_u32_e64 s[4:5], 1, v7
	s_and_b64 s[4:5], vcc, s[4:5]
	v_mul_f32_e32 v7, v18, v4
	s_and_saveexec_b64 s[20:21], s[4:5]
	s_xor_b64 s[4:5], exec, s[20:21]
	s_cbranch_execz .LBB84_17
; %bb.14:                               ;   in Loop: Header=BB84_5 Depth=1
	v_add_u32_e32 v2, v15, v1
	v_lshl_add_u64 v[20:21], v[2:3], 2, s[8:9]
	global_load_dword v11, v[20:21], off
	v_fma_f32 v2, v5, v16, -v7
	v_div_scale_f32 v7, s[20:21], v2, v2, 1.0
	v_rcp_f32_e32 v12, v7
	v_div_scale_f32 v19, vcc, 1.0, v2, 1.0
	v_fma_f32 v22, -v7, v12, 1.0
	v_fmac_f32_e32 v12, v22, v12
	v_mul_f32_e32 v22, v19, v12
	v_fma_f32 v23, -v7, v22, v19
	v_fmac_f32_e32 v22, v23, v12
	v_fma_f32 v7, -v7, v22, v19
	v_div_fmas_f32 v7, v7, v12, v22
	v_div_fixup_f32 v12, v7, v2, 1.0
	s_waitcnt vmcnt(0)
	v_pk_mul_f32 v[10:11], v[12:13], v[10:11] op_sel_hi:[0,1]
	v_mul_f32_e32 v2, v18, v11
	v_mul_f32_e32 v7, v4, v10
	v_fma_f32 v2, v16, v10, -v2
	v_fma_f32 v7, v5, v11, -v7
	global_store_dword v[8:9], v2, off
	global_store_dword v[20:21], v7, off
	v_mov_b32_e32 v2, 0
	s_and_saveexec_b64 s[20:21], s[2:3]
	s_cbranch_execz .LBB84_16
; %bb.15:                               ;   in Loop: Header=BB84_5 Depth=1
	v_add_u32_e32 v8, v14, v1
	v_add_u32_e32 v2, s23, v8
	v_lshl_add_u64 v[18:19], v[2:3], 2, s[8:9]
	v_ashrrev_i32_e32 v9, 31, v8
	global_load_dword v2, v[18:19], off
	v_lshl_add_u64 v[8:9], v[8:9], 2, s[14:15]
	global_load_dword v8, v[8:9], off
	v_pk_mul_f32 v[4:5], v[4:5], v[6:7] op_sel_hi:[1,0]
	s_nop 0
	v_pk_mul_f32 v[6:7], v[4:5], v[10:11]
	v_mul_f32_e32 v4, v17, v5
	v_sub_f32_e32 v5, v6, v7
	s_waitcnt vmcnt(1)
	v_add_f32_e32 v2, v5, v2
	global_store_dword v[18:19], v2, off
	s_waitcnt vmcnt(1)
	v_fma_f32 v2, -v12, v4, v8
.LBB84_16:                              ;   in Loop: Header=BB84_5 Depth=1
	s_or_b64 exec, exec, s[20:21]
	v_mov_b32_e32 v5, v2
                                        ; implicit-def: $vgpr7
                                        ; implicit-def: $vgpr16
                                        ; implicit-def: $vgpr10
                                        ; implicit-def: $vgpr8_vgpr9
.LBB84_17:                              ;   in Loop: Header=BB84_5 Depth=1
	s_or_saveexec_b64 s[2:3], s[4:5]
	v_mov_b32_e32 v2, s27
	s_xor_b64 exec, exec, s[2:3]
	s_cbranch_execz .LBB84_4
; %bb.18:                               ;   in Loop: Header=BB84_5 Depth=1
	v_div_scale_f32 v2, s[4:5], v5, v5, 1.0
	v_rcp_f32_e32 v6, v2
	v_div_scale_f32 v11, vcc, 1.0, v5, 1.0
	v_fma_f32 v12, -v2, v6, 1.0
	v_fmac_f32_e32 v6, v12, v6
	v_mul_f32_e32 v12, v11, v6
	v_fma_f32 v17, -v2, v12, v11
	v_fmac_f32_e32 v12, v17, v6
	v_fma_f32 v2, -v2, v12, v11
	v_div_fmas_f32 v2, v2, v6, v12
	v_div_fixup_f32 v5, v2, v5, 1.0
	s_waitcnt vmcnt(0)
	v_mul_f32_e32 v6, v5, v10
	global_store_dword v[8:9], v6, off
	s_and_saveexec_b64 s[4:5], s[0:1]
	s_cbranch_execz .LBB84_3
; %bb.19:                               ;   in Loop: Header=BB84_5 Depth=1
	v_add_u32_e32 v2, v15, v1
	v_lshl_add_u64 v[8:9], v[2:3], 2, s[8:9]
	global_load_dword v2, v[8:9], off
	s_waitcnt vmcnt(0)
	v_fma_f32 v2, -v4, v6, v2
	global_store_dword v[8:9], v2, off
	s_branch .LBB84_3
.LBB84_20:
	s_or_b64 exec, exec, s[18:19]
	s_branch .LBB84_22
.LBB84_21:
	v_mov_b32_e32 v1, 0
.LBB84_22:
	v_subrev_u32_e32 v1, s22, v1
	v_add_u32_e32 v2, v1, v0
	v_ashrrev_i32_e32 v3, 31, v2
	s_waitcnt lgkmcnt(0)
	v_lshl_add_u64 v[2:3], v[2:3], 2, s[6:7]
	buffer_wbl2 sc1
	s_waitcnt vmcnt(0)
	buffer_inv sc1
	global_load_dword v2, v[2:3], off
	s_waitcnt vmcnt(0)
	v_mul_lo_u32 v2, v2, s22
	v_sub_u32_e32 v1, v1, v2
	v_cmp_lt_i32_e32 vcc, -1, v1
	s_and_b64 exec, exec, vcc
	s_cbranch_execz .LBB84_29
; %bb.23:
	s_add_i32 s0, s23, s22
	v_add_u32_e32 v6, s0, v0
	s_lshl_b32 s4, s22, 1
	s_mov_b64 s[0:1], 0
	v_mov_b32_e32 v3, 0
	s_branch .LBB84_25
.LBB84_24:                              ;   in Loop: Header=BB84_25 Depth=1
	s_or_b64 exec, exec, s[2:3]
	v_sub_u32_e32 v1, v1, v2
	v_cmp_gt_i32_e32 vcc, 0, v1
	s_or_b64 s[0:1], vcc, s[0:1]
	s_andn2_b64 exec, exec, s[0:1]
	s_cbranch_execz .LBB84_29
.LBB84_25:                              ; =>This Inner Loop Header: Depth=1
	v_add_u32_e32 v4, v1, v0
	s_waitcnt vmcnt(0)
	v_ashrrev_i32_e32 v5, 31, v4
	v_lshlrev_b64 v[8:9], 2, v[4:5]
	v_lshl_add_u64 v[10:11], s[6:7], 0, v[8:9]
	global_load_dword v2, v[10:11], off
	v_lshl_add_u64 v[8:9], s[10:11], 0, v[8:9]
	global_load_dword v5, v[8:9], off
	s_waitcnt vmcnt(1)
	v_cmp_ne_u32_e32 vcc, 1, v2
	s_and_saveexec_b64 s[2:3], vcc
	s_xor_b64 s[2:3], exec, s[2:3]
	s_cbranch_execz .LBB84_27
; %bb.26:                               ;   in Loop: Header=BB84_25 Depth=1
	v_add_u32_e32 v2, v6, v1
	v_lshl_add_u64 v[8:9], v[2:3], 2, s[8:9]
	v_add_u32_e32 v2, s23, v4
	v_lshl_add_u64 v[10:11], v[2:3], 2, s[8:9]
	global_load_dword v7, v[8:9], off
	global_load_dword v4, v[10:11], off
	v_subrev_u32_e32 v2, s22, v1
	v_add_u32_e32 v8, v2, v0
	v_ashrrev_i32_e32 v9, 31, v8
	v_add_u32_e32 v2, s23, v8
	v_lshl_add_u64 v[8:9], v[8:9], 2, s[10:11]
	global_load_dword v8, v[8:9], off
	s_waitcnt vmcnt(1)
	v_fma_f32 v4, -v5, v7, v4
	global_store_dword v[10:11], v4, off
	v_lshl_add_u64 v[4:5], v[2:3], 2, s[8:9]
	global_load_dword v2, v[4:5], off
	s_waitcnt vmcnt(0)
	v_fma_f32 v2, -v8, v7, v2
	global_store_dword v[4:5], v2, off
                                        ; implicit-def: $vgpr4
                                        ; implicit-def: $vgpr5
.LBB84_27:                              ;   in Loop: Header=BB84_25 Depth=1
	s_or_saveexec_b64 s[2:3], s[2:3]
	v_mov_b32_e32 v2, s4
	s_xor_b64 exec, exec, s[2:3]
	s_cbranch_execz .LBB84_24
; %bb.28:                               ;   in Loop: Header=BB84_25 Depth=1
	v_add_u32_e32 v2, v6, v1
	v_lshl_add_u64 v[8:9], v[2:3], 2, s[8:9]
	v_add_u32_e32 v2, s23, v4
	v_lshl_add_u64 v[10:11], v[2:3], 2, s[8:9]
	global_load_dword v2, v[8:9], off
	global_load_dword v4, v[10:11], off
	s_waitcnt vmcnt(0)
	v_fma_f32 v2, -v5, v2, v4
	global_store_dword v[10:11], v2, off
	v_mov_b32_e32 v2, s22
	s_branch .LBB84_24
.LBB84_29:
	s_endpgm
	.section	.rodata,"a",@progbits
	.p2align	6, 0x0
	.amdhsa_kernel _ZN9rocsparseL19gtsv_LBM_rhs_kernelILj256ELj256ELj1EfEEviiiPKT2_S3_S3_PS1_S3_PKi
		.amdhsa_group_segment_fixed_size 0
		.amdhsa_private_segment_fixed_size 0
		.amdhsa_kernarg_size 64
		.amdhsa_user_sgpr_count 2
		.amdhsa_user_sgpr_dispatch_ptr 0
		.amdhsa_user_sgpr_queue_ptr 0
		.amdhsa_user_sgpr_kernarg_segment_ptr 1
		.amdhsa_user_sgpr_dispatch_id 0
		.amdhsa_user_sgpr_kernarg_preload_length 0
		.amdhsa_user_sgpr_kernarg_preload_offset 0
		.amdhsa_user_sgpr_private_segment_size 0
		.amdhsa_uses_dynamic_stack 0
		.amdhsa_enable_private_segment 0
		.amdhsa_system_sgpr_workgroup_id_x 1
		.amdhsa_system_sgpr_workgroup_id_y 1
		.amdhsa_system_sgpr_workgroup_id_z 0
		.amdhsa_system_sgpr_workgroup_info 0
		.amdhsa_system_vgpr_workitem_id 0
		.amdhsa_next_free_vgpr 24
		.amdhsa_next_free_sgpr 28
		.amdhsa_accum_offset 24
		.amdhsa_reserve_vcc 1
		.amdhsa_float_round_mode_32 0
		.amdhsa_float_round_mode_16_64 0
		.amdhsa_float_denorm_mode_32 3
		.amdhsa_float_denorm_mode_16_64 3
		.amdhsa_dx10_clamp 1
		.amdhsa_ieee_mode 1
		.amdhsa_fp16_overflow 0
		.amdhsa_tg_split 0
		.amdhsa_exception_fp_ieee_invalid_op 0
		.amdhsa_exception_fp_denorm_src 0
		.amdhsa_exception_fp_ieee_div_zero 0
		.amdhsa_exception_fp_ieee_overflow 0
		.amdhsa_exception_fp_ieee_underflow 0
		.amdhsa_exception_fp_ieee_inexact 0
		.amdhsa_exception_int_div_zero 0
	.end_amdhsa_kernel
	.section	.text._ZN9rocsparseL19gtsv_LBM_rhs_kernelILj256ELj256ELj1EfEEviiiPKT2_S3_S3_PS1_S3_PKi,"axG",@progbits,_ZN9rocsparseL19gtsv_LBM_rhs_kernelILj256ELj256ELj1EfEEviiiPKT2_S3_S3_PS1_S3_PKi,comdat
.Lfunc_end84:
	.size	_ZN9rocsparseL19gtsv_LBM_rhs_kernelILj256ELj256ELj1EfEEviiiPKT2_S3_S3_PS1_S3_PKi, .Lfunc_end84-_ZN9rocsparseL19gtsv_LBM_rhs_kernelILj256ELj256ELj1EfEEviiiPKT2_S3_S3_PS1_S3_PKi
                                        ; -- End function
	.set _ZN9rocsparseL19gtsv_LBM_rhs_kernelILj256ELj256ELj1EfEEviiiPKT2_S3_S3_PS1_S3_PKi.num_vgpr, 24
	.set _ZN9rocsparseL19gtsv_LBM_rhs_kernelILj256ELj256ELj1EfEEviiiPKT2_S3_S3_PS1_S3_PKi.num_agpr, 0
	.set _ZN9rocsparseL19gtsv_LBM_rhs_kernelILj256ELj256ELj1EfEEviiiPKT2_S3_S3_PS1_S3_PKi.numbered_sgpr, 28
	.set _ZN9rocsparseL19gtsv_LBM_rhs_kernelILj256ELj256ELj1EfEEviiiPKT2_S3_S3_PS1_S3_PKi.num_named_barrier, 0
	.set _ZN9rocsparseL19gtsv_LBM_rhs_kernelILj256ELj256ELj1EfEEviiiPKT2_S3_S3_PS1_S3_PKi.private_seg_size, 0
	.set _ZN9rocsparseL19gtsv_LBM_rhs_kernelILj256ELj256ELj1EfEEviiiPKT2_S3_S3_PS1_S3_PKi.uses_vcc, 1
	.set _ZN9rocsparseL19gtsv_LBM_rhs_kernelILj256ELj256ELj1EfEEviiiPKT2_S3_S3_PS1_S3_PKi.uses_flat_scratch, 0
	.set _ZN9rocsparseL19gtsv_LBM_rhs_kernelILj256ELj256ELj1EfEEviiiPKT2_S3_S3_PS1_S3_PKi.has_dyn_sized_stack, 0
	.set _ZN9rocsparseL19gtsv_LBM_rhs_kernelILj256ELj256ELj1EfEEviiiPKT2_S3_S3_PS1_S3_PKi.has_recursion, 0
	.set _ZN9rocsparseL19gtsv_LBM_rhs_kernelILj256ELj256ELj1EfEEviiiPKT2_S3_S3_PS1_S3_PKi.has_indirect_call, 0
	.section	.AMDGPU.csdata,"",@progbits
; Kernel info:
; codeLenInByte = 1324
; TotalNumSgprs: 34
; NumVgprs: 24
; NumAgprs: 0
; TotalNumVgprs: 24
; ScratchSize: 0
; MemoryBound: 0
; FloatMode: 240
; IeeeMode: 1
; LDSByteSize: 0 bytes/workgroup (compile time only)
; SGPRBlocks: 4
; VGPRBlocks: 2
; NumSGPRsForWavesPerEU: 34
; NumVGPRsForWavesPerEU: 24
; AccumOffset: 24
; Occupancy: 8
; WaveLimiterHint : 0
; COMPUTE_PGM_RSRC2:SCRATCH_EN: 0
; COMPUTE_PGM_RSRC2:USER_SGPR: 2
; COMPUTE_PGM_RSRC2:TRAP_HANDLER: 0
; COMPUTE_PGM_RSRC2:TGID_X_EN: 1
; COMPUTE_PGM_RSRC2:TGID_Y_EN: 1
; COMPUTE_PGM_RSRC2:TGID_Z_EN: 0
; COMPUTE_PGM_RSRC2:TIDIG_COMP_CNT: 0
; COMPUTE_PGM_RSRC3_GFX90A:ACCUM_OFFSET: 5
; COMPUTE_PGM_RSRC3_GFX90A:TG_SPLIT: 0
	.section	.text._ZN9rocsparseL29gtsv_spike_block_level_kernelILj256ELj256EfEEviiiPT1_PKS1_S4_S2_S2_S2_S2_S2_,"axG",@progbits,_ZN9rocsparseL29gtsv_spike_block_level_kernelILj256ELj256EfEEviiiPT1_PKS1_S4_S2_S2_S2_S2_S2_,comdat
	.globl	_ZN9rocsparseL29gtsv_spike_block_level_kernelILj256ELj256EfEEviiiPT1_PKS1_S4_S2_S2_S2_S2_S2_ ; -- Begin function _ZN9rocsparseL29gtsv_spike_block_level_kernelILj256ELj256EfEEviiiPT1_PKS1_S4_S2_S2_S2_S2_S2_
	.p2align	8
	.type	_ZN9rocsparseL29gtsv_spike_block_level_kernelILj256ELj256EfEEviiiPT1_PKS1_S4_S2_S2_S2_S2_S2_,@function
_ZN9rocsparseL29gtsv_spike_block_level_kernelILj256ELj256EfEEviiiPT1_PKS1_S4_S2_S2_S2_S2_S2_: ; @_ZN9rocsparseL29gtsv_spike_block_level_kernelILj256ELj256EfEEviiiPT1_PKS1_S4_S2_S2_S2_S2_S2_
; %bb.0:
	s_load_dword s14, s[0:1], 0x0
	s_load_dwordx2 s[8:9], s[0:1], 0x18
	v_lshl_or_b32 v2, s2, 8, v0
	v_mov_b32_e32 v4, 0
	v_mov_b32_e32 v3, 0
	s_waitcnt lgkmcnt(0)
	s_lshr_b32 s19, s14, 8
	v_cmp_gt_i32_e64 s[4:5], s19, v2
	s_and_saveexec_b64 s[6:7], s[4:5]
	s_cbranch_execz .LBB85_2
; %bb.1:
	v_ashrrev_i32_e32 v3, 31, v2
	v_lshl_add_u64 v[6:7], v[2:3], 2, s[8:9]
	global_load_dword v3, v[6:7], off
.LBB85_2:
	s_or_b64 exec, exec, s[6:7]
	s_load_dwordx2 s[6:7], s[0:1], 0x20
	v_lshlrev_b32_e32 v1, 2, v0
	v_or_b32_e32 v6, 0x800, v1
	s_mul_i32 s18, s19, 0xff
	s_waitcnt vmcnt(0)
	ds_write_b32 v1, v3 offset:2048
	s_and_saveexec_b64 s[10:11], s[4:5]
	s_cbranch_execz .LBB85_4
; %bb.3:
	s_mul_i32 s12, s19, 0xff
	v_add_u32_e32 v4, s12, v2
	v_mov_b32_e32 v5, 0
	v_lshl_add_u64 v[4:5], v[4:5], 2, s[8:9]
	global_load_dword v4, v[4:5], off
.LBB85_4:
	s_or_b64 exec, exec, s[10:11]
	s_waitcnt vmcnt(0)
	ds_write_b32 v6, v4 offset:1024
	v_mov_b32_e32 v4, 0
	v_mov_b32_e32 v3, 0
	s_and_saveexec_b64 s[8:9], s[4:5]
	s_cbranch_execz .LBB85_6
; %bb.5:
	v_ashrrev_i32_e32 v3, 31, v2
	s_waitcnt lgkmcnt(0)
	v_lshl_add_u64 v[8:9], v[2:3], 2, s[6:7]
	global_load_dword v3, v[8:9], off
.LBB85_6:
	s_or_b64 exec, exec, s[8:9]
	s_load_dwordx2 s[12:13], s[0:1], 0x10
	s_waitcnt vmcnt(0)
	ds_write_b32 v1, v3
	s_and_saveexec_b64 s[8:9], s[4:5]
	s_cbranch_execz .LBB85_8
; %bb.7:
	s_mul_i32 s10, s19, 0xff
	v_add_u32_e32 v4, s10, v2
	v_mov_b32_e32 v5, 0
	s_waitcnt lgkmcnt(0)
	v_lshl_add_u64 v[4:5], v[4:5], 2, s[6:7]
	global_load_dword v4, v[4:5], off
.LBB85_8:
	s_or_b64 exec, exec, s[8:9]
	s_mul_i32 s14, s14, s3
	s_waitcnt vmcnt(0)
	ds_write_b32 v1, v4 offset:1024
	v_mov_b32_e32 v3, 0
	v_add_u32_e32 v4, s14, v2
	v_mov_b32_e32 v7, 0
	s_waitcnt lgkmcnt(0)
	s_and_saveexec_b64 s[6:7], s[4:5]
	s_cbranch_execz .LBB85_10
; %bb.9:
	v_ashrrev_i32_e32 v5, 31, v4
	v_lshl_add_u64 v[8:9], v[4:5], 2, s[12:13]
	global_load_dword v7, v[8:9], off
.LBB85_10:
	s_or_b64 exec, exec, s[6:7]
	v_or_b32_e32 v5, 0x1000, v1
	s_waitcnt vmcnt(0)
	ds_write_b32 v1, v7 offset:4096
	s_and_saveexec_b64 s[6:7], s[4:5]
	s_cbranch_execz .LBB85_12
; %bb.11:
	s_mul_i32 s8, s19, 0xff
	s_add_i32 s8, s8, s14
	v_add_u32_e32 v8, s8, v2
	v_mov_b32_e32 v9, 0
	v_lshl_add_u64 v[8:9], v[8:9], 2, s[12:13]
	global_load_dword v3, v[8:9], off
.LBB85_12:
	s_or_b64 exec, exec, s[6:7]
	s_movk_i32 s6, 0x80
	v_cmp_gt_u32_e32 vcc, s6, v0
	s_waitcnt vmcnt(0)
	ds_write_b32 v5, v3 offset:1024
	s_waitcnt lgkmcnt(0)
	s_barrier
	s_and_saveexec_b64 s[6:7], vcc
	s_cbranch_execz .LBB85_14
; %bb.13:
	v_add_u32_e32 v3, v6, v1
	v_add_u32_e32 v7, v1, v1
	ds_read2st64_b64 v[8:11], v3 offset1:2
	ds_read2st64_b64 v[12:15], v7 offset1:2
	v_add_u32_e32 v22, v5, v1
	ds_read2st64_b64 v[16:19], v22 offset1:2
	s_waitcnt lgkmcnt(1)
	v_fma_f32 v20, -v9, v14, 1.0
	v_div_scale_f32 v21, s[8:9], v20, v20, 1.0
	v_rcp_f32_e32 v23, v21
	v_div_scale_f32 v24, vcc, 1.0, v20, 1.0
	v_fma_f32 v25, -v21, v23, 1.0
	v_fmac_f32_e32 v23, v25, v23
	v_mul_f32_e32 v25, v24, v23
	v_fma_f32 v26, -v21, v25, v24
	v_fmac_f32_e32 v25, v26, v23
	v_fma_f32 v21, -v21, v25, v24
	v_div_fmas_f32 v21, v21, v23, v25
	v_div_fixup_f32 v23, v21, v20, 1.0
	s_waitcnt lgkmcnt(0)
	v_fma_f32 v20, -v14, v17, v18
	v_fma_f32 v17, -v9, v18, v17
	v_mul_f32_e32 v14, v14, v13
	v_mul_f32_e32 v9, v9, v10
	;; [unrolled: 1-line block ×4, first 2 shown]
	v_mul_f32_e64 v14, v14, -v23
	v_mul_f32_e32 v13, v23, v13
	v_mul_f32_e64 v9, v9, -v23
	v_mul_f32_e32 v10, v23, v10
	v_fma_f32 v16, -v17, v12, v16
	v_fma_f32 v21, -v11, v20, v19
	;; [unrolled: 1-line block ×3, first 2 shown]
	v_mul_f32_e64 v12, v13, -v12
	v_fma_f32 v15, -v14, v11, v15
	v_mul_f32_e64 v11, v10, -v11
	ds_write2st64_b64 v22, v[16:17], v[20:21] offset1:2
	ds_write2st64_b64 v7, v[12:13], v[14:15] offset1:2
	ds_write2st64_b64 v3, v[8:9], v[10:11] offset1:2
.LBB85_14:
	s_or_b64 exec, exec, s[6:7]
	v_cmp_gt_u32_e32 vcc, 64, v0
	s_waitcnt lgkmcnt(0)
	s_barrier
	s_and_saveexec_b64 s[6:7], vcc
	s_cbranch_execz .LBB85_16
; %bb.15:
	v_lshlrev_b32_e32 v3, 4, v0
	v_add_u32_e32 v7, 0x800, v3
	v_add_u32_e32 v20, 0x400, v3
	ds_read2_b32 v[8:9], v7 offset1:2
	ds_read2_b32 v[10:11], v20 offset0:1 offset1:3
	v_mad_u32_u24 v21, v0, 12, v5
	v_add_u32_e32 v22, 0x400, v21
	v_add_u32_e32 v25, 0xc00, v3
	s_waitcnt lgkmcnt(0)
	v_fma_f32 v16, -v9, v10, 1.0
	v_div_scale_f32 v17, s[8:9], v16, v16, 1.0
	v_rcp_f32_e32 v18, v17
	v_div_scale_f32 v19, vcc, 1.0, v16, 1.0
	v_fma_f32 v12, -v17, v18, 1.0
	v_fmac_f32_e32 v18, v12, v18
	v_mul_f32_e32 v23, v19, v18
	v_fma_f32 v12, -v17, v23, v19
	v_fmac_f32_e32 v23, v12, v18
	ds_read2_b32 v[12:13], v22 offset0:1 offset1:3
	ds_read2_b32 v[14:15], v21 offset1:2
	v_fma_f32 v17, -v17, v23, v19
	v_div_fmas_f32 v17, v17, v18, v23
	v_div_fixup_f32 v23, v17, v16, 1.0
	ds_read2_b32 v[18:19], v25 offset0:1 offset1:3
	s_waitcnt lgkmcnt(1)
	v_fma_f32 v16, -v10, v15, v12
	v_mul_f32_e32 v24, v23, v16
	ds_read2_b32 v[16:17], v3 offset1:2
	v_fma_f32 v12, -v9, v12, v15
	v_mul_f32_e32 v12, v12, v23
	s_waitcnt lgkmcnt(1)
	v_mul_f32_e32 v9, v9, v18
	v_mul_f32_e64 v9, v9, -v23
	s_waitcnt lgkmcnt(0)
	v_fma_f32 v14, -v12, v16, v14
	ds_write2_b32 v21, v14, v12 offset1:2
	v_fma_f32 v12, -v19, v24, v13
	ds_write2_b32 v22, v24, v12 offset0:1 offset1:3
	v_mul_f32_e32 v10, v10, v17
	v_mul_f32_e32 v12, v23, v17
	v_fma_f32 v8, -v9, v16, v8
	v_mul_f32_e64 v10, v10, -v23
	ds_write2_b32 v7, v8, v9 offset1:2
	v_mul_f32_e64 v7, v12, -v16
	v_mul_f32_e32 v13, v23, v18
	ds_write2_b32 v3, v7, v12 offset1:2
	v_fma_f32 v3, -v10, v19, v11
	ds_write2_b32 v20, v10, v3 offset0:1 offset1:3
	v_mul_f32_e64 v3, v13, -v19
	ds_write2_b32 v25, v13, v3 offset0:1 offset1:3
.LBB85_16:
	s_or_b64 exec, exec, s[6:7]
	v_cmp_gt_u32_e32 vcc, 32, v0
	s_waitcnt lgkmcnt(0)
	s_barrier
	s_and_saveexec_b64 s[6:7], vcc
	s_cbranch_execz .LBB85_18
; %bb.17:
	v_lshlrev_b32_e32 v3, 5, v0
	v_add_u32_e32 v7, 0x800, v3
	v_add_u32_e32 v20, 0x400, v3
	ds_read2_b32 v[8:9], v7 offset1:4
	ds_read2_b32 v[10:11], v20 offset0:3 offset1:7
	v_add_u32_e32 v21, 0x1400, v3
	v_add_u32_e32 v23, 0x1000, v3
	ds_read2_b32 v[12:13], v21 offset0:3 offset1:7
	v_add_u32_e32 v25, 0xc00, v3
	s_waitcnt lgkmcnt(1)
	v_fma_f32 v16, -v9, v10, 1.0
	v_div_scale_f32 v17, s[8:9], v16, v16, 1.0
	v_rcp_f32_e32 v18, v17
	v_div_scale_f32 v19, vcc, 1.0, v16, 1.0
	v_fma_f32 v14, -v17, v18, 1.0
	v_fmac_f32_e32 v18, v14, v18
	v_mul_f32_e32 v22, v19, v18
	v_fma_f32 v14, -v17, v22, v19
	v_fmac_f32_e32 v22, v14, v18
	ds_read2_b32 v[14:15], v23 offset1:4
	v_fma_f32 v17, -v17, v22, v19
	v_div_fmas_f32 v17, v17, v18, v22
	v_div_fixup_f32 v22, v17, v16, 1.0
	ds_read2_b32 v[18:19], v25 offset0:3 offset1:7
	s_waitcnt lgkmcnt(1)
	v_fma_f32 v16, -v10, v15, v12
	v_mul_f32_e32 v24, v22, v16
	ds_read2_b32 v[16:17], v3 offset1:4
	v_fma_f32 v12, -v9, v12, v15
	v_mul_f32_e32 v12, v12, v22
	s_waitcnt lgkmcnt(1)
	v_mul_f32_e32 v9, v9, v18
	v_mul_f32_e64 v9, v9, -v22
	s_waitcnt lgkmcnt(0)
	v_fma_f32 v14, -v12, v16, v14
	ds_write2_b32 v23, v14, v12 offset1:4
	v_fma_f32 v12, -v19, v24, v13
	ds_write2_b32 v21, v24, v12 offset0:3 offset1:7
	v_mul_f32_e32 v10, v10, v17
	v_mul_f32_e32 v12, v22, v17
	v_fma_f32 v8, -v9, v16, v8
	v_mul_f32_e64 v10, v10, -v22
	ds_write2_b32 v7, v8, v9 offset1:4
	v_mul_f32_e64 v7, v12, -v16
	v_mul_f32_e32 v13, v22, v18
	ds_write2_b32 v3, v7, v12 offset1:4
	v_fma_f32 v3, -v10, v19, v11
	ds_write2_b32 v20, v10, v3 offset0:3 offset1:7
	v_mul_f32_e64 v3, v13, -v19
	ds_write2_b32 v25, v13, v3 offset0:3 offset1:7
.LBB85_18:
	s_or_b64 exec, exec, s[6:7]
	v_cmp_gt_u32_e32 vcc, 16, v0
	s_waitcnt lgkmcnt(0)
	s_barrier
	s_and_saveexec_b64 s[6:7], vcc
	s_cbranch_execz .LBB85_20
; %bb.19:
	v_lshlrev_b32_e32 v3, 6, v0
	v_add_u32_e32 v7, 0x800, v3
	v_add_u32_e32 v20, 0x400, v3
	ds_read2_b32 v[8:9], v7 offset1:8
	ds_read2_b32 v[10:11], v20 offset0:7 offset1:15
	v_add_u32_e32 v21, 0x1400, v3
	v_add_u32_e32 v23, 0x1000, v3
	ds_read2_b32 v[12:13], v21 offset0:7 offset1:15
	v_add_u32_e32 v25, 0xc00, v3
	s_waitcnt lgkmcnt(1)
	v_fma_f32 v16, -v9, v10, 1.0
	v_div_scale_f32 v17, s[8:9], v16, v16, 1.0
	v_rcp_f32_e32 v18, v17
	v_div_scale_f32 v19, vcc, 1.0, v16, 1.0
	v_fma_f32 v14, -v17, v18, 1.0
	v_fmac_f32_e32 v18, v14, v18
	v_mul_f32_e32 v22, v19, v18
	v_fma_f32 v14, -v17, v22, v19
	v_fmac_f32_e32 v22, v14, v18
	ds_read2_b32 v[14:15], v23 offset1:8
	v_fma_f32 v17, -v17, v22, v19
	v_div_fmas_f32 v17, v17, v18, v22
	v_div_fixup_f32 v22, v17, v16, 1.0
	ds_read2_b32 v[18:19], v25 offset0:7 offset1:15
	s_waitcnt lgkmcnt(1)
	v_fma_f32 v16, -v10, v15, v12
	v_mul_f32_e32 v24, v22, v16
	ds_read2_b32 v[16:17], v3 offset1:8
	v_fma_f32 v12, -v9, v12, v15
	v_mul_f32_e32 v12, v12, v22
	s_waitcnt lgkmcnt(1)
	v_mul_f32_e32 v9, v9, v18
	v_mul_f32_e64 v9, v9, -v22
	s_waitcnt lgkmcnt(0)
	v_fma_f32 v14, -v12, v16, v14
	ds_write2_b32 v23, v14, v12 offset1:8
	v_fma_f32 v12, -v19, v24, v13
	ds_write2_b32 v21, v24, v12 offset0:7 offset1:15
	v_mul_f32_e32 v10, v10, v17
	v_mul_f32_e32 v12, v22, v17
	v_fma_f32 v8, -v9, v16, v8
	v_mul_f32_e64 v10, v10, -v22
	ds_write2_b32 v7, v8, v9 offset1:8
	v_mul_f32_e64 v7, v12, -v16
	v_mul_f32_e32 v13, v22, v18
	ds_write2_b32 v3, v7, v12 offset1:8
	v_fma_f32 v3, -v10, v19, v11
	ds_write2_b32 v20, v10, v3 offset0:7 offset1:15
	v_mul_f32_e64 v3, v13, -v19
	ds_write2_b32 v25, v13, v3 offset0:7 offset1:15
.LBB85_20:
	s_or_b64 exec, exec, s[6:7]
	v_cmp_gt_u32_e32 vcc, 8, v0
	s_waitcnt lgkmcnt(0)
	s_barrier
	s_and_saveexec_b64 s[6:7], vcc
	s_cbranch_execz .LBB85_22
; %bb.21:
	v_lshlrev_b32_e32 v3, 7, v0
	v_add_u32_e32 v7, 0x800, v3
	v_add_u32_e32 v20, 0x400, v3
	ds_read2_b32 v[8:9], v7 offset1:16
	ds_read2_b32 v[10:11], v20 offset0:15 offset1:31
	v_add_u32_e32 v21, 0x1400, v3
	v_add_u32_e32 v23, 0x1000, v3
	ds_read2_b32 v[12:13], v21 offset0:15 offset1:31
	v_add_u32_e32 v25, 0xc00, v3
	s_waitcnt lgkmcnt(1)
	v_fma_f32 v16, -v9, v10, 1.0
	v_div_scale_f32 v17, s[8:9], v16, v16, 1.0
	v_rcp_f32_e32 v18, v17
	v_div_scale_f32 v19, vcc, 1.0, v16, 1.0
	v_fma_f32 v14, -v17, v18, 1.0
	v_fmac_f32_e32 v18, v14, v18
	v_mul_f32_e32 v22, v19, v18
	v_fma_f32 v14, -v17, v22, v19
	v_fmac_f32_e32 v22, v14, v18
	ds_read2_b32 v[14:15], v23 offset1:16
	v_fma_f32 v17, -v17, v22, v19
	v_div_fmas_f32 v17, v17, v18, v22
	v_div_fixup_f32 v22, v17, v16, 1.0
	ds_read2_b32 v[18:19], v25 offset0:15 offset1:31
	s_waitcnt lgkmcnt(1)
	v_fma_f32 v16, -v10, v15, v12
	v_mul_f32_e32 v24, v22, v16
	ds_read2_b32 v[16:17], v3 offset1:16
	v_fma_f32 v12, -v9, v12, v15
	v_mul_f32_e32 v12, v12, v22
	s_waitcnt lgkmcnt(1)
	v_mul_f32_e32 v9, v9, v18
	v_mul_f32_e64 v9, v9, -v22
	s_waitcnt lgkmcnt(0)
	v_fma_f32 v14, -v12, v16, v14
	ds_write2_b32 v23, v14, v12 offset1:16
	v_fma_f32 v12, -v19, v24, v13
	ds_write2_b32 v21, v24, v12 offset0:15 offset1:31
	v_mul_f32_e32 v10, v10, v17
	v_mul_f32_e32 v12, v22, v17
	v_fma_f32 v8, -v9, v16, v8
	v_mul_f32_e64 v10, v10, -v22
	ds_write2_b32 v7, v8, v9 offset1:16
	v_mul_f32_e64 v7, v12, -v16
	v_mul_f32_e32 v13, v22, v18
	ds_write2_b32 v3, v7, v12 offset1:16
	v_fma_f32 v3, -v10, v19, v11
	ds_write2_b32 v20, v10, v3 offset0:15 offset1:31
	v_mul_f32_e64 v3, v13, -v19
	ds_write2_b32 v25, v13, v3 offset0:15 offset1:31
.LBB85_22:
	s_or_b64 exec, exec, s[6:7]
	v_cmp_gt_u32_e32 vcc, 4, v0
	s_waitcnt lgkmcnt(0)
	s_barrier
	s_and_saveexec_b64 s[6:7], vcc
	s_cbranch_execz .LBB85_24
; %bb.23:
	v_lshlrev_b32_e32 v3, 8, v0
	v_add_u32_e32 v7, 0x800, v3
	v_add_u32_e32 v20, 0x400, v3
	ds_read2_b32 v[8:9], v7 offset1:32
	ds_read2_b32 v[10:11], v20 offset0:31 offset1:63
	v_add_u32_e32 v21, 0x1400, v3
	v_add_u32_e32 v23, 0x1000, v3
	ds_read2_b32 v[12:13], v21 offset0:31 offset1:63
	v_add_u32_e32 v25, 0xc00, v3
	s_waitcnt lgkmcnt(1)
	v_fma_f32 v16, -v9, v10, 1.0
	v_div_scale_f32 v17, s[8:9], v16, v16, 1.0
	v_rcp_f32_e32 v18, v17
	v_div_scale_f32 v19, vcc, 1.0, v16, 1.0
	v_fma_f32 v14, -v17, v18, 1.0
	v_fmac_f32_e32 v18, v14, v18
	v_mul_f32_e32 v22, v19, v18
	v_fma_f32 v14, -v17, v22, v19
	v_fmac_f32_e32 v22, v14, v18
	ds_read2_b32 v[14:15], v23 offset1:32
	v_fma_f32 v17, -v17, v22, v19
	v_div_fmas_f32 v17, v17, v18, v22
	v_div_fixup_f32 v22, v17, v16, 1.0
	ds_read2_b32 v[18:19], v25 offset0:31 offset1:63
	s_waitcnt lgkmcnt(1)
	v_fma_f32 v16, -v10, v15, v12
	v_mul_f32_e32 v24, v22, v16
	ds_read2_b32 v[16:17], v3 offset1:32
	v_fma_f32 v12, -v9, v12, v15
	v_mul_f32_e32 v12, v12, v22
	s_waitcnt lgkmcnt(1)
	v_mul_f32_e32 v9, v9, v18
	v_mul_f32_e64 v9, v9, -v22
	s_waitcnt lgkmcnt(0)
	v_fma_f32 v14, -v12, v16, v14
	ds_write2_b32 v23, v14, v12 offset1:32
	v_fma_f32 v12, -v19, v24, v13
	ds_write2_b32 v21, v24, v12 offset0:31 offset1:63
	v_mul_f32_e32 v10, v10, v17
	v_mul_f32_e32 v12, v22, v17
	v_fma_f32 v8, -v9, v16, v8
	v_mul_f32_e64 v10, v10, -v22
	ds_write2_b32 v7, v8, v9 offset1:32
	v_mul_f32_e64 v7, v12, -v16
	v_mul_f32_e32 v13, v22, v18
	ds_write2_b32 v3, v7, v12 offset1:32
	v_fma_f32 v3, -v10, v19, v11
	ds_write2_b32 v20, v10, v3 offset0:31 offset1:63
	v_mul_f32_e64 v3, v13, -v19
	ds_write2_b32 v25, v13, v3 offset0:31 offset1:63
.LBB85_24:
	s_or_b64 exec, exec, s[6:7]
	v_cmp_gt_u32_e32 vcc, 2, v0
	s_waitcnt lgkmcnt(0)
	s_barrier
	s_and_saveexec_b64 s[6:7], vcc
	s_cbranch_execz .LBB85_26
; %bb.25:
	v_lshlrev_b32_e32 v3, 9, v0
	v_add_u32_e32 v7, 0xfc, v3
	ds_read2st64_b32 v[8:9], v7 offset0:4 offset1:5
	ds_read2st64_b32 v[10:11], v3 offset0:8 offset1:9
	ds_read2st64_b32 v[12:13], v3 offset0:16 offset1:17
	ds_read2st64_b32 v[14:15], v3 offset1:1
	ds_read2st64_b32 v[16:17], v7 offset0:12 offset1:13
	ds_read2st64_b32 v[18:19], v7 offset0:20 offset1:21
	s_waitcnt lgkmcnt(4)
	v_fma_f32 v20, -v11, v8, 1.0
	v_div_scale_f32 v21, s[8:9], v20, v20, 1.0
	v_rcp_f32_e32 v22, v21
	s_nop 0
	v_fma_f32 v23, -v21, v22, 1.0
	v_fmac_f32_e32 v22, v23, v22
	v_div_scale_f32 v23, vcc, 1.0, v20, 1.0
	v_mul_f32_e32 v24, v23, v22
	v_fma_f32 v25, -v21, v24, v23
	v_fmac_f32_e32 v24, v25, v22
	v_fma_f32 v21, -v21, v24, v23
	v_div_fmas_f32 v21, v21, v22, v24
	v_div_fixup_f32 v20, v21, v20, 1.0
	s_waitcnt lgkmcnt(0)
	v_fma_f32 v21, -v8, v13, v18
	v_fma_f32 v13, -v11, v18, v13
	v_mul_f32_e32 v13, v13, v20
	v_mul_f32_e32 v21, v20, v21
	v_fma_f32 v12, -v13, v14, v12
	v_mul_f32_e32 v11, v11, v16
	ds_write2st64_b32 v3, v12, v13 offset0:16 offset1:17
	v_fma_f32 v12, -v17, v21, v19
	v_mul_f32_e64 v11, v11, -v20
	ds_write2st64_b32 v7, v21, v12 offset0:20 offset1:21
	v_mul_f32_e32 v8, v8, v15
	v_mul_f32_e32 v12, v20, v15
	v_fma_f32 v10, -v11, v14, v10
	v_mul_f32_e64 v8, v8, -v20
	ds_write2st64_b32 v3, v10, v11 offset0:8 offset1:9
	v_mul_f32_e64 v10, v12, -v14
	v_mul_f32_e32 v13, v20, v16
	ds_write2st64_b32 v3, v10, v12 offset1:1
	v_fma_f32 v3, -v8, v17, v9
	ds_write2st64_b32 v7, v8, v3 offset0:4 offset1:5
	v_mul_f32_e64 v3, v13, -v17
	ds_write2st64_b32 v7, v13, v3 offset0:12 offset1:13
.LBB85_26:
	s_or_b64 exec, exec, s[6:7]
	v_cmp_eq_u32_e64 s[6:7], 0, v0
	s_waitcnt lgkmcnt(0)
	s_barrier
	s_and_saveexec_b64 s[8:9], s[6:7]
	s_cbranch_execz .LBB85_28
; %bb.27:
	s_movk_i32 s10, 0xa00
	v_add_u32_e64 v3, s10, 0
	v_mov_b32_e32 v0, 0
	ds_read2_b32 v[8:9], v3 offset1:255
	ds_read_b32 v7, v0 offset:1532
	v_mov_b32_e32 v18, 0x7fc
	ds_read2_b32 v[10:11], v18 offset1:1
	ds_read_b32 v19, v0 offset:6140
	v_mov_b32_e32 v21, 0xffc
	ds_read2_b32 v[12:13], v21 offset1:1
	s_waitcnt lgkmcnt(3)
	v_fma_f32 v16, -v8, v7, 1.0
	v_div_scale_f32 v17, s[10:11], v16, v16, 1.0
	v_rcp_f32_e32 v20, v17
	v_div_scale_f32 v22, vcc, 1.0, v16, 1.0
	s_movk_i32 s10, 0x1200
	v_fma_f32 v14, -v17, v20, 1.0
	v_fmac_f32_e32 v20, v14, v20
	v_mul_f32_e32 v23, v22, v20
	v_fma_f32 v14, -v17, v23, v22
	v_fmac_f32_e32 v23, v14, v20
	v_add_u32_e64 v24, s10, 0
	ds_read2_b32 v[14:15], v24 offset1:255
	v_fma_f32 v17, -v17, v23, v22
	v_div_fmas_f32 v17, v17, v20, v23
	v_div_fixup_f32 v20, v17, v16, 1.0
	ds_read2st64_b32 v[16:17], v0 offset1:2
	s_waitcnt lgkmcnt(1)
	v_fma_f32 v22, -v7, v14, v15
	v_fma_f32 v14, -v8, v15, v14
	v_mul_f32_e32 v22, v20, v22
	v_mul_f32_e32 v14, v14, v20
	ds_write2_b32 v24, v14, v22 offset1:255
	s_waitcnt lgkmcnt(1)
	v_fma_f32 v13, -v14, v16, v13
	v_fma_f32 v14, -v12, v22, v19
	v_mul_f32_e32 v8, v8, v9
	ds_write_b32 v0, v14 offset:6140
	v_mul_f32_e32 v7, v7, v17
	v_mul_f32_e32 v14, v20, v17
	v_mul_f32_e64 v8, v8, -v20
	v_mul_f32_e32 v9, v20, v9
	v_mul_f32_e64 v7, v7, -v20
	ds_write2_b32 v3, v8, v9 offset1:255
	v_fma_f32 v3, -v8, v16, v11
	v_mul_f32_e64 v8, v14, -v16
	ds_write_b32 v0, v7 offset:1532
	ds_write2st64_b32 v0, v8, v14 offset1:2
	v_fma_f32 v0, -v7, v12, v10
	ds_write2_b32 v18, v0, v3 offset1:1
	v_mul_f32_e64 v0, v9, -v12
	ds_write2_b32 v21, v0, v13 offset1:1
.LBB85_28:
	s_or_b64 exec, exec, s[8:9]
	s_load_dwordx2 s[14:15], s[0:1], 0x48
	s_load_dwordx4 s[8:11], s[0:1], 0x38
	s_waitcnt lgkmcnt(0)
	s_barrier
	s_and_saveexec_b64 s[16:17], s[4:5]
	s_cbranch_execnz .LBB85_31
; %bb.29:
	s_or_b64 exec, exec, s[16:17]
	s_and_saveexec_b64 s[4:5], s[6:7]
	s_cbranch_execnz .LBB85_35
.LBB85_30:
	s_endpgm
.LBB85_31:
	s_cmp_eq_u32 s3, 0
	s_cbranch_scc1 .LBB85_39
; %bb.32:
	s_mulk_i32 s19, 0xff
	s_cbranch_execnz .LBB85_34
.LBB85_33:
	s_load_dwordx4 s[20:23], s[0:1], 0x28
	ds_read2st64_b32 v[6:7], v6 offset1:4
	ds_read2st64_b32 v[0:1], v1 offset1:4
	v_ashrrev_i32_e32 v3, 31, v2
	v_add_u32_e32 v8, s18, v2
	v_lshlrev_b64 v[2:3], 2, v[2:3]
	v_mov_b32_e32 v9, 0
	s_waitcnt lgkmcnt(0)
	v_lshl_add_u64 v[10:11], s[20:21], 0, v[2:3]
	v_lshlrev_b64 v[8:9], 2, v[8:9]
	v_lshl_add_u64 v[2:3], s[22:23], 0, v[2:3]
	global_store_dword v[10:11], v6, off
	v_lshl_add_u64 v[10:11], s[20:21], 0, v[8:9]
	global_store_dword v[2:3], v0, off
	v_lshl_add_u64 v[2:3], s[22:23], 0, v[8:9]
	s_mov_b32 s19, s18
	global_store_dword v[10:11], v7, off
	global_store_dword v[2:3], v1, off
.LBB85_34:
	ds_read2st64_b32 v[0:1], v5 offset1:4
	v_ashrrev_i32_e32 v5, 31, v4
	v_add_u32_e32 v2, s19, v4
	v_mov_b32_e32 v3, 0
	v_lshl_add_u64 v[4:5], v[4:5], 2, s[12:13]
	v_lshl_add_u64 v[2:3], v[2:3], 2, s[12:13]
	s_waitcnt lgkmcnt(0)
	global_store_dword v[4:5], v0, off
	global_store_dword v[2:3], v1, off
	s_or_b64 exec, exec, s[16:17]
	s_and_saveexec_b64 s[4:5], s[6:7]
	s_cbranch_execz .LBB85_30
.LBB85_35:
	s_cmp_eq_u32 s3, 0
	s_cbranch_scc1 .LBB85_40
; %bb.36:
	s_load_dword s6, s[0:1], 0x50
	s_cbranch_execnz .LBB85_38
.LBB85_37:
	s_waitcnt lgkmcnt(0)
	s_load_dword s6, s[0:1], 0x50
	v_mov_b32_e32 v0, 0x7fc
	ds_read2_b32 v[0:1], v0 offset1:1
	s_mov_b32 s4, s3
	s_ashr_i32 s3, s2, 31
	s_lshl_b64 s[12:13], s[2:3], 2
	s_mov_b32 s3, s4
	s_add_u32 s4, s10, s12
	v_mov_b32_e32 v2, 0
	s_addc_u32 s5, s11, s13
	ds_read_b32 v3, v2 offset:4092
	ds_read_b32 v4, v2
	s_waitcnt lgkmcnt(0)
	s_add_i32 s0, s6, s2
	s_mov_b32 s1, 0
	s_lshl_b64 s[0:1], s[0:1], 2
	global_store_dword v2, v1, s[4:5]
	s_add_u32 s4, s10, s0
	s_addc_u32 s5, s11, s1
	global_store_dword v2, v3, s[4:5]
	s_add_u32 s4, s14, s12
	s_addc_u32 s5, s15, s13
	s_add_u32 s0, s14, s0
	s_addc_u32 s1, s15, s1
	global_store_dword v2, v4, s[4:5]
	global_store_dword v2, v0, s[0:1]
.LBB85_38:
	s_waitcnt lgkmcnt(0)
	s_mul_i32 s0, s6, s3
	s_lshl_b32 s0, s0, 1
	s_add_i32 s0, s0, s2
	s_mov_b32 s1, 0
	v_mov_b32_e32 v0, 0
	s_lshl_b64 s[2:3], s[0:1], 2
	ds_read_b32 v1, v0 offset:4096
	ds_read_b32 v2, v0 offset:6140
	s_add_u32 s2, s8, s2
	s_addc_u32 s3, s9, s3
	s_add_i32 s0, s0, s6
	s_lshl_b64 s[0:1], s[0:1], 2
	s_add_u32 s0, s8, s0
	s_addc_u32 s1, s9, s1
	s_waitcnt lgkmcnt(1)
	global_store_dword v0, v1, s[2:3]
	s_waitcnt lgkmcnt(0)
	global_store_dword v0, v2, s[0:1]
	s_endpgm
.LBB85_39:
                                        ; implicit-def: $sgpr19
	s_branch .LBB85_33
.LBB85_40:
                                        ; implicit-def: $sgpr6
	s_branch .LBB85_37
	.section	.rodata,"a",@progbits
	.p2align	6, 0x0
	.amdhsa_kernel _ZN9rocsparseL29gtsv_spike_block_level_kernelILj256ELj256EfEEviiiPT1_PKS1_S4_S2_S2_S2_S2_S2_
		.amdhsa_group_segment_fixed_size 6144
		.amdhsa_private_segment_fixed_size 0
		.amdhsa_kernarg_size 336
		.amdhsa_user_sgpr_count 2
		.amdhsa_user_sgpr_dispatch_ptr 0
		.amdhsa_user_sgpr_queue_ptr 0
		.amdhsa_user_sgpr_kernarg_segment_ptr 1
		.amdhsa_user_sgpr_dispatch_id 0
		.amdhsa_user_sgpr_kernarg_preload_length 0
		.amdhsa_user_sgpr_kernarg_preload_offset 0
		.amdhsa_user_sgpr_private_segment_size 0
		.amdhsa_uses_dynamic_stack 0
		.amdhsa_enable_private_segment 0
		.amdhsa_system_sgpr_workgroup_id_x 1
		.amdhsa_system_sgpr_workgroup_id_y 1
		.amdhsa_system_sgpr_workgroup_id_z 0
		.amdhsa_system_sgpr_workgroup_info 0
		.amdhsa_system_vgpr_workitem_id 0
		.amdhsa_next_free_vgpr 27
		.amdhsa_next_free_sgpr 24
		.amdhsa_accum_offset 28
		.amdhsa_reserve_vcc 1
		.amdhsa_float_round_mode_32 0
		.amdhsa_float_round_mode_16_64 0
		.amdhsa_float_denorm_mode_32 3
		.amdhsa_float_denorm_mode_16_64 3
		.amdhsa_dx10_clamp 1
		.amdhsa_ieee_mode 1
		.amdhsa_fp16_overflow 0
		.amdhsa_tg_split 0
		.amdhsa_exception_fp_ieee_invalid_op 0
		.amdhsa_exception_fp_denorm_src 0
		.amdhsa_exception_fp_ieee_div_zero 0
		.amdhsa_exception_fp_ieee_overflow 0
		.amdhsa_exception_fp_ieee_underflow 0
		.amdhsa_exception_fp_ieee_inexact 0
		.amdhsa_exception_int_div_zero 0
	.end_amdhsa_kernel
	.section	.text._ZN9rocsparseL29gtsv_spike_block_level_kernelILj256ELj256EfEEviiiPT1_PKS1_S4_S2_S2_S2_S2_S2_,"axG",@progbits,_ZN9rocsparseL29gtsv_spike_block_level_kernelILj256ELj256EfEEviiiPT1_PKS1_S4_S2_S2_S2_S2_S2_,comdat
.Lfunc_end85:
	.size	_ZN9rocsparseL29gtsv_spike_block_level_kernelILj256ELj256EfEEviiiPT1_PKS1_S4_S2_S2_S2_S2_S2_, .Lfunc_end85-_ZN9rocsparseL29gtsv_spike_block_level_kernelILj256ELj256EfEEviiiPT1_PKS1_S4_S2_S2_S2_S2_S2_
                                        ; -- End function
	.set _ZN9rocsparseL29gtsv_spike_block_level_kernelILj256ELj256EfEEviiiPT1_PKS1_S4_S2_S2_S2_S2_S2_.num_vgpr, 27
	.set _ZN9rocsparseL29gtsv_spike_block_level_kernelILj256ELj256EfEEviiiPT1_PKS1_S4_S2_S2_S2_S2_S2_.num_agpr, 0
	.set _ZN9rocsparseL29gtsv_spike_block_level_kernelILj256ELj256EfEEviiiPT1_PKS1_S4_S2_S2_S2_S2_S2_.numbered_sgpr, 24
	.set _ZN9rocsparseL29gtsv_spike_block_level_kernelILj256ELj256EfEEviiiPT1_PKS1_S4_S2_S2_S2_S2_S2_.num_named_barrier, 0
	.set _ZN9rocsparseL29gtsv_spike_block_level_kernelILj256ELj256EfEEviiiPT1_PKS1_S4_S2_S2_S2_S2_S2_.private_seg_size, 0
	.set _ZN9rocsparseL29gtsv_spike_block_level_kernelILj256ELj256EfEEviiiPT1_PKS1_S4_S2_S2_S2_S2_S2_.uses_vcc, 1
	.set _ZN9rocsparseL29gtsv_spike_block_level_kernelILj256ELj256EfEEviiiPT1_PKS1_S4_S2_S2_S2_S2_S2_.uses_flat_scratch, 0
	.set _ZN9rocsparseL29gtsv_spike_block_level_kernelILj256ELj256EfEEviiiPT1_PKS1_S4_S2_S2_S2_S2_S2_.has_dyn_sized_stack, 0
	.set _ZN9rocsparseL29gtsv_spike_block_level_kernelILj256ELj256EfEEviiiPT1_PKS1_S4_S2_S2_S2_S2_S2_.has_recursion, 0
	.set _ZN9rocsparseL29gtsv_spike_block_level_kernelILj256ELj256EfEEviiiPT1_PKS1_S4_S2_S2_S2_S2_S2_.has_indirect_call, 0
	.section	.AMDGPU.csdata,"",@progbits
; Kernel info:
; codeLenInByte = 3764
; TotalNumSgprs: 30
; NumVgprs: 27
; NumAgprs: 0
; TotalNumVgprs: 27
; ScratchSize: 0
; MemoryBound: 0
; FloatMode: 240
; IeeeMode: 1
; LDSByteSize: 6144 bytes/workgroup (compile time only)
; SGPRBlocks: 3
; VGPRBlocks: 3
; NumSGPRsForWavesPerEU: 30
; NumVGPRsForWavesPerEU: 27
; AccumOffset: 28
; Occupancy: 8
; WaveLimiterHint : 0
; COMPUTE_PGM_RSRC2:SCRATCH_EN: 0
; COMPUTE_PGM_RSRC2:USER_SGPR: 2
; COMPUTE_PGM_RSRC2:TRAP_HANDLER: 0
; COMPUTE_PGM_RSRC2:TGID_X_EN: 1
; COMPUTE_PGM_RSRC2:TGID_Y_EN: 1
; COMPUTE_PGM_RSRC2:TGID_Z_EN: 0
; COMPUTE_PGM_RSRC2:TIDIG_COMP_CNT: 0
; COMPUTE_PGM_RSRC3_GFX90A:ACCUM_OFFSET: 6
; COMPUTE_PGM_RSRC3_GFX90A:TG_SPLIT: 0
	.section	.text._ZN9rocsparseL33gtsv_solve_spike_propagate_kernelILj256ELj256EfEEviiiPT1_PKS1_S4_S4_,"axG",@progbits,_ZN9rocsparseL33gtsv_solve_spike_propagate_kernelILj256ELj256EfEEviiiPT1_PKS1_S4_S4_,comdat
	.globl	_ZN9rocsparseL33gtsv_solve_spike_propagate_kernelILj256ELj256EfEEviiiPT1_PKS1_S4_S4_ ; -- Begin function _ZN9rocsparseL33gtsv_solve_spike_propagate_kernelILj256ELj256EfEEviiiPT1_PKS1_S4_S4_
	.p2align	8
	.type	_ZN9rocsparseL33gtsv_solve_spike_propagate_kernelILj256ELj256EfEEviiiPT1_PKS1_S4_S4_,@function
_ZN9rocsparseL33gtsv_solve_spike_propagate_kernelILj256ELj256EfEEviiiPT1_PKS1_S4_S4_: ; @_ZN9rocsparseL33gtsv_solve_spike_propagate_kernelILj256ELj256EfEEviiiPT1_PKS1_S4_S4_
; %bb.0:
	s_load_dword s8, s[0:1], 0x0
	v_lshl_or_b32 v2, s2, 8, v0
	v_mov_b32_e32 v4, 0
	v_ashrrev_i32_e32 v3, 31, v2
	v_mov_b32_e32 v5, 0
	s_waitcnt lgkmcnt(0)
	s_lshr_b32 s12, s8, 8
	v_cmp_le_i32_e64 s[4:5], s12, v2
	v_cmp_gt_i32_e32 vcc, s12, v2
	s_mulk_i32 s12, 0xff
	s_and_saveexec_b64 s[6:7], vcc
	s_cbranch_execz .LBB86_2
; %bb.1:
	s_load_dwordx2 s[10:11], s[0:1], 0x18
	v_add_u32_e32 v4, s12, v2
	v_mov_b32_e32 v5, 0
	s_waitcnt lgkmcnt(0)
	v_lshl_add_u64 v[6:7], v[2:3], 2, s[10:11]
	v_lshl_add_u64 v[8:9], v[4:5], 2, s[10:11]
	global_load_dword v4, v[6:7], off
	global_load_dword v5, v[8:9], off
.LBB86_2:
	s_or_b64 exec, exec, s[6:7]
	s_load_dwordx2 s[6:7], s[0:1], 0x10
	v_lshlrev_b32_e32 v1, 2, v0
	v_add_u32_e32 v6, 16, v1
	s_waitcnt vmcnt(0)
	ds_write2st64_b32 v6, v4, v5 offset0:16 offset1:20
	s_and_saveexec_b64 s[10:11], s[4:5]
	s_xor_b64 s[4:5], exec, s[10:11]
; %bb.3:
	v_mov_b32_e32 v3, 0
	ds_write2st64_b32 v6, v3, v3 offset0:8 offset1:12
; %bb.4:
	s_or_saveexec_b64 s[4:5], s[4:5]
	v_mov_b32_e32 v4, 0
	s_mul_i32 s8, s8, s3
	v_mov_b32_e32 v5, 0
	s_xor_b64 exec, exec, s[4:5]
	s_cbranch_execz .LBB86_6
; %bb.5:
	s_load_dwordx2 s[10:11], s[0:1], 0x20
	v_add_u32_e32 v6, s12, v2
	v_mov_b32_e32 v7, 0
	s_waitcnt lgkmcnt(0)
	v_lshl_add_u64 v[10:11], v[6:7], 2, s[10:11]
	v_add_u32_e32 v6, s8, v6
	v_lshl_add_u64 v[8:9], v[2:3], 2, s[10:11]
	v_lshl_add_u64 v[6:7], v[6:7], 2, s[6:7]
	global_load_dword v3, v[8:9], off
	global_load_dword v12, v[10:11], off
	;; [unrolled: 1-line block ×3, first 2 shown]
	v_add_u32_e32 v6, 16, v1
	s_waitcnt vmcnt(1)
	ds_write2st64_b32 v6, v3, v12 offset0:8 offset1:12
.LBB86_6:
	s_or_b64 exec, exec, s[4:5]
	v_add_u32_e32 v2, s8, v2
	s_waitcnt vmcnt(0)
	ds_write_b32 v1, v5 offset:4
	s_and_saveexec_b64 s[4:5], vcc
	s_cbranch_execz .LBB86_8
; %bb.7:
	v_ashrrev_i32_e32 v3, 31, v2
	s_waitcnt lgkmcnt(0)
	v_lshl_add_u64 v[4:5], v[2:3], 2, s[6:7]
	global_load_dword v4, v[4:5], off
.LBB86_8:
	s_or_b64 exec, exec, s[4:5]
	s_mov_b32 s14, 0
	v_cmp_eq_u32_e64 s[4:5], 0, v0
	s_waitcnt vmcnt(0)
	ds_write_b32 v1, v4 offset:1028
	s_waitcnt lgkmcnt(0)
	s_barrier
	s_and_saveexec_b64 s[8:9], s[4:5]
	s_cbranch_execz .LBB86_14
; %bb.9:
	s_load_dword s13, s[0:1], 0x30
	s_load_dwordx2 s[10:11], s[0:1], 0x28
	s_cmp_lt_i32 s2, 1
	s_waitcnt lgkmcnt(0)
	s_mul_i32 s3, s3, s13
	s_cbranch_scc1 .LBB86_11
; %bb.10:
	s_lshl_b32 s0, s3, 1
	s_add_i32 s1, s2, s13
	s_add_i32 s0, s1, s0
	s_add_i32 s0, s0, -1
	s_mov_b32 s1, 0
	s_lshl_b64 s[0:1], s[0:1], 2
	s_add_u32 s0, s10, s0
	s_addc_u32 s1, s11, s1
	s_load_dword s14, s[0:1], 0x0
.LBB86_11:
	s_add_i32 s0, s13, -1
	v_mov_b32_e32 v3, 0
	s_waitcnt lgkmcnt(0)
	v_mov_b32_e32 v4, s14
	s_mov_b32 s1, 0
	s_cmp_ge_u32 s2, s0
	s_mov_b32 s14, 0
	ds_write_b32 v3, v4
	s_cbranch_scc1 .LBB86_13
; %bb.12:
	s_lshl_b32 s0, s3, 1
	s_add_i32 s0, s2, s0
	s_add_i32 s14, s0, 1
	s_mov_b32 s15, 0
	s_lshl_b64 s[14:15], s[14:15], 2
	s_add_u32 s14, s10, s14
	s_addc_u32 s15, s11, s15
	s_load_dword s14, s[14:15], 0x0
.LBB86_13:
	s_lshl_b32 s0, s3, 1
	s_add_i32 s0, s0, s2
	s_lshl_b64 s[2:3], s[0:1], 2
	s_add_u32 s2, s10, s2
	s_addc_u32 s3, s11, s3
	s_add_i32 s0, s0, s13
	s_lshl_b64 s[0:1], s[0:1], 2
	s_add_u32 s0, s10, s0
	s_addc_u32 s1, s11, s1
	s_load_dword s10, s[0:1], 0x0
	s_load_dword s11, s[2:3], 0x0
	s_waitcnt lgkmcnt(0)
	v_mov_b32_e32 v4, s14
	ds_write_b32 v3, v4 offset:2052
	v_mov_b32_e32 v4, s10
	v_mov_b32_e32 v5, s11
	ds_write_b64 v3, v[4:5] offset:1024
.LBB86_14:
	s_or_b64 exec, exec, s[8:9]
	s_waitcnt lgkmcnt(0)
	s_barrier
	s_and_saveexec_b64 s[0:1], s[4:5]
	s_cbranch_execz .LBB86_16
; %bb.15:
	s_movk_i32 s2, 0xa10
	v_mov_b32_e32 v3, 0
	v_add_u32_e64 v6, s2, 0
	v_add_u32_e64 v8, 4, 0
	s_movk_i32 s2, 0x1210
	ds_read2st64_b32 v[4:5], v3 offset1:2
	ds_read2_b32 v[6:7], v6 offset1:255
	ds_read2st64_b32 v[8:9], v8 offset0:6 offset1:8
	v_add_u32_e64 v10, s2, 0
	ds_read2_b32 v[10:11], v10 offset1:255
	s_waitcnt lgkmcnt(1)
	v_fma_f32 v5, -v7, v9, v5
	s_waitcnt lgkmcnt(0)
	v_fma_f32 v5, -v11, v4, v5
	ds_write_b32 v3, v5 offset:512
	v_fma_f32 v5, -v6, v9, v8
	v_fma_f32 v4, -v10, v4, v5
	ds_write_b32 v3, v4 offset:1540
.LBB86_16:
	s_or_b64 exec, exec, s[0:1]
	v_cmp_gt_u32_e64 s[0:1], 2, v0
	s_waitcnt lgkmcnt(0)
	s_barrier
	s_and_saveexec_b64 s[2:3], s[0:1]
	s_cbranch_execz .LBB86_18
; %bb.17:
	s_movk_i32 s0, 0x1fc
	v_mad_u32_u24 v3, v0, s0, v1
	v_lshlrev_b32_e32 v10, 9, v0
	v_add_u32_e32 v6, 0x910, v10
	v_add_u32_e32 v8, 4, v3
	ds_read2st64_b32 v[4:5], v3 offset1:1
	ds_read2_b32 v[6:7], v6 offset1:255
	ds_read2st64_b32 v[8:9], v8 offset0:5 offset1:6
	v_add_u32_e32 v10, 0x1110, v10
	ds_read2_b32 v[10:11], v10 offset1:255
	s_waitcnt lgkmcnt(1)
	v_fma_f32 v5, -v7, v9, v5
	s_waitcnt lgkmcnt(0)
	v_fma_f32 v5, -v11, v4, v5
	ds_write_b32 v3, v5 offset:256
	v_fma_f32 v5, -v6, v9, v8
	v_fma_f32 v4, -v10, v4, v5
	ds_write_b32 v3, v4 offset:1284
.LBB86_18:
	s_or_b64 exec, exec, s[2:3]
	v_cmp_gt_u32_e64 s[0:1], 4, v0
	s_waitcnt lgkmcnt(0)
	s_barrier
	s_and_saveexec_b64 s[2:3], s[0:1]
	s_cbranch_execz .LBB86_20
; %bb.19:
	v_lshlrev_b32_e32 v3, 8, v0
	v_add_u32_e32 v6, 0x890, v3
	v_add_u32_e32 v8, 0x400, v3
	ds_read2_b32 v[4:5], v3 offset1:32
	ds_read2_b32 v[6:7], v6 offset1:255
	ds_read2_b32 v[8:9], v8 offset0:33 offset1:65
	v_add_u32_e32 v10, 0x1090, v3
	ds_read2_b32 v[10:11], v10 offset1:255
	s_waitcnt lgkmcnt(1)
	v_fma_f32 v5, -v7, v9, v5
	s_waitcnt lgkmcnt(0)
	v_fma_f32 v5, -v11, v4, v5
	ds_write_b32 v3, v5 offset:128
	v_fma_f32 v5, -v6, v9, v8
	v_fma_f32 v4, -v10, v4, v5
	ds_write_b32 v3, v4 offset:1156
.LBB86_20:
	s_or_b64 exec, exec, s[2:3]
	v_cmp_gt_u32_e64 s[0:1], 8, v0
	s_waitcnt lgkmcnt(0)
	s_barrier
	s_and_saveexec_b64 s[2:3], s[0:1]
	s_cbranch_execz .LBB86_22
; %bb.21:
	v_lshlrev_b32_e32 v3, 7, v0
	v_add_u32_e32 v6, 0x850, v3
	v_add_u32_e32 v8, 0x400, v3
	ds_read2_b32 v[4:5], v3 offset1:16
	ds_read2_b32 v[6:7], v6 offset1:255
	ds_read2_b32 v[8:9], v8 offset0:17 offset1:33
	v_add_u32_e32 v10, 0x1050, v3
	ds_read2_b32 v[10:11], v10 offset1:255
	s_waitcnt lgkmcnt(1)
	v_fma_f32 v5, -v7, v9, v5
	s_waitcnt lgkmcnt(0)
	v_fma_f32 v5, -v11, v4, v5
	ds_write_b32 v3, v5 offset:64
	v_fma_f32 v5, -v6, v9, v8
	v_fma_f32 v4, -v10, v4, v5
	ds_write_b32 v3, v4 offset:1092
.LBB86_22:
	s_or_b64 exec, exec, s[2:3]
	v_cmp_gt_u32_e64 s[0:1], 16, v0
	s_waitcnt lgkmcnt(0)
	s_barrier
	s_and_saveexec_b64 s[2:3], s[0:1]
	s_cbranch_execz .LBB86_24
; %bb.23:
	v_lshlrev_b32_e32 v3, 6, v0
	v_add_u32_e32 v6, 0x830, v3
	v_add_u32_e32 v8, 0x400, v3
	ds_read2_b32 v[4:5], v3 offset1:8
	ds_read2_b32 v[6:7], v6 offset1:255
	ds_read2_b32 v[8:9], v8 offset0:9 offset1:17
	v_add_u32_e32 v10, 0x1030, v3
	ds_read2_b32 v[10:11], v10 offset1:255
	s_waitcnt lgkmcnt(1)
	v_fma_f32 v5, -v7, v9, v5
	s_waitcnt lgkmcnt(0)
	v_fma_f32 v5, -v11, v4, v5
	ds_write_b32 v3, v5 offset:32
	v_fma_f32 v5, -v6, v9, v8
	v_fma_f32 v4, -v10, v4, v5
	ds_write_b32 v3, v4 offset:1060
.LBB86_24:
	s_or_b64 exec, exec, s[2:3]
	v_cmp_gt_u32_e64 s[0:1], 32, v0
	s_waitcnt lgkmcnt(0)
	s_barrier
	s_and_saveexec_b64 s[2:3], s[0:1]
	s_cbranch_execz .LBB86_26
; %bb.25:
	v_lshlrev_b32_e32 v3, 5, v0
	v_add_u32_e32 v6, 0x820, v3
	v_add_u32_e32 v8, 0x400, v3
	ds_read2_b32 v[4:5], v3 offset1:4
	ds_read2_b32 v[6:7], v6 offset1:255
	ds_read2_b32 v[8:9], v8 offset0:5 offset1:9
	v_add_u32_e32 v10, 0x1020, v3
	ds_read2_b32 v[10:11], v10 offset1:255
	s_waitcnt lgkmcnt(1)
	v_fma_f32 v5, -v7, v9, v5
	s_waitcnt lgkmcnt(0)
	v_fma_f32 v5, -v11, v4, v5
	ds_write_b32 v3, v5 offset:16
	v_fma_f32 v5, -v6, v9, v8
	v_fma_f32 v4, -v10, v4, v5
	ds_write_b32 v3, v4 offset:1044
.LBB86_26:
	s_or_b64 exec, exec, s[2:3]
	v_cmp_gt_u32_e64 s[0:1], 64, v0
	s_waitcnt lgkmcnt(0)
	s_barrier
	s_and_saveexec_b64 s[2:3], s[0:1]
	s_cbranch_execz .LBB86_28
; %bb.27:
	v_lshlrev_b32_e32 v3, 4, v0
	v_add_u32_e32 v6, 0x818, v3
	v_add_u32_e32 v8, 0x400, v3
	ds_read2_b32 v[4:5], v3 offset1:2
	ds_read2_b32 v[6:7], v6 offset1:255
	ds_read2_b32 v[8:9], v8 offset0:3 offset1:5
	v_add_u32_e32 v10, 0x1018, v3
	ds_read2_b32 v[10:11], v10 offset1:255
	s_waitcnt lgkmcnt(1)
	v_fma_f32 v5, -v7, v9, v5
	s_waitcnt lgkmcnt(0)
	v_fma_f32 v5, -v11, v4, v5
	ds_write_b32 v3, v5 offset:8
	v_fma_f32 v5, -v6, v9, v8
	v_fma_f32 v4, -v10, v4, v5
	ds_write_b32 v3, v4 offset:1036
.LBB86_28:
	s_or_b64 exec, exec, s[2:3]
	s_movk_i32 s0, 0x80
	v_cmp_gt_u32_e64 s[0:1], s0, v0
	s_waitcnt lgkmcnt(0)
	s_barrier
	s_and_saveexec_b64 s[2:3], s[0:1]
	s_cbranch_execz .LBB86_30
; %bb.29:
	v_lshlrev_b32_e32 v0, 3, v0
	v_add_u32_e32 v3, 0x814, v0
	ds_read2_b64 v[4:7], v0 offset1:129
	ds_read2_b32 v[8:9], v3 offset1:255
	v_add_u32_e32 v3, 0x1014, v0
	ds_read2_b32 v[10:11], v3 offset1:255
	s_waitcnt lgkmcnt(1)
	v_fma_f32 v3, -v9, v7, v5
	v_fma_f32 v5, -v8, v7, v6
	s_waitcnt lgkmcnt(0)
	v_fma_f32 v3, -v11, v4, v3
	ds_write_b32 v0, v3 offset:4
	v_fma_f32 v3, -v10, v4, v5
	ds_write_b32 v0, v3 offset:1032
.LBB86_30:
	s_or_b64 exec, exec, s[2:3]
	s_waitcnt lgkmcnt(0)
	s_barrier
	s_and_saveexec_b64 s[0:1], vcc
	s_cbranch_execz .LBB86_32
; %bb.31:
	v_add_u32_e32 v0, 4, v1
	ds_read2st64_b32 v[0:1], v0 offset1:4
	v_ashrrev_i32_e32 v3, 31, v2
	v_add_u32_e32 v4, s12, v2
	v_mov_b32_e32 v5, 0
	v_lshl_add_u64 v[2:3], v[2:3], 2, s[6:7]
	s_waitcnt lgkmcnt(0)
	global_store_dword v[2:3], v1, off
	v_lshl_add_u64 v[2:3], v[4:5], 2, s[6:7]
	global_store_dword v[2:3], v0, off
.LBB86_32:
	s_endpgm
	.section	.rodata,"a",@progbits
	.p2align	6, 0x0
	.amdhsa_kernel _ZN9rocsparseL33gtsv_solve_spike_propagate_kernelILj256ELj256EfEEviiiPT1_PKS1_S4_S4_
		.amdhsa_group_segment_fixed_size 6160
		.amdhsa_private_segment_fixed_size 0
		.amdhsa_kernarg_size 304
		.amdhsa_user_sgpr_count 2
		.amdhsa_user_sgpr_dispatch_ptr 0
		.amdhsa_user_sgpr_queue_ptr 0
		.amdhsa_user_sgpr_kernarg_segment_ptr 1
		.amdhsa_user_sgpr_dispatch_id 0
		.amdhsa_user_sgpr_kernarg_preload_length 0
		.amdhsa_user_sgpr_kernarg_preload_offset 0
		.amdhsa_user_sgpr_private_segment_size 0
		.amdhsa_uses_dynamic_stack 0
		.amdhsa_enable_private_segment 0
		.amdhsa_system_sgpr_workgroup_id_x 1
		.amdhsa_system_sgpr_workgroup_id_y 1
		.amdhsa_system_sgpr_workgroup_id_z 0
		.amdhsa_system_sgpr_workgroup_info 0
		.amdhsa_system_vgpr_workitem_id 0
		.amdhsa_next_free_vgpr 13
		.amdhsa_next_free_sgpr 16
		.amdhsa_accum_offset 16
		.amdhsa_reserve_vcc 1
		.amdhsa_float_round_mode_32 0
		.amdhsa_float_round_mode_16_64 0
		.amdhsa_float_denorm_mode_32 3
		.amdhsa_float_denorm_mode_16_64 3
		.amdhsa_dx10_clamp 1
		.amdhsa_ieee_mode 1
		.amdhsa_fp16_overflow 0
		.amdhsa_tg_split 0
		.amdhsa_exception_fp_ieee_invalid_op 0
		.amdhsa_exception_fp_denorm_src 0
		.amdhsa_exception_fp_ieee_div_zero 0
		.amdhsa_exception_fp_ieee_overflow 0
		.amdhsa_exception_fp_ieee_underflow 0
		.amdhsa_exception_fp_ieee_inexact 0
		.amdhsa_exception_int_div_zero 0
	.end_amdhsa_kernel
	.section	.text._ZN9rocsparseL33gtsv_solve_spike_propagate_kernelILj256ELj256EfEEviiiPT1_PKS1_S4_S4_,"axG",@progbits,_ZN9rocsparseL33gtsv_solve_spike_propagate_kernelILj256ELj256EfEEviiiPT1_PKS1_S4_S4_,comdat
.Lfunc_end86:
	.size	_ZN9rocsparseL33gtsv_solve_spike_propagate_kernelILj256ELj256EfEEviiiPT1_PKS1_S4_S4_, .Lfunc_end86-_ZN9rocsparseL33gtsv_solve_spike_propagate_kernelILj256ELj256EfEEviiiPT1_PKS1_S4_S4_
                                        ; -- End function
	.set _ZN9rocsparseL33gtsv_solve_spike_propagate_kernelILj256ELj256EfEEviiiPT1_PKS1_S4_S4_.num_vgpr, 13
	.set _ZN9rocsparseL33gtsv_solve_spike_propagate_kernelILj256ELj256EfEEviiiPT1_PKS1_S4_S4_.num_agpr, 0
	.set _ZN9rocsparseL33gtsv_solve_spike_propagate_kernelILj256ELj256EfEEviiiPT1_PKS1_S4_S4_.numbered_sgpr, 16
	.set _ZN9rocsparseL33gtsv_solve_spike_propagate_kernelILj256ELj256EfEEviiiPT1_PKS1_S4_S4_.num_named_barrier, 0
	.set _ZN9rocsparseL33gtsv_solve_spike_propagate_kernelILj256ELj256EfEEviiiPT1_PKS1_S4_S4_.private_seg_size, 0
	.set _ZN9rocsparseL33gtsv_solve_spike_propagate_kernelILj256ELj256EfEEviiiPT1_PKS1_S4_S4_.uses_vcc, 1
	.set _ZN9rocsparseL33gtsv_solve_spike_propagate_kernelILj256ELj256EfEEviiiPT1_PKS1_S4_S4_.uses_flat_scratch, 0
	.set _ZN9rocsparseL33gtsv_solve_spike_propagate_kernelILj256ELj256EfEEviiiPT1_PKS1_S4_S4_.has_dyn_sized_stack, 0
	.set _ZN9rocsparseL33gtsv_solve_spike_propagate_kernelILj256ELj256EfEEviiiPT1_PKS1_S4_S4_.has_recursion, 0
	.set _ZN9rocsparseL33gtsv_solve_spike_propagate_kernelILj256ELj256EfEEviiiPT1_PKS1_S4_S4_.has_indirect_call, 0
	.section	.AMDGPU.csdata,"",@progbits
; Kernel info:
; codeLenInByte = 1836
; TotalNumSgprs: 22
; NumVgprs: 13
; NumAgprs: 0
; TotalNumVgprs: 13
; ScratchSize: 0
; MemoryBound: 0
; FloatMode: 240
; IeeeMode: 1
; LDSByteSize: 6160 bytes/workgroup (compile time only)
; SGPRBlocks: 2
; VGPRBlocks: 1
; NumSGPRsForWavesPerEU: 22
; NumVGPRsForWavesPerEU: 13
; AccumOffset: 16
; Occupancy: 8
; WaveLimiterHint : 0
; COMPUTE_PGM_RSRC2:SCRATCH_EN: 0
; COMPUTE_PGM_RSRC2:USER_SGPR: 2
; COMPUTE_PGM_RSRC2:TRAP_HANDLER: 0
; COMPUTE_PGM_RSRC2:TGID_X_EN: 1
; COMPUTE_PGM_RSRC2:TGID_Y_EN: 1
; COMPUTE_PGM_RSRC2:TGID_Z_EN: 0
; COMPUTE_PGM_RSRC2:TIDIG_COMP_CNT: 0
; COMPUTE_PGM_RSRC3_GFX90A:ACCUM_OFFSET: 3
; COMPUTE_PGM_RSRC3_GFX90A:TG_SPLIT: 0
	.section	.text._ZN9rocsparseL39gtsv_spike_backward_substitution_kernelILj256ELj256EfEEviiiPT1_PKS1_S4_,"axG",@progbits,_ZN9rocsparseL39gtsv_spike_backward_substitution_kernelILj256ELj256EfEEviiiPT1_PKS1_S4_,comdat
	.globl	_ZN9rocsparseL39gtsv_spike_backward_substitution_kernelILj256ELj256EfEEviiiPT1_PKS1_S4_ ; -- Begin function _ZN9rocsparseL39gtsv_spike_backward_substitution_kernelILj256ELj256EfEEviiiPT1_PKS1_S4_
	.p2align	8
	.type	_ZN9rocsparseL39gtsv_spike_backward_substitution_kernelILj256ELj256EfEEviiiPT1_PKS1_S4_,@function
_ZN9rocsparseL39gtsv_spike_backward_substitution_kernelILj256ELj256EfEEviiiPT1_PKS1_S4_: ; @_ZN9rocsparseL39gtsv_spike_backward_substitution_kernelILj256ELj256EfEEviiiPT1_PKS1_S4_
; %bb.0:
	s_load_dword s6, s[0:1], 0x0
	s_lshl_b32 s10, s2, 8
	v_or_b32_e32 v4, s10, v0
	s_waitcnt lgkmcnt(0)
	s_lshr_b32 s11, s6, 8
	v_cmp_gt_i32_e32 vcc, s11, v4
	s_and_saveexec_b64 s[4:5], vcc
	s_cbranch_execz .LBB87_7
; %bb.1:
	s_load_dwordx2 s[8:9], s[0:1], 0x10
	v_cmp_lt_i32_e32 vcc, 0, v4
	v_mov_b32_e32 v2, 0
	s_mul_i32 s2, s6, s3
	s_and_saveexec_b64 s[4:5], vcc
	s_cbranch_execz .LBB87_3
; %bb.2:
	s_mul_i32 s7, s11, 0xff
	s_mul_i32 s3, s6, s3
	s_add_i32 s7, s7, s3
	v_add3_u32 v2, v4, s7, -1
	v_mov_b32_e32 v3, 0
	s_waitcnt lgkmcnt(0)
	v_lshl_add_u64 v[2:3], v[2:3], 2, s[8:9]
	global_load_dword v2, v[2:3], off
.LBB87_3:
	s_or_b64 exec, exec, s[4:5]
	v_add_u32_e32 v1, 0x100, v4
	v_cmp_le_u32_e32 vcc, s6, v1
	s_and_saveexec_b64 s[4:5], vcc
	s_xor_b64 s[4:5], exec, s[4:5]
	s_or_saveexec_b64 s[4:5], s[4:5]
	v_mov_b32_e32 v3, 0
	v_mov_b32_e32 v6, s2
	s_xor_b64 exec, exec, s[4:5]
	s_cbranch_execz .LBB87_5
; %bb.4:
	s_ashr_i32 s3, s2, 31
	v_ashrrev_i32_e32 v5, 31, v4
	v_lshl_add_u64 v[6:7], v[4:5], 0, s[2:3]
	s_waitcnt lgkmcnt(0)
	v_lshl_add_u64 v[6:7], v[6:7], 2, s[8:9]
	global_load_dword v3, v[6:7], off offset:4
	v_mov_b32_e32 v6, s2
.LBB87_5:
	s_or_b64 exec, exec, s[4:5]
	s_load_dwordx4 s[4:7], s[0:1], 0x18
	s_lshl_b32 s0, s11, 1
	s_add_i32 s10, s10, s11
	v_add_u32_e32 v4, s0, v4
	v_add_u32_e32 v0, s10, v0
	s_movk_i32 s1, 0xfe
.LBB87_6:                               ; =>This Inner Loop Header: Depth=1
	v_ashrrev_i32_e32 v1, 31, v0
	v_add_u32_e32 v8, v6, v0
	v_lshlrev_b64 v[10:11], 2, v[0:1]
	v_ashrrev_i32_e32 v9, 31, v8
	s_waitcnt lgkmcnt(0)
	v_lshl_add_u64 v[12:13], s[4:5], 0, v[10:11]
	v_lshl_add_u64 v[8:9], v[8:9], 2, s[8:9]
	;; [unrolled: 1-line block ×3, first 2 shown]
	global_load_dword v14, v[12:13], off
	global_load_dword v15, v[10:11], off
	;; [unrolled: 1-line block ×3, first 2 shown]
	v_ashrrev_i32_e32 v5, 31, v4
	v_lshlrev_b64 v[12:13], 2, v[4:5]
	v_lshl_add_u64 v[16:17], s[4:5], 0, v[12:13]
	v_lshl_add_u64 v[12:13], s[6:7], 0, v[12:13]
	global_load_dword v18, v[16:17], off
	global_load_dword v19, v[12:13], off
	v_add_u32_e32 v10, v6, v4
	v_ashrrev_i32_e32 v11, 31, v10
	v_lshl_add_u64 v[10:11], v[10:11], 2, s[8:9]
	s_add_i32 s1, s1, -2
	v_add_u32_e32 v4, s0, v4
	v_add_u32_e32 v0, s0, v0
	s_cmp_lg_u32 s1, 0
	s_waitcnt vmcnt(3)
	v_pk_mul_f32 v[12:13], v[2:3], v[14:15]
	s_waitcnt vmcnt(2)
	v_sub_f32_e32 v1, v1, v12
	v_sub_f32_e32 v1, v1, v13
	global_store_dword v[8:9], v1, off
	global_load_dword v1, v[10:11], off
	s_waitcnt vmcnt(2)
	v_pk_mul_f32 v[8:9], v[2:3], v[18:19]
	s_waitcnt vmcnt(0)
	v_sub_f32_e32 v1, v1, v8
	v_sub_f32_e32 v1, v1, v9
	global_store_dword v[10:11], v1, off
	s_cbranch_scc1 .LBB87_6
.LBB87_7:
	s_endpgm
	.section	.rodata,"a",@progbits
	.p2align	6, 0x0
	.amdhsa_kernel _ZN9rocsparseL39gtsv_spike_backward_substitution_kernelILj256ELj256EfEEviiiPT1_PKS1_S4_
		.amdhsa_group_segment_fixed_size 0
		.amdhsa_private_segment_fixed_size 0
		.amdhsa_kernarg_size 40
		.amdhsa_user_sgpr_count 2
		.amdhsa_user_sgpr_dispatch_ptr 0
		.amdhsa_user_sgpr_queue_ptr 0
		.amdhsa_user_sgpr_kernarg_segment_ptr 1
		.amdhsa_user_sgpr_dispatch_id 0
		.amdhsa_user_sgpr_kernarg_preload_length 0
		.amdhsa_user_sgpr_kernarg_preload_offset 0
		.amdhsa_user_sgpr_private_segment_size 0
		.amdhsa_uses_dynamic_stack 0
		.amdhsa_enable_private_segment 0
		.amdhsa_system_sgpr_workgroup_id_x 1
		.amdhsa_system_sgpr_workgroup_id_y 1
		.amdhsa_system_sgpr_workgroup_id_z 0
		.amdhsa_system_sgpr_workgroup_info 0
		.amdhsa_system_vgpr_workitem_id 0
		.amdhsa_next_free_vgpr 20
		.amdhsa_next_free_sgpr 12
		.amdhsa_accum_offset 20
		.amdhsa_reserve_vcc 1
		.amdhsa_float_round_mode_32 0
		.amdhsa_float_round_mode_16_64 0
		.amdhsa_float_denorm_mode_32 3
		.amdhsa_float_denorm_mode_16_64 3
		.amdhsa_dx10_clamp 1
		.amdhsa_ieee_mode 1
		.amdhsa_fp16_overflow 0
		.amdhsa_tg_split 0
		.amdhsa_exception_fp_ieee_invalid_op 0
		.amdhsa_exception_fp_denorm_src 0
		.amdhsa_exception_fp_ieee_div_zero 0
		.amdhsa_exception_fp_ieee_overflow 0
		.amdhsa_exception_fp_ieee_underflow 0
		.amdhsa_exception_fp_ieee_inexact 0
		.amdhsa_exception_int_div_zero 0
	.end_amdhsa_kernel
	.section	.text._ZN9rocsparseL39gtsv_spike_backward_substitution_kernelILj256ELj256EfEEviiiPT1_PKS1_S4_,"axG",@progbits,_ZN9rocsparseL39gtsv_spike_backward_substitution_kernelILj256ELj256EfEEviiiPT1_PKS1_S4_,comdat
.Lfunc_end87:
	.size	_ZN9rocsparseL39gtsv_spike_backward_substitution_kernelILj256ELj256EfEEviiiPT1_PKS1_S4_, .Lfunc_end87-_ZN9rocsparseL39gtsv_spike_backward_substitution_kernelILj256ELj256EfEEviiiPT1_PKS1_S4_
                                        ; -- End function
	.set _ZN9rocsparseL39gtsv_spike_backward_substitution_kernelILj256ELj256EfEEviiiPT1_PKS1_S4_.num_vgpr, 20
	.set _ZN9rocsparseL39gtsv_spike_backward_substitution_kernelILj256ELj256EfEEviiiPT1_PKS1_S4_.num_agpr, 0
	.set _ZN9rocsparseL39gtsv_spike_backward_substitution_kernelILj256ELj256EfEEviiiPT1_PKS1_S4_.numbered_sgpr, 12
	.set _ZN9rocsparseL39gtsv_spike_backward_substitution_kernelILj256ELj256EfEEviiiPT1_PKS1_S4_.num_named_barrier, 0
	.set _ZN9rocsparseL39gtsv_spike_backward_substitution_kernelILj256ELj256EfEEviiiPT1_PKS1_S4_.private_seg_size, 0
	.set _ZN9rocsparseL39gtsv_spike_backward_substitution_kernelILj256ELj256EfEEviiiPT1_PKS1_S4_.uses_vcc, 1
	.set _ZN9rocsparseL39gtsv_spike_backward_substitution_kernelILj256ELj256EfEEviiiPT1_PKS1_S4_.uses_flat_scratch, 0
	.set _ZN9rocsparseL39gtsv_spike_backward_substitution_kernelILj256ELj256EfEEviiiPT1_PKS1_S4_.has_dyn_sized_stack, 0
	.set _ZN9rocsparseL39gtsv_spike_backward_substitution_kernelILj256ELj256EfEEviiiPT1_PKS1_S4_.has_recursion, 0
	.set _ZN9rocsparseL39gtsv_spike_backward_substitution_kernelILj256ELj256EfEEviiiPT1_PKS1_S4_.has_indirect_call, 0
	.section	.AMDGPU.csdata,"",@progbits
; Kernel info:
; codeLenInByte = 456
; TotalNumSgprs: 18
; NumVgprs: 20
; NumAgprs: 0
; TotalNumVgprs: 20
; ScratchSize: 0
; MemoryBound: 0
; FloatMode: 240
; IeeeMode: 1
; LDSByteSize: 0 bytes/workgroup (compile time only)
; SGPRBlocks: 2
; VGPRBlocks: 2
; NumSGPRsForWavesPerEU: 18
; NumVGPRsForWavesPerEU: 20
; AccumOffset: 20
; Occupancy: 8
; WaveLimiterHint : 0
; COMPUTE_PGM_RSRC2:SCRATCH_EN: 0
; COMPUTE_PGM_RSRC2:USER_SGPR: 2
; COMPUTE_PGM_RSRC2:TRAP_HANDLER: 0
; COMPUTE_PGM_RSRC2:TGID_X_EN: 1
; COMPUTE_PGM_RSRC2:TGID_Y_EN: 1
; COMPUTE_PGM_RSRC2:TGID_Z_EN: 0
; COMPUTE_PGM_RSRC2:TIDIG_COMP_CNT: 0
; COMPUTE_PGM_RSRC3_GFX90A:ACCUM_OFFSET: 4
; COMPUTE_PGM_RSRC3_GFX90A:TG_SPLIT: 0
	.section	.text._ZN9rocsparseL32gtsv_transpose_back_array_kernelILj256ELj256EfEEviiiPKT1_PS1_,"axG",@progbits,_ZN9rocsparseL32gtsv_transpose_back_array_kernelILj256ELj256EfEEviiiPKT1_PS1_,comdat
	.globl	_ZN9rocsparseL32gtsv_transpose_back_array_kernelILj256ELj256EfEEviiiPKT1_PS1_ ; -- Begin function _ZN9rocsparseL32gtsv_transpose_back_array_kernelILj256ELj256EfEEviiiPKT1_PS1_
	.p2align	8
	.type	_ZN9rocsparseL32gtsv_transpose_back_array_kernelILj256ELj256EfEEviiiPKT1_PS1_,@function
_ZN9rocsparseL32gtsv_transpose_back_array_kernelILj256ELj256EfEEviiiPKT1_PS1_: ; @_ZN9rocsparseL32gtsv_transpose_back_array_kernelILj256ELj256EfEEviiiPKT1_PS1_
; %bb.0:
	s_load_dwordx4 s[4:7], s[0:1], 0x0
	v_lshl_or_b32 v0, s2, 8, v0
	v_lshlrev_b32_e32 v2, 8, v0
	s_waitcnt lgkmcnt(0)
	v_cvt_f32_u32_e32 v1, s5
	s_sub_i32 s2, 0, s5
	v_rcp_iflag_f32_e32 v1, v1
	s_nop 0
	v_mul_f32_e32 v1, 0x4f7ffffe, v1
	v_cvt_u32_f32_e32 v1, v1
	v_mul_lo_u32 v3, s2, v1
	v_mul_hi_u32 v3, v1, v3
	v_add_u32_e32 v1, v1, v3
	v_mul_hi_u32 v1, v2, v1
	v_mul_lo_u32 v3, v1, s5
	v_sub_u32_e32 v3, v2, v3
	v_add_u32_e32 v4, 1, v1
	v_cmp_le_u32_e32 vcc, s5, v3
	s_nop 1
	v_cndmask_b32_e32 v1, v1, v4, vcc
	v_subrev_u32_e32 v4, s5, v3
	v_cndmask_b32_e32 v3, v3, v4, vcc
	v_add_u32_e32 v4, 1, v1
	v_cmp_le_u32_e32 vcc, s5, v3
	s_nop 1
	v_cndmask_b32_e32 v1, v1, v4, vcc
	v_mul_lo_u32 v3, v1, s5
	v_sub_u32_e32 v2, v2, v3
	v_add_u32_e32 v1, v1, v2
	v_cmp_gt_i32_e32 vcc, s4, v1
	s_and_saveexec_b64 s[8:9], vcc
	s_cbranch_execz .LBB88_2
; %bb.1:
	s_load_dwordx4 s[8:11], s[0:1], 0x10
	s_mul_i32 s0, s5, s3
	v_add_u32_e32 v2, s0, v0
	v_ashrrev_i32_e32 v3, 31, v2
	s_mul_i32 s0, s6, s3
	s_waitcnt lgkmcnt(0)
	v_lshl_add_u64 v[2:3], v[2:3], 2, s[8:9]
	global_load_dword v2, v[2:3], off
	v_add_u32_e32 v0, s0, v1
	v_ashrrev_i32_e32 v1, 31, v0
	v_lshl_add_u64 v[0:1], v[0:1], 2, s[10:11]
	s_waitcnt vmcnt(0)
	global_store_dword v[0:1], v2, off
.LBB88_2:
	s_endpgm
	.section	.rodata,"a",@progbits
	.p2align	6, 0x0
	.amdhsa_kernel _ZN9rocsparseL32gtsv_transpose_back_array_kernelILj256ELj256EfEEviiiPKT1_PS1_
		.amdhsa_group_segment_fixed_size 0
		.amdhsa_private_segment_fixed_size 0
		.amdhsa_kernarg_size 32
		.amdhsa_user_sgpr_count 2
		.amdhsa_user_sgpr_dispatch_ptr 0
		.amdhsa_user_sgpr_queue_ptr 0
		.amdhsa_user_sgpr_kernarg_segment_ptr 1
		.amdhsa_user_sgpr_dispatch_id 0
		.amdhsa_user_sgpr_kernarg_preload_length 0
		.amdhsa_user_sgpr_kernarg_preload_offset 0
		.amdhsa_user_sgpr_private_segment_size 0
		.amdhsa_uses_dynamic_stack 0
		.amdhsa_enable_private_segment 0
		.amdhsa_system_sgpr_workgroup_id_x 1
		.amdhsa_system_sgpr_workgroup_id_y 1
		.amdhsa_system_sgpr_workgroup_id_z 0
		.amdhsa_system_sgpr_workgroup_info 0
		.amdhsa_system_vgpr_workitem_id 0
		.amdhsa_next_free_vgpr 5
		.amdhsa_next_free_sgpr 12
		.amdhsa_accum_offset 8
		.amdhsa_reserve_vcc 1
		.amdhsa_float_round_mode_32 0
		.amdhsa_float_round_mode_16_64 0
		.amdhsa_float_denorm_mode_32 3
		.amdhsa_float_denorm_mode_16_64 3
		.amdhsa_dx10_clamp 1
		.amdhsa_ieee_mode 1
		.amdhsa_fp16_overflow 0
		.amdhsa_tg_split 0
		.amdhsa_exception_fp_ieee_invalid_op 0
		.amdhsa_exception_fp_denorm_src 0
		.amdhsa_exception_fp_ieee_div_zero 0
		.amdhsa_exception_fp_ieee_overflow 0
		.amdhsa_exception_fp_ieee_underflow 0
		.amdhsa_exception_fp_ieee_inexact 0
		.amdhsa_exception_int_div_zero 0
	.end_amdhsa_kernel
	.section	.text._ZN9rocsparseL32gtsv_transpose_back_array_kernelILj256ELj256EfEEviiiPKT1_PS1_,"axG",@progbits,_ZN9rocsparseL32gtsv_transpose_back_array_kernelILj256ELj256EfEEviiiPKT1_PS1_,comdat
.Lfunc_end88:
	.size	_ZN9rocsparseL32gtsv_transpose_back_array_kernelILj256ELj256EfEEviiiPKT1_PS1_, .Lfunc_end88-_ZN9rocsparseL32gtsv_transpose_back_array_kernelILj256ELj256EfEEviiiPKT1_PS1_
                                        ; -- End function
	.set _ZN9rocsparseL32gtsv_transpose_back_array_kernelILj256ELj256EfEEviiiPKT1_PS1_.num_vgpr, 5
	.set _ZN9rocsparseL32gtsv_transpose_back_array_kernelILj256ELj256EfEEviiiPKT1_PS1_.num_agpr, 0
	.set _ZN9rocsparseL32gtsv_transpose_back_array_kernelILj256ELj256EfEEviiiPKT1_PS1_.numbered_sgpr, 12
	.set _ZN9rocsparseL32gtsv_transpose_back_array_kernelILj256ELj256EfEEviiiPKT1_PS1_.num_named_barrier, 0
	.set _ZN9rocsparseL32gtsv_transpose_back_array_kernelILj256ELj256EfEEviiiPKT1_PS1_.private_seg_size, 0
	.set _ZN9rocsparseL32gtsv_transpose_back_array_kernelILj256ELj256EfEEviiiPKT1_PS1_.uses_vcc, 1
	.set _ZN9rocsparseL32gtsv_transpose_back_array_kernelILj256ELj256EfEEviiiPKT1_PS1_.uses_flat_scratch, 0
	.set _ZN9rocsparseL32gtsv_transpose_back_array_kernelILj256ELj256EfEEviiiPKT1_PS1_.has_dyn_sized_stack, 0
	.set _ZN9rocsparseL32gtsv_transpose_back_array_kernelILj256ELj256EfEEviiiPKT1_PS1_.has_recursion, 0
	.set _ZN9rocsparseL32gtsv_transpose_back_array_kernelILj256ELj256EfEEviiiPKT1_PS1_.has_indirect_call, 0
	.section	.AMDGPU.csdata,"",@progbits
; Kernel info:
; codeLenInByte = 236
; TotalNumSgprs: 18
; NumVgprs: 5
; NumAgprs: 0
; TotalNumVgprs: 5
; ScratchSize: 0
; MemoryBound: 0
; FloatMode: 240
; IeeeMode: 1
; LDSByteSize: 0 bytes/workgroup (compile time only)
; SGPRBlocks: 2
; VGPRBlocks: 0
; NumSGPRsForWavesPerEU: 18
; NumVGPRsForWavesPerEU: 5
; AccumOffset: 8
; Occupancy: 8
; WaveLimiterHint : 0
; COMPUTE_PGM_RSRC2:SCRATCH_EN: 0
; COMPUTE_PGM_RSRC2:USER_SGPR: 2
; COMPUTE_PGM_RSRC2:TRAP_HANDLER: 0
; COMPUTE_PGM_RSRC2:TGID_X_EN: 1
; COMPUTE_PGM_RSRC2:TGID_Y_EN: 1
; COMPUTE_PGM_RSRC2:TGID_Z_EN: 0
; COMPUTE_PGM_RSRC2:TIDIG_COMP_CNT: 0
; COMPUTE_PGM_RSRC3_GFX90A:ACCUM_OFFSET: 1
; COMPUTE_PGM_RSRC3_GFX90A:TG_SPLIT: 0
	.section	.text._ZN9rocsparseL42gtsv_transpose_and_pad_array_shared_kernelILj256ELj2EdEEviiiPKT1_PS1_S1_,"axG",@progbits,_ZN9rocsparseL42gtsv_transpose_and_pad_array_shared_kernelILj256ELj2EdEEviiiPKT1_PS1_S1_,comdat
	.globl	_ZN9rocsparseL42gtsv_transpose_and_pad_array_shared_kernelILj256ELj2EdEEviiiPKT1_PS1_S1_ ; -- Begin function _ZN9rocsparseL42gtsv_transpose_and_pad_array_shared_kernelILj256ELj2EdEEviiiPKT1_PS1_S1_
	.p2align	8
	.type	_ZN9rocsparseL42gtsv_transpose_and_pad_array_shared_kernelILj256ELj2EdEEviiiPKT1_PS1_S1_,@function
_ZN9rocsparseL42gtsv_transpose_and_pad_array_shared_kernelILj256ELj2EdEEviiiPKT1_PS1_S1_: ; @_ZN9rocsparseL42gtsv_transpose_and_pad_array_shared_kernelILj256ELj2EdEEviiiPKT1_PS1_S1_
; %bb.0:
	s_load_dwordx4 s[4:7], s[0:1], 0x0
	s_load_dwordx2 s[8:9], s[0:1], 0x20
	v_lshl_or_b32 v1, s2, 8, v0
	s_waitcnt lgkmcnt(0)
	v_cmp_gt_i32_e32 vcc, s4, v1
	v_mov_b64_e32 v[4:5], s[8:9]
	s_and_saveexec_b64 s[8:9], vcc
	s_cbranch_execz .LBB89_2
; %bb.1:
	s_load_dwordx2 s[10:11], s[0:1], 0x10
	s_mul_i32 s4, s6, s3
	v_add_u32_e32 v2, s4, v1
	v_ashrrev_i32_e32 v3, 31, v2
	s_waitcnt lgkmcnt(0)
	v_lshl_add_u64 v[2:3], v[2:3], 3, s[10:11]
	global_load_dwordx2 v[4:5], v[2:3], off
.LBB89_2:
	s_or_b64 exec, exec, s[8:9]
	v_lshrrev_b32_e32 v2, 7, v0
	v_and_b32_e32 v3, 0x7f, v0
	v_lshlrev_b32_e32 v0, 3, v0
	s_waitcnt vmcnt(0)
	ds_write_b64 v0, v[4:5]
	s_lshr_b32 s4, s5, 1
	v_lshl_or_b32 v0, s2, 7, v3
	v_mad_u64_u32 v[0:1], s[6:7], s4, v2, v[0:1]
	v_cmp_gt_i32_e32 vcc, s5, v0
	s_waitcnt lgkmcnt(0)
	s_barrier
	s_and_saveexec_b64 s[6:7], vcc
	s_cbranch_execz .LBB89_4
; %bb.3:
	v_lshlrev_b32_e32 v1, 3, v2
	s_load_dwordx2 s[0:1], s[0:1], 0x18
	v_lshl_or_b32 v1, v3, 4, v1
	ds_read_b64 v[2:3], v1
	s_mul_i32 s2, s5, s3
	v_add_u32_e32 v0, s2, v0
	v_ashrrev_i32_e32 v1, 31, v0
	s_waitcnt lgkmcnt(0)
	v_lshl_add_u64 v[0:1], v[0:1], 3, s[0:1]
	global_store_dwordx2 v[0:1], v[2:3], off
.LBB89_4:
	s_endpgm
	.section	.rodata,"a",@progbits
	.p2align	6, 0x0
	.amdhsa_kernel _ZN9rocsparseL42gtsv_transpose_and_pad_array_shared_kernelILj256ELj2EdEEviiiPKT1_PS1_S1_
		.amdhsa_group_segment_fixed_size 2048
		.amdhsa_private_segment_fixed_size 0
		.amdhsa_kernarg_size 40
		.amdhsa_user_sgpr_count 2
		.amdhsa_user_sgpr_dispatch_ptr 0
		.amdhsa_user_sgpr_queue_ptr 0
		.amdhsa_user_sgpr_kernarg_segment_ptr 1
		.amdhsa_user_sgpr_dispatch_id 0
		.amdhsa_user_sgpr_kernarg_preload_length 0
		.amdhsa_user_sgpr_kernarg_preload_offset 0
		.amdhsa_user_sgpr_private_segment_size 0
		.amdhsa_uses_dynamic_stack 0
		.amdhsa_enable_private_segment 0
		.amdhsa_system_sgpr_workgroup_id_x 1
		.amdhsa_system_sgpr_workgroup_id_y 1
		.amdhsa_system_sgpr_workgroup_id_z 0
		.amdhsa_system_sgpr_workgroup_info 0
		.amdhsa_system_vgpr_workitem_id 0
		.amdhsa_next_free_vgpr 6
		.amdhsa_next_free_sgpr 12
		.amdhsa_accum_offset 8
		.amdhsa_reserve_vcc 1
		.amdhsa_float_round_mode_32 0
		.amdhsa_float_round_mode_16_64 0
		.amdhsa_float_denorm_mode_32 3
		.amdhsa_float_denorm_mode_16_64 3
		.amdhsa_dx10_clamp 1
		.amdhsa_ieee_mode 1
		.amdhsa_fp16_overflow 0
		.amdhsa_tg_split 0
		.amdhsa_exception_fp_ieee_invalid_op 0
		.amdhsa_exception_fp_denorm_src 0
		.amdhsa_exception_fp_ieee_div_zero 0
		.amdhsa_exception_fp_ieee_overflow 0
		.amdhsa_exception_fp_ieee_underflow 0
		.amdhsa_exception_fp_ieee_inexact 0
		.amdhsa_exception_int_div_zero 0
	.end_amdhsa_kernel
	.section	.text._ZN9rocsparseL42gtsv_transpose_and_pad_array_shared_kernelILj256ELj2EdEEviiiPKT1_PS1_S1_,"axG",@progbits,_ZN9rocsparseL42gtsv_transpose_and_pad_array_shared_kernelILj256ELj2EdEEviiiPKT1_PS1_S1_,comdat
.Lfunc_end89:
	.size	_ZN9rocsparseL42gtsv_transpose_and_pad_array_shared_kernelILj256ELj2EdEEviiiPKT1_PS1_S1_, .Lfunc_end89-_ZN9rocsparseL42gtsv_transpose_and_pad_array_shared_kernelILj256ELj2EdEEviiiPKT1_PS1_S1_
                                        ; -- End function
	.set _ZN9rocsparseL42gtsv_transpose_and_pad_array_shared_kernelILj256ELj2EdEEviiiPKT1_PS1_S1_.num_vgpr, 6
	.set _ZN9rocsparseL42gtsv_transpose_and_pad_array_shared_kernelILj256ELj2EdEEviiiPKT1_PS1_S1_.num_agpr, 0
	.set _ZN9rocsparseL42gtsv_transpose_and_pad_array_shared_kernelILj256ELj2EdEEviiiPKT1_PS1_S1_.numbered_sgpr, 12
	.set _ZN9rocsparseL42gtsv_transpose_and_pad_array_shared_kernelILj256ELj2EdEEviiiPKT1_PS1_S1_.num_named_barrier, 0
	.set _ZN9rocsparseL42gtsv_transpose_and_pad_array_shared_kernelILj256ELj2EdEEviiiPKT1_PS1_S1_.private_seg_size, 0
	.set _ZN9rocsparseL42gtsv_transpose_and_pad_array_shared_kernelILj256ELj2EdEEviiiPKT1_PS1_S1_.uses_vcc, 1
	.set _ZN9rocsparseL42gtsv_transpose_and_pad_array_shared_kernelILj256ELj2EdEEviiiPKT1_PS1_S1_.uses_flat_scratch, 0
	.set _ZN9rocsparseL42gtsv_transpose_and_pad_array_shared_kernelILj256ELj2EdEEviiiPKT1_PS1_S1_.has_dyn_sized_stack, 0
	.set _ZN9rocsparseL42gtsv_transpose_and_pad_array_shared_kernelILj256ELj2EdEEviiiPKT1_PS1_S1_.has_recursion, 0
	.set _ZN9rocsparseL42gtsv_transpose_and_pad_array_shared_kernelILj256ELj2EdEEviiiPKT1_PS1_S1_.has_indirect_call, 0
	.section	.AMDGPU.csdata,"",@progbits
; Kernel info:
; codeLenInByte = 220
; TotalNumSgprs: 18
; NumVgprs: 6
; NumAgprs: 0
; TotalNumVgprs: 6
; ScratchSize: 0
; MemoryBound: 0
; FloatMode: 240
; IeeeMode: 1
; LDSByteSize: 2048 bytes/workgroup (compile time only)
; SGPRBlocks: 2
; VGPRBlocks: 0
; NumSGPRsForWavesPerEU: 18
; NumVGPRsForWavesPerEU: 6
; AccumOffset: 8
; Occupancy: 8
; WaveLimiterHint : 0
; COMPUTE_PGM_RSRC2:SCRATCH_EN: 0
; COMPUTE_PGM_RSRC2:USER_SGPR: 2
; COMPUTE_PGM_RSRC2:TRAP_HANDLER: 0
; COMPUTE_PGM_RSRC2:TGID_X_EN: 1
; COMPUTE_PGM_RSRC2:TGID_Y_EN: 1
; COMPUTE_PGM_RSRC2:TGID_Z_EN: 0
; COMPUTE_PGM_RSRC2:TIDIG_COMP_CNT: 0
; COMPUTE_PGM_RSRC3_GFX90A:ACCUM_OFFSET: 1
; COMPUTE_PGM_RSRC3_GFX90A:TG_SPLIT: 0
	.section	.text._ZN9rocsparseL18gtsv_LBM_wv_kernelILj256ELj2EdEEviiiPKT1_S3_S3_PS1_S4_S4_Pi,"axG",@progbits,_ZN9rocsparseL18gtsv_LBM_wv_kernelILj256ELj2EdEEviiiPKT1_S3_S3_PS1_S4_S4_Pi,comdat
	.globl	_ZN9rocsparseL18gtsv_LBM_wv_kernelILj256ELj2EdEEviiiPKT1_S3_S3_PS1_S4_S4_Pi ; -- Begin function _ZN9rocsparseL18gtsv_LBM_wv_kernelILj256ELj2EdEEviiiPKT1_S3_S3_PS1_S4_S4_Pi
	.p2align	8
	.type	_ZN9rocsparseL18gtsv_LBM_wv_kernelILj256ELj2EdEEviiiPKT1_S3_S3_PS1_S4_S4_Pi,@function
_ZN9rocsparseL18gtsv_LBM_wv_kernelILj256ELj2EdEEviiiPKT1_S3_S3_PS1_S4_S4_Pi: ; @_ZN9rocsparseL18gtsv_LBM_wv_kernelILj256ELj2EdEEviiiPKT1_S3_S3_PS1_S4_S4_Pi
; %bb.0:
	s_load_dword s25, s[0:1], 0x0
	v_lshl_or_b32 v0, s2, 8, v0
	s_waitcnt lgkmcnt(0)
	s_lshr_b32 s24, s25, 1
	v_cmp_gt_i32_e32 vcc, s24, v0
	s_and_saveexec_b64 s[2:3], vcc
	s_cbranch_execz .LBB90_26
; %bb.1:
	s_load_dwordx2 s[14:15], s[0:1], 0x10
	s_load_dwordx8 s[4:11], s[0:1], 0x20
	v_ashrrev_i32_e32 v1, 31, v0
	v_add_u32_e32 v2, s24, v0
	v_lshlrev_b64 v[4:5], 3, v[0:1]
	v_mov_b32_e32 v3, 0
	s_waitcnt lgkmcnt(0)
	v_lshl_add_u64 v[6:7], s[14:15], 0, v[4:5]
	v_lshlrev_b64 v[8:9], 3, v[2:3]
	global_load_dwordx2 v[6:7], v[6:7], off
	v_lshl_add_u64 v[10:11], s[4:5], 0, v[8:9]
	global_load_dwordx2 v[10:11], v[10:11], off
	s_load_dwordx2 s[12:13], s[0:1], 0x40
	v_lshl_add_u64 v[4:5], s[6:7], 0, v[4:5]
	s_cmp_lt_i32 s25, 1
	v_lshl_add_u64 v[8:9], s[8:9], 0, v[8:9]
	s_waitcnt vmcnt(1)
	global_store_dwordx2 v[4:5], v[6:7], off
	s_waitcnt vmcnt(1)
	global_store_dwordx2 v[8:9], v[10:11], off
	v_mov_b32_e32 v6, v3
	s_cbranch_scc1 .LBB90_19
; %bb.2:
	s_load_dwordx2 s[16:17], s[0:1], 0x18
	s_mov_b32 s20, 0x372fe950
	s_and_b32 s26, s25, 0x7ffffffe
	s_mov_b64 s[18:19], 0
	s_mov_b32 s21, 0x3fe3c6ef
	s_waitcnt lgkmcnt(0)
	v_lshl_add_u64 v[6:7], v[0:1], 3, s[16:17]
	global_load_dwordx2 v[8:9], v[6:7], off
	v_mov_b32_e32 v6, 0
	v_mov_b32_e32 v1, 2
	;; [unrolled: 1-line block ×3, first 2 shown]
	s_branch .LBB90_5
.LBB90_3:                               ;   in Loop: Header=BB90_5 Depth=1
	s_or_b64 exec, exec, s[22:23]
	v_fma_f64 v[18:19], -v[8:9], v[20:21], v[12:13]
	v_mov_b32_e32 v7, s24
.LBB90_4:                               ;   in Loop: Header=BB90_5 Depth=1
	s_or_b64 exec, exec, s[2:3]
	v_add_u32_e32 v6, v7, v6
	v_cmp_le_i32_e32 vcc, s25, v6
	s_or_b64 s[18:19], vcc, s[18:19]
	v_mov_b64_e32 v[8:9], v[18:19]
	s_andn2_b64 exec, exec, s[18:19]
	s_cbranch_execz .LBB90_18
.LBB90_5:                               ; =>This Inner Loop Header: Depth=1
	v_add_u32_e32 v16, v6, v0
	v_ashrrev_i32_e32 v17, 31, v16
	v_lshl_add_u64 v[10:11], v[16:17], 3, s[4:5]
	global_load_dwordx2 v[14:15], v[10:11], off
	v_cmp_gt_u32_e64 s[0:1], s24, v6
	v_mov_b64_e32 v[12:13], 0
	v_mov_b64_e32 v[10:11], 0
	s_and_saveexec_b64 s[2:3], s[0:1]
	s_cbranch_execnz .LBB90_16
; %bb.6:                                ;   in Loop: Header=BB90_5 Depth=1
	s_or_b64 exec, exec, s[2:3]
	s_and_saveexec_b64 s[2:3], s[0:1]
	s_cbranch_execnz .LBB90_17
.LBB90_7:                               ;   in Loop: Header=BB90_5 Depth=1
	s_or_b64 exec, exec, s[2:3]
	v_mov_b64_e32 v[18:19], 0
	s_and_saveexec_b64 s[2:3], s[0:1]
	s_cbranch_execz .LBB90_9
.LBB90_8:                               ;   in Loop: Header=BB90_5 Depth=1
	v_add_u32_e32 v18, v2, v6
	v_ashrrev_i32_e32 v19, 31, v18
	v_lshl_add_u64 v[18:19], v[18:19], 3, s[4:5]
	global_load_dwordx2 v[18:19], v[18:19], off
.LBB90_9:                               ;   in Loop: Header=BB90_5 Depth=1
	s_or_b64 exec, exec, s[2:3]
	s_waitcnt vmcnt(0)
	v_xor_b32_e32 v7, 0x80000000, v11
	v_cmp_gt_f64_e32 vcc, 0, v[10:11]
	v_mov_b32_e32 v20, v10
	v_mov_b32_e32 v22, v12
	v_cndmask_b32_e32 v21, v11, v7, vcc
	v_cmp_ngt_f64_e32 vcc, 0, v[20:21]
	v_xor_b32_e32 v7, 0x80000000, v13
	v_cmp_ne_u32_e64 s[2:3], s24, v6
	v_cndmask_b32_e32 v21, 0, v21, vcc
	v_cndmask_b32_e32 v20, 0, v10, vcc
	v_cmp_gt_f64_e32 vcc, 0, v[12:13]
	s_nop 1
	v_cndmask_b32_e32 v23, v13, v7, vcc
	v_cmp_lt_f64_e32 vcc, v[22:23], v[20:21]
	v_xor_b32_e32 v7, 0x80000000, v15
	v_mov_b32_e32 v22, v14
	v_cndmask_b32_e32 v21, v23, v21, vcc
	v_cndmask_b32_e32 v20, v12, v20, vcc
	v_cmp_gt_f64_e32 vcc, 0, v[14:15]
	s_nop 1
	v_cndmask_b32_e32 v23, v15, v7, vcc
	v_cmp_lt_f64_e32 vcc, v[22:23], v[20:21]
	v_xor_b32_e32 v7, 0x80000000, v19
	v_mov_b32_e32 v22, v18
	;; [unrolled: 8-line block ×3, first 2 shown]
	v_cndmask_b32_e32 v21, v23, v21, vcc
	v_cndmask_b32_e32 v20, v18, v20, vcc
	v_cmp_gt_f64_e32 vcc, 0, v[8:9]
	s_nop 1
	v_cndmask_b32_e32 v23, v9, v7, vcc
	v_mul_f64 v[22:23], v[22:23], v[20:21]
	v_mul_f64 v[20:21], v[14:15], v[10:11]
	v_xor_b32_e32 v7, 0x80000000, v21
	v_cmp_gt_f64_e32 vcc, 0, v[20:21]
	v_mov_b32_e32 v24, v20
	s_nop 0
	v_cndmask_b32_e32 v25, v21, v7, vcc
	v_mul_f64 v[24:25], v[24:25], s[20:21]
	v_cmp_nge_f64_e32 vcc, v[22:23], v[24:25]
	s_and_b64 s[2:3], s[2:3], vcc
	s_and_saveexec_b64 s[22:23], s[2:3]
	s_xor_b64 s[2:3], exec, s[22:23]
	s_cbranch_execz .LBB90_13
; %bb.10:                               ;   in Loop: Header=BB90_5 Depth=1
	v_add_u32_e32 v22, v2, v6
	v_ashrrev_i32_e32 v23, 31, v22
	v_lshlrev_b64 v[28:29], 3, v[22:23]
	v_ashrrev_i32_e32 v7, 31, v6
	v_lshl_add_u64 v[26:27], s[6:7], 0, v[28:29]
	v_lshl_add_u64 v[36:37], v[6:7], 3, v[4:5]
	global_load_dwordx2 v[30:31], v[26:27], off
	v_lshlrev_b64 v[38:39], 3, v[16:17]
	v_lshl_add_u64 v[28:29], s[8:9], 0, v[28:29]
	global_load_dwordx2 v[24:25], v[36:37], off
	global_load_dwordx2 v[32:33], v[28:29], off
	v_lshl_add_u64 v[40:41], s[8:9], 0, v[38:39]
	global_load_dwordx2 v[34:35], v[40:41], off
	v_fma_f64 v[20:21], v[8:9], v[12:13], -v[20:21]
	v_lshl_add_u64 v[44:45], v[16:17], 2, s[12:13]
	v_div_scale_f64 v[16:17], s[22:23], v[20:21], v[20:21], 1.0
	v_rcp_f64_e32 v[46:47], v[16:17]
	v_div_scale_f64 v[48:49], vcc, 1.0, v[20:21], 1.0
	v_mul_f64 v[42:43], v[18:19], -v[14:15]
	v_fma_f64 v[50:51], -v[16:17], v[46:47], 1.0
	v_fmac_f64_e32 v[46:47], v[46:47], v[50:51]
	v_fma_f64 v[50:51], -v[16:17], v[46:47], 1.0
	v_fmac_f64_e32 v[46:47], v[46:47], v[50:51]
	v_mul_f64 v[50:51], v[48:49], v[46:47]
	v_fma_f64 v[16:17], -v[16:17], v[50:51], v[48:49]
	v_div_fmas_f64 v[16:17], v[16:17], v[46:47], v[50:51]
	v_div_fixup_f64 v[16:17], v[16:17], v[20:21], 1.0
	v_lshl_add_u64 v[38:39], s[10:11], 0, v[38:39]
	v_mul_f64 v[20:21], v[16:17], v[42:43]
	global_store_dwordx2 v[38:39], v[20:21], off
	s_waitcnt vmcnt(4)
	v_mul_f64 v[20:21], v[14:15], v[30:31]
	s_waitcnt vmcnt(3)
	v_fma_f64 v[20:21], v[12:13], v[24:25], -v[20:21]
	s_waitcnt vmcnt(2)
	v_mul_f64 v[14:15], v[14:15], v[32:33]
	s_waitcnt vmcnt(1)
	v_fma_f64 v[12:13], v[12:13], v[34:35], -v[14:15]
	v_mul_f64 v[14:15], v[16:17], v[20:21]
	v_mul_f64 v[12:13], v[16:17], v[12:13]
	global_store_dwordx2 v[36:37], v[14:15], off
	global_store_dwordx2 v[40:41], v[12:13], off
	global_store_dword v[44:45], v1, off
	s_and_saveexec_b64 s[22:23], s[0:1]
	s_cbranch_execz .LBB90_12
; %bb.11:                               ;   in Loop: Header=BB90_5 Depth=1
	v_mul_f64 v[12:13], v[10:11], v[24:25]
	v_mul_f64 v[10:11], v[10:11], v[34:35]
	v_fma_f64 v[10:11], v[8:9], v[32:33], -v[10:11]
	v_fma_f64 v[12:13], v[8:9], v[30:31], -v[12:13]
	v_mul_f64 v[10:11], v[16:17], v[10:11]
	v_mul_f64 v[8:9], v[8:9], v[18:19]
	global_store_dwordx2 v[28:29], v[10:11], off
	v_mul_f64 v[8:9], v[16:17], v[8:9]
	v_lshl_add_u64 v[10:11], v[22:23], 3, s[10:11]
	v_mul_f64 v[12:13], v[16:17], v[12:13]
	global_store_dwordx2 v[10:11], v[8:9], off
	v_lshl_add_u64 v[8:9], v[22:23], 2, s[12:13]
	global_store_dwordx2 v[26:27], v[12:13], off
	global_store_dword v[8:9], v1, off
.LBB90_12:                              ;   in Loop: Header=BB90_5 Depth=1
	s_or_b64 exec, exec, s[22:23]
                                        ; implicit-def: $vgpr20_vgpr21
                                        ; implicit-def: $vgpr12_vgpr13
                                        ; implicit-def: $vgpr8_vgpr9
                                        ; implicit-def: $vgpr14_vgpr15
                                        ; implicit-def: $vgpr16_vgpr17
                                        ; implicit-def: $vgpr10_vgpr11
.LBB90_13:                              ;   in Loop: Header=BB90_5 Depth=1
	s_or_saveexec_b64 s[2:3], s[2:3]
	v_mov_b64_e32 v[18:19], 0
	v_mov_b32_e32 v7, s26
	s_xor_b64 exec, exec, s[2:3]
	s_cbranch_execz .LBB90_4
; %bb.14:                               ;   in Loop: Header=BB90_5 Depth=1
	v_ashrrev_i32_e32 v7, 31, v6
	v_lshl_add_u64 v[22:23], v[6:7], 3, v[4:5]
	v_lshlrev_b64 v[24:25], 3, v[16:17]
	global_load_dwordx2 v[18:19], v[22:23], off
	v_lshl_add_u64 v[26:27], s[8:9], 0, v[24:25]
	global_load_dwordx2 v[28:29], v[26:27], off
	v_div_scale_f64 v[30:31], s[22:23], v[8:9], v[8:9], 1.0
	v_rcp_f64_e32 v[32:33], v[30:31]
	v_div_scale_f64 v[34:35], vcc, 1.0, v[8:9], 1.0
	v_lshl_add_u64 v[24:25], s[10:11], 0, v[24:25]
	v_fma_f64 v[36:37], -v[30:31], v[32:33], 1.0
	v_fmac_f64_e32 v[32:33], v[32:33], v[36:37]
	v_fma_f64 v[36:37], -v[30:31], v[32:33], 1.0
	v_fmac_f64_e32 v[32:33], v[32:33], v[36:37]
	v_mul_f64 v[36:37], v[34:35], v[32:33]
	v_fma_f64 v[30:31], -v[30:31], v[36:37], v[34:35]
	v_div_fmas_f64 v[30:31], v[30:31], v[32:33], v[36:37]
	v_div_fixup_f64 v[8:9], v[30:31], v[8:9], 1.0
	v_mul_f64 v[14:15], v[8:9], v[14:15]
	global_store_dwordx2 v[24:25], v[14:15], off
	v_lshl_add_u64 v[16:17], v[16:17], 2, s[12:13]
	s_waitcnt vmcnt(2)
	v_mul_f64 v[14:15], v[8:9], v[18:19]
	s_waitcnt vmcnt(1)
	v_mul_f64 v[24:25], v[8:9], v[28:29]
	global_store_dwordx2 v[22:23], v[14:15], off
	global_store_dwordx2 v[26:27], v[24:25], off
	global_store_dword v[16:17], v3, off
	s_and_saveexec_b64 s[22:23], s[0:1]
	s_cbranch_execz .LBB90_3
; %bb.15:                               ;   in Loop: Header=BB90_5 Depth=1
	v_add_u32_e32 v14, v2, v6
	v_ashrrev_i32_e32 v15, 31, v14
	v_lshl_add_u64 v[14:15], v[14:15], 3, s[6:7]
	global_load_dwordx2 v[16:17], v[14:15], off
	v_mul_f64 v[10:11], v[10:11], v[8:9]
	s_waitcnt vmcnt(0)
	v_fma_f64 v[10:11], -v[10:11], v[18:19], v[16:17]
	global_store_dwordx2 v[14:15], v[10:11], off
	s_branch .LBB90_3
.LBB90_16:                              ;   in Loop: Header=BB90_5 Depth=1
	v_add_u32_e32 v10, v2, v6
	v_ashrrev_i32_e32 v11, 31, v10
	v_lshl_add_u64 v[10:11], v[10:11], 3, s[14:15]
	global_load_dwordx2 v[10:11], v[10:11], off
	s_or_b64 exec, exec, s[2:3]
	s_and_saveexec_b64 s[2:3], s[0:1]
	s_cbranch_execz .LBB90_7
.LBB90_17:                              ;   in Loop: Header=BB90_5 Depth=1
	v_add_u32_e32 v12, v2, v6
	v_ashrrev_i32_e32 v13, 31, v12
	v_lshl_add_u64 v[12:13], v[12:13], 3, s[16:17]
	global_load_dwordx2 v[12:13], v[12:13], off
	s_or_b64 exec, exec, s[2:3]
	v_mov_b64_e32 v[18:19], 0
	s_and_saveexec_b64 s[2:3], s[0:1]
	s_cbranch_execnz .LBB90_8
	s_branch .LBB90_9
.LBB90_18:
	s_or_b64 exec, exec, s[18:19]
.LBB90_19:
	v_subrev_u32_e32 v1, s24, v6
	v_add_u32_e32 v6, v1, v0
	v_ashrrev_i32_e32 v7, 31, v6
	s_waitcnt lgkmcnt(0)
	v_lshl_add_u64 v[6:7], v[6:7], 2, s[12:13]
	buffer_wbl2 sc1
	s_waitcnt vmcnt(0)
	buffer_inv sc1
	global_load_dword v3, v[6:7], off
	s_waitcnt vmcnt(0)
	v_mul_lo_u32 v3, v3, s24
	v_sub_u32_e32 v6, v1, v3
	v_cmp_lt_i32_e32 vcc, -1, v6
	s_and_b64 exec, exec, vcc
	s_cbranch_execz .LBB90_26
; %bb.20:
	v_subrev_u32_e32 v1, s24, v0
	s_and_b32 s4, s25, -2
	s_mov_b64 s[0:1], 0
	s_branch .LBB90_22
.LBB90_21:                              ;   in Loop: Header=BB90_22 Depth=1
	s_or_b64 exec, exec, s[2:3]
	v_sub_u32_e32 v6, v6, v3
	v_cmp_gt_i32_e32 vcc, 0, v6
	s_or_b64 s[0:1], vcc, s[0:1]
	s_andn2_b64 exec, exec, s[0:1]
	s_cbranch_execz .LBB90_26
.LBB90_22:                              ; =>This Inner Loop Header: Depth=1
	v_add_u32_e32 v10, v6, v0
	v_ashrrev_i32_e32 v11, 31, v10
	s_waitcnt vmcnt(0)
	v_lshl_add_u64 v[8:9], v[10:11], 2, s[12:13]
	global_load_dword v3, v[8:9], off
	v_lshl_add_u64 v[8:9], v[10:11], 3, s[10:11]
	global_load_dwordx2 v[8:9], v[8:9], off
	s_waitcnt vmcnt(1)
	v_cmp_ne_u32_e32 vcc, 1, v3
	s_and_saveexec_b64 s[2:3], vcc
	s_xor_b64 s[2:3], exec, s[2:3]
	s_cbranch_execz .LBB90_24
; %bb.23:                               ;   in Loop: Header=BB90_22 Depth=1
	v_add_u32_e32 v12, v2, v6
	v_ashrrev_i32_e32 v13, 31, v12
	v_lshlrev_b64 v[12:13], 3, v[12:13]
	v_lshl_add_u64 v[14:15], s[6:7], 0, v[12:13]
	v_ashrrev_i32_e32 v7, 31, v6
	v_lshl_add_u64 v[16:17], v[6:7], 3, v[4:5]
	global_load_dwordx2 v[18:19], v[14:15], off
	global_load_dwordx2 v[20:21], v[16:17], off
	v_lshl_add_u64 v[12:13], s[8:9], 0, v[12:13]
	v_lshl_add_u64 v[10:11], v[10:11], 3, s[8:9]
	global_load_dwordx2 v[22:23], v[12:13], off
	global_load_dwordx2 v[24:25], v[10:11], off
	v_add_u32_e32 v26, v1, v6
	v_ashrrev_i32_e32 v27, 31, v26
	v_lshlrev_b64 v[26:27], 3, v[26:27]
	v_lshl_add_u64 v[28:29], s[10:11], 0, v[26:27]
	global_load_dwordx2 v[28:29], v[28:29], off
	v_lshl_add_u64 v[30:31], s[6:7], 0, v[26:27]
	v_lshl_add_u64 v[26:27], s[8:9], 0, v[26:27]
	s_waitcnt vmcnt(3)
	v_fma_f64 v[18:19], -v[8:9], v[18:19], v[20:21]
	s_waitcnt vmcnt(1)
	v_fma_f64 v[8:9], -v[8:9], v[22:23], v[24:25]
	global_store_dwordx2 v[16:17], v[18:19], off
	global_store_dwordx2 v[10:11], v[8:9], off
	global_load_dwordx2 v[8:9], v[14:15], off
	s_nop 0
	global_load_dwordx2 v[10:11], v[30:31], off
	global_load_dwordx2 v[16:17], v[12:13], off
	global_load_dwordx2 v[18:19], v[26:27], off
	s_waitcnt vmcnt(2)
	v_fma_f64 v[8:9], -v[28:29], v[8:9], v[10:11]
	s_waitcnt vmcnt(0)
	v_fma_f64 v[10:11], -v[28:29], v[16:17], v[18:19]
	global_store_dwordx2 v[30:31], v[8:9], off
	global_store_dwordx2 v[26:27], v[10:11], off
                                        ; implicit-def: $vgpr8_vgpr9
                                        ; implicit-def: $vgpr10_vgpr11
.LBB90_24:                              ;   in Loop: Header=BB90_22 Depth=1
	s_or_saveexec_b64 s[2:3], s[2:3]
	v_mov_b32_e32 v3, s4
	s_xor_b64 exec, exec, s[2:3]
	s_cbranch_execz .LBB90_21
; %bb.25:                               ;   in Loop: Header=BB90_22 Depth=1
	v_add_u32_e32 v12, v2, v6
	v_ashrrev_i32_e32 v13, 31, v12
	v_lshlrev_b64 v[12:13], 3, v[12:13]
	v_lshl_add_u64 v[14:15], s[6:7], 0, v[12:13]
	v_ashrrev_i32_e32 v7, 31, v6
	v_lshl_add_u64 v[16:17], v[6:7], 3, v[4:5]
	global_load_dwordx2 v[18:19], v[14:15], off
	global_load_dwordx2 v[20:21], v[16:17], off
	v_lshl_add_u64 v[12:13], s[8:9], 0, v[12:13]
	v_lshl_add_u64 v[10:11], v[10:11], 3, s[8:9]
	global_load_dwordx2 v[14:15], v[12:13], off
	global_load_dwordx2 v[22:23], v[10:11], off
	v_mov_b32_e32 v3, s24
	s_waitcnt vmcnt(2)
	v_fma_f64 v[12:13], -v[8:9], v[18:19], v[20:21]
	s_waitcnt vmcnt(0)
	v_fma_f64 v[8:9], -v[8:9], v[14:15], v[22:23]
	global_store_dwordx2 v[16:17], v[12:13], off
	global_store_dwordx2 v[10:11], v[8:9], off
	s_branch .LBB90_21
.LBB90_26:
	s_endpgm
	.section	.rodata,"a",@progbits
	.p2align	6, 0x0
	.amdhsa_kernel _ZN9rocsparseL18gtsv_LBM_wv_kernelILj256ELj2EdEEviiiPKT1_S3_S3_PS1_S4_S4_Pi
		.amdhsa_group_segment_fixed_size 0
		.amdhsa_private_segment_fixed_size 0
		.amdhsa_kernarg_size 72
		.amdhsa_user_sgpr_count 2
		.amdhsa_user_sgpr_dispatch_ptr 0
		.amdhsa_user_sgpr_queue_ptr 0
		.amdhsa_user_sgpr_kernarg_segment_ptr 1
		.amdhsa_user_sgpr_dispatch_id 0
		.amdhsa_user_sgpr_kernarg_preload_length 0
		.amdhsa_user_sgpr_kernarg_preload_offset 0
		.amdhsa_user_sgpr_private_segment_size 0
		.amdhsa_uses_dynamic_stack 0
		.amdhsa_enable_private_segment 0
		.amdhsa_system_sgpr_workgroup_id_x 1
		.amdhsa_system_sgpr_workgroup_id_y 0
		.amdhsa_system_sgpr_workgroup_id_z 0
		.amdhsa_system_sgpr_workgroup_info 0
		.amdhsa_system_vgpr_workitem_id 0
		.amdhsa_next_free_vgpr 52
		.amdhsa_next_free_sgpr 27
		.amdhsa_accum_offset 52
		.amdhsa_reserve_vcc 1
		.amdhsa_float_round_mode_32 0
		.amdhsa_float_round_mode_16_64 0
		.amdhsa_float_denorm_mode_32 3
		.amdhsa_float_denorm_mode_16_64 3
		.amdhsa_dx10_clamp 1
		.amdhsa_ieee_mode 1
		.amdhsa_fp16_overflow 0
		.amdhsa_tg_split 0
		.amdhsa_exception_fp_ieee_invalid_op 0
		.amdhsa_exception_fp_denorm_src 0
		.amdhsa_exception_fp_ieee_div_zero 0
		.amdhsa_exception_fp_ieee_overflow 0
		.amdhsa_exception_fp_ieee_underflow 0
		.amdhsa_exception_fp_ieee_inexact 0
		.amdhsa_exception_int_div_zero 0
	.end_amdhsa_kernel
	.section	.text._ZN9rocsparseL18gtsv_LBM_wv_kernelILj256ELj2EdEEviiiPKT1_S3_S3_PS1_S4_S4_Pi,"axG",@progbits,_ZN9rocsparseL18gtsv_LBM_wv_kernelILj256ELj2EdEEviiiPKT1_S3_S3_PS1_S4_S4_Pi,comdat
.Lfunc_end90:
	.size	_ZN9rocsparseL18gtsv_LBM_wv_kernelILj256ELj2EdEEviiiPKT1_S3_S3_PS1_S4_S4_Pi, .Lfunc_end90-_ZN9rocsparseL18gtsv_LBM_wv_kernelILj256ELj2EdEEviiiPKT1_S3_S3_PS1_S4_S4_Pi
                                        ; -- End function
	.set _ZN9rocsparseL18gtsv_LBM_wv_kernelILj256ELj2EdEEviiiPKT1_S3_S3_PS1_S4_S4_Pi.num_vgpr, 52
	.set _ZN9rocsparseL18gtsv_LBM_wv_kernelILj256ELj2EdEEviiiPKT1_S3_S3_PS1_S4_S4_Pi.num_agpr, 0
	.set _ZN9rocsparseL18gtsv_LBM_wv_kernelILj256ELj2EdEEviiiPKT1_S3_S3_PS1_S4_S4_Pi.numbered_sgpr, 27
	.set _ZN9rocsparseL18gtsv_LBM_wv_kernelILj256ELj2EdEEviiiPKT1_S3_S3_PS1_S4_S4_Pi.num_named_barrier, 0
	.set _ZN9rocsparseL18gtsv_LBM_wv_kernelILj256ELj2EdEEviiiPKT1_S3_S3_PS1_S4_S4_Pi.private_seg_size, 0
	.set _ZN9rocsparseL18gtsv_LBM_wv_kernelILj256ELj2EdEEviiiPKT1_S3_S3_PS1_S4_S4_Pi.uses_vcc, 1
	.set _ZN9rocsparseL18gtsv_LBM_wv_kernelILj256ELj2EdEEviiiPKT1_S3_S3_PS1_S4_S4_Pi.uses_flat_scratch, 0
	.set _ZN9rocsparseL18gtsv_LBM_wv_kernelILj256ELj2EdEEviiiPKT1_S3_S3_PS1_S4_S4_Pi.has_dyn_sized_stack, 0
	.set _ZN9rocsparseL18gtsv_LBM_wv_kernelILj256ELj2EdEEviiiPKT1_S3_S3_PS1_S4_S4_Pi.has_recursion, 0
	.set _ZN9rocsparseL18gtsv_LBM_wv_kernelILj256ELj2EdEEviiiPKT1_S3_S3_PS1_S4_S4_Pi.has_indirect_call, 0
	.section	.AMDGPU.csdata,"",@progbits
; Kernel info:
; codeLenInByte = 2020
; TotalNumSgprs: 33
; NumVgprs: 52
; NumAgprs: 0
; TotalNumVgprs: 52
; ScratchSize: 0
; MemoryBound: 1
; FloatMode: 240
; IeeeMode: 1
; LDSByteSize: 0 bytes/workgroup (compile time only)
; SGPRBlocks: 4
; VGPRBlocks: 6
; NumSGPRsForWavesPerEU: 33
; NumVGPRsForWavesPerEU: 52
; AccumOffset: 52
; Occupancy: 8
; WaveLimiterHint : 0
; COMPUTE_PGM_RSRC2:SCRATCH_EN: 0
; COMPUTE_PGM_RSRC2:USER_SGPR: 2
; COMPUTE_PGM_RSRC2:TRAP_HANDLER: 0
; COMPUTE_PGM_RSRC2:TGID_X_EN: 1
; COMPUTE_PGM_RSRC2:TGID_Y_EN: 0
; COMPUTE_PGM_RSRC2:TGID_Z_EN: 0
; COMPUTE_PGM_RSRC2:TIDIG_COMP_CNT: 0
; COMPUTE_PGM_RSRC3_GFX90A:ACCUM_OFFSET: 12
; COMPUTE_PGM_RSRC3_GFX90A:TG_SPLIT: 0
	.section	.text._ZN9rocsparseL19gtsv_LBM_rhs_kernelILj256ELj2ELj8EdEEviiiPKT2_S3_S3_PS1_S3_PKi,"axG",@progbits,_ZN9rocsparseL19gtsv_LBM_rhs_kernelILj256ELj2ELj8EdEEviiiPKT2_S3_S3_PS1_S3_PKi,comdat
	.globl	_ZN9rocsparseL19gtsv_LBM_rhs_kernelILj256ELj2ELj8EdEEviiiPKT2_S3_S3_PS1_S3_PKi ; -- Begin function _ZN9rocsparseL19gtsv_LBM_rhs_kernelILj256ELj2ELj8EdEEviiiPKT2_S3_S3_PS1_S3_PKi
	.p2align	8
	.type	_ZN9rocsparseL19gtsv_LBM_rhs_kernelILj256ELj2ELj8EdEEviiiPKT2_S3_S3_PS1_S3_PKi,@function
_ZN9rocsparseL19gtsv_LBM_rhs_kernelILj256ELj2ELj8EdEEviiiPKT2_S3_S3_PS1_S3_PKi: ; @_ZN9rocsparseL19gtsv_LBM_rhs_kernelILj256ELj2ELj8EdEEviiiPKT2_S3_S3_PS1_S3_PKi
; %bb.0:
	s_load_dword s21, s[0:1], 0x0
	v_lshl_or_b32 v0, s2, 8, v0
	s_waitcnt lgkmcnt(0)
	s_lshr_b32 s20, s21, 1
	v_cmp_gt_i32_e32 vcc, s20, v0
	s_and_saveexec_b64 s[4:5], vcc
	s_cbranch_execz .LBB91_23
; %bb.1:
	s_load_dwordx4 s[4:7], s[0:1], 0x28
	s_load_dwordx2 s[12:13], s[0:1], 0x38
	s_cmp_lt_i32 s21, 1
	v_add_u32_e32 v50, s20, v0
	s_mul_i32 s22, s3, s21
	s_cbranch_scc1 .LBB91_15
; %bb.2:
	s_load_dwordx4 s[8:11], s[0:1], 0x10
	s_load_dwordx2 s[14:15], s[0:1], 0x20
	v_ashrrev_i32_e32 v1, 31, v0
	s_lshl_b32 s23, s22, 3
	s_add_i32 s24, s23, s21
	s_waitcnt lgkmcnt(0)
	v_lshl_add_u64 v[2:3], v[0:1], 3, s[10:11]
	global_load_dwordx2 v[8:9], v[2:3], off
	s_add_i32 s25, s24, s21
	s_add_i32 s26, s25, s21
	;; [unrolled: 1-line block ×6, first 2 shown]
	s_and_b32 s31, s21, 0x7ffffffe
	v_mov_b32_e32 v3, 0
	s_mov_b64 s[16:17], 0
	v_mov_b32_e32 v1, 0
	s_branch .LBB91_5
.LBB91_3:                               ;   in Loop: Header=BB91_5 Depth=1
	s_or_b64 exec, exec, s[18:19]
	v_fma_f64 v[14:15], -v[8:9], v[28:29], v[6:7]
	v_mov_b32_e32 v2, s20
.LBB91_4:                               ;   in Loop: Header=BB91_5 Depth=1
	s_or_b64 exec, exec, s[2:3]
	v_add_u32_e32 v1, v2, v1
	v_cmp_le_i32_e32 vcc, s21, v1
	s_or_b64 s[16:17], vcc, s[16:17]
	v_mov_b64_e32 v[8:9], v[14:15]
	s_andn2_b64 exec, exec, s[16:17]
	s_cbranch_execz .LBB91_14
.LBB91_5:                               ; =>This Inner Loop Header: Depth=1
	v_add_u32_e32 v22, v1, v0
	v_ashrrev_i32_e32 v23, 31, v22
	v_lshl_add_u64 v[4:5], v[22:23], 3, s[14:15]
	global_load_dwordx2 v[14:15], v[4:5], off
	v_cmp_gt_u32_e64 s[0:1], s20, v1
	v_mov_b64_e32 v[6:7], 0
	v_mov_b64_e32 v[4:5], 0
	s_and_saveexec_b64 s[2:3], s[0:1]
	s_cbranch_execz .LBB91_7
; %bb.6:                                ;   in Loop: Header=BB91_5 Depth=1
	v_add_u32_e32 v4, v50, v1
	v_ashrrev_i32_e32 v5, 31, v4
	v_lshl_add_u64 v[4:5], v[4:5], 3, s[8:9]
	global_load_dwordx2 v[4:5], v[4:5], off
.LBB91_7:                               ;   in Loop: Header=BB91_5 Depth=1
	s_or_b64 exec, exec, s[2:3]
	s_and_saveexec_b64 s[2:3], s[0:1]
	s_cbranch_execz .LBB91_9
; %bb.8:                                ;   in Loop: Header=BB91_5 Depth=1
	v_add_u32_e32 v6, v50, v1
	v_ashrrev_i32_e32 v7, 31, v6
	v_lshl_add_u64 v[6:7], v[6:7], 3, s[10:11]
	global_load_dwordx2 v[6:7], v[6:7], off
.LBB91_9:                               ;   in Loop: Header=BB91_5 Depth=1
	s_or_b64 exec, exec, s[2:3]
	v_add_u32_e32 v2, s23, v22
	v_lshl_add_u64 v[24:25], v[2:3], 3, s[4:5]
	v_add_u32_e32 v2, s24, v22
	v_lshl_add_u64 v[10:11], v[22:23], 2, s[12:13]
	v_lshl_add_u64 v[26:27], v[2:3], 3, s[4:5]
	v_add_u32_e32 v2, s25, v22
	global_load_dword v28, v[10:11], off
	v_lshl_add_u64 v[10:11], v[2:3], 3, s[4:5]
	v_add_u32_e32 v2, s26, v22
	v_lshl_add_u64 v[12:13], v[2:3], 3, s[4:5]
	v_add_u32_e32 v2, s27, v22
	;; [unrolled: 2-line block ×5, first 2 shown]
	global_load_dwordx2 v[42:43], v[24:25], off
	global_load_dwordx2 v[40:41], v[26:27], off
	;; [unrolled: 1-line block ×4, first 2 shown]
	v_lshl_add_u64 v[22:23], v[2:3], 3, s[4:5]
	global_load_dwordx2 v[44:45], v[16:17], off
	global_load_dwordx2 v[30:31], v[18:19], off
	;; [unrolled: 1-line block ×4, first 2 shown]
	v_cmp_ne_u32_e64 s[2:3], s20, v1
	s_waitcnt vmcnt(8)
	v_cmp_ne_u32_e32 vcc, 1, v28
	s_and_b64 s[2:3], s[2:3], vcc
	v_mul_f64 v[28:29], v[14:15], v[4:5]
	s_and_saveexec_b64 s[18:19], s[2:3]
	s_xor_b64 s[2:3], exec, s[18:19]
	s_cbranch_execz .LBB91_11
; %bb.10:                               ;   in Loop: Header=BB91_5 Depth=1
	v_add_u32_e32 v51, v50, v1
	v_add_u32_e32 v2, s23, v51
	v_fma_f64 v[28:29], v[8:9], v[6:7], -v[28:29]
	v_lshl_add_u64 v[46:47], v[2:3], 3, s[4:5]
	v_div_scale_f64 v[52:53], s[18:19], v[28:29], v[28:29], 1.0
	global_load_dwordx2 v[48:49], v[46:47], off
	v_rcp_f64_e32 v[60:61], v[52:53]
	v_add_u32_e32 v2, s24, v51
	v_lshl_add_u64 v[54:55], v[2:3], 3, s[4:5]
	global_load_dwordx2 v[56:57], v[54:55], off
	v_fma_f64 v[66:67], -v[52:53], v[60:61], 1.0
	v_add_u32_e32 v2, s25, v51
	v_fmac_f64_e32 v[60:61], v[60:61], v[66:67]
	v_lshl_add_u64 v[62:63], v[2:3], 3, s[4:5]
	v_add_u32_e32 v2, s26, v51
	v_fma_f64 v[76:77], -v[52:53], v[60:61], 1.0
	v_div_scale_f64 v[58:59], vcc, 1.0, v[28:29], 1.0
	v_lshl_add_u64 v[64:65], v[2:3], 3, s[4:5]
	v_add_u32_e32 v2, s27, v51
	v_fmac_f64_e32 v[60:61], v[60:61], v[76:77]
	v_lshl_add_u64 v[68:69], v[2:3], 3, s[4:5]
	v_add_u32_e32 v2, s28, v51
	global_load_dwordx2 v[70:71], v[62:63], off
	global_load_dwordx2 v[72:73], v[64:65], off
	v_mul_f64 v[76:77], v[58:59], v[60:61]
	v_lshl_add_u64 v[66:67], v[2:3], 3, s[4:5]
	v_add_u32_e32 v2, s29, v51
	v_fma_f64 v[52:53], -v[52:53], v[76:77], v[58:59]
	global_load_dwordx2 v[58:59], v[68:69], off
	v_lshl_add_u64 v[74:75], v[2:3], 3, s[4:5]
	v_add_u32_e32 v2, s30, v51
	v_lshl_add_u64 v[78:79], v[2:3], 3, s[4:5]
	v_div_fmas_f64 v[52:53], v[52:53], v[60:61], v[76:77]
	global_load_dwordx2 v[60:61], v[66:67], off
	global_load_dwordx2 v[76:77], v[74:75], off
	;; [unrolled: 1-line block ×3, first 2 shown]
	v_div_fixup_f64 v[28:29], v[52:53], v[28:29], 1.0
	s_waitcnt vmcnt(15)
	v_mul_f64 v[42:43], v[28:29], v[42:43]
	s_waitcnt vmcnt(12)
	v_mul_f64 v[36:37], v[28:29], v[36:37]
	;; [unrolled: 2-line block ×6, first 2 shown]
	v_mul_f64 v[52:53], v[14:15], v[48:49]
	v_fma_f64 v[52:53], v[6:7], v[42:43], -v[52:53]
	global_store_dwordx2 v[24:25], v[52:53], off
	v_mul_f64 v[24:25], v[28:29], v[40:41]
	s_waitcnt vmcnt(7)
	v_mul_f64 v[40:41], v[28:29], v[56:57]
	v_mul_f64 v[52:53], v[14:15], v[40:41]
	v_fma_f64 v[52:53], v[6:7], v[24:25], -v[52:53]
	global_store_dwordx2 v[26:27], v[52:53], off
	v_mul_f64 v[26:27], v[28:29], v[38:39]
	v_mul_f64 v[38:39], v[28:29], v[44:45]
	;; [unrolled: 1-line block ×4, first 2 shown]
	v_fma_f64 v[42:43], v[8:9], v[48:49], -v[42:43]
	v_mul_f64 v[48:49], v[4:5], v[36:37]
	v_mul_f64 v[24:25], v[4:5], v[24:25]
	v_fma_f64 v[24:25], v[8:9], v[40:41], -v[24:25]
	s_waitcnt vmcnt(7)
	v_mul_f64 v[52:53], v[28:29], v[70:71]
	v_fma_f64 v[44:45], v[8:9], v[52:53], -v[44:45]
	v_mul_f64 v[52:53], v[14:15], v[52:53]
	s_waitcnt vmcnt(6)
	v_mul_f64 v[56:57], v[28:29], v[72:73]
	v_fma_f64 v[26:27], v[6:7], v[26:27], -v[52:53]
	v_mul_f64 v[52:53], v[14:15], v[56:57]
	s_waitcnt vmcnt(5)
	v_mul_f64 v[58:59], v[28:29], v[58:59]
	global_store_dwordx2 v[10:11], v[26:27], off
	v_fma_f64 v[10:11], v[6:7], v[36:37], -v[52:53]
	v_mul_f64 v[26:27], v[14:15], v[58:59]
	s_waitcnt vmcnt(5)
	v_mul_f64 v[36:37], v[28:29], v[60:61]
	global_store_dwordx2 v[12:13], v[10:11], off
	v_fma_f64 v[10:11], v[6:7], v[38:39], -v[26:27]
	s_waitcnt vmcnt(5)
	v_mul_f64 v[12:13], v[28:29], v[76:77]
	v_mul_f64 v[26:27], v[14:15], v[36:37]
	global_store_dwordx2 v[16:17], v[10:11], off
	s_waitcnt vmcnt(5)
	v_mul_f64 v[10:11], v[28:29], v[80:81]
	v_fma_f64 v[16:17], v[6:7], v[30:31], -v[26:27]
	v_mul_f64 v[26:27], v[14:15], v[12:13]
	v_mul_f64 v[14:15], v[14:15], v[10:11]
	;; [unrolled: 1-line block ×3, first 2 shown]
	global_store_dwordx2 v[18:19], v[16:17], off
	v_fma_f64 v[16:17], v[6:7], v[32:33], -v[26:27]
	v_fma_f64 v[6:7], v[6:7], v[34:35], -v[14:15]
	;; [unrolled: 1-line block ×4, first 2 shown]
	global_store_dwordx2 v[20:21], v[16:17], off
	global_store_dwordx2 v[22:23], v[6:7], off
	;; [unrolled: 1-line block ×7, first 2 shown]
	v_mul_f64 v[6:7], v[4:5], v[30:31]
	v_fma_f64 v[6:7], v[8:9], v[36:37], -v[6:7]
	global_store_dwordx2 v[66:67], v[6:7], off
	v_mul_f64 v[6:7], v[4:5], v[32:33]
	v_mul_f64 v[4:5], v[4:5], v[34:35]
	v_fma_f64 v[6:7], v[8:9], v[12:13], -v[6:7]
	v_fma_f64 v[4:5], v[8:9], v[10:11], -v[4:5]
	global_store_dwordx2 v[74:75], v[6:7], off
	global_store_dwordx2 v[78:79], v[4:5], off
                                        ; implicit-def: $vgpr8_vgpr9
                                        ; implicit-def: $vgpr4_vgpr5
                                        ; implicit-def: $vgpr6_vgpr7
                                        ; implicit-def: $vgpr28_vgpr29
                                        ; implicit-def: $vgpr24_vgpr25
                                        ; implicit-def: $vgpr42_vgpr43
                                        ; implicit-def: $vgpr26_vgpr27
                                        ; implicit-def: $vgpr40_vgpr41
                                        ; implicit-def: $vgpr10_vgpr11
                                        ; implicit-def: $vgpr38_vgpr39
                                        ; implicit-def: $vgpr12_vgpr13
                                        ; implicit-def: $vgpr36_vgpr37
                                        ; implicit-def: $vgpr16_vgpr17
                                        ; implicit-def: $vgpr44_vgpr45
                                        ; implicit-def: $vgpr18_vgpr19
                                        ; implicit-def: $vgpr30_vgpr31
                                        ; implicit-def: $vgpr20_vgpr21
                                        ; implicit-def: $vgpr32_vgpr33
                                        ; implicit-def: $vgpr22_vgpr23
                                        ; implicit-def: $vgpr34_vgpr35
.LBB91_11:                              ;   in Loop: Header=BB91_5 Depth=1
	s_or_saveexec_b64 s[2:3], s[2:3]
	v_mov_b64_e32 v[14:15], 0
	v_mov_b32_e32 v2, s31
	s_xor_b64 exec, exec, s[2:3]
	s_cbranch_execz .LBB91_4
; %bb.12:                               ;   in Loop: Header=BB91_5 Depth=1
	v_div_scale_f64 v[14:15], s[18:19], v[8:9], v[8:9], 1.0
	v_rcp_f64_e32 v[46:47], v[14:15]
	v_div_scale_f64 v[48:49], vcc, 1.0, v[8:9], 1.0
	v_fma_f64 v[52:53], -v[14:15], v[46:47], 1.0
	v_fmac_f64_e32 v[46:47], v[46:47], v[52:53]
	v_fma_f64 v[52:53], -v[14:15], v[46:47], 1.0
	v_fmac_f64_e32 v[46:47], v[46:47], v[52:53]
	v_mul_f64 v[52:53], v[48:49], v[46:47]
	v_fma_f64 v[14:15], -v[14:15], v[52:53], v[48:49]
	v_div_fmas_f64 v[14:15], v[14:15], v[46:47], v[52:53]
	v_div_fixup_f64 v[8:9], v[14:15], v[8:9], 1.0
	s_waitcnt vmcnt(7)
	v_mul_f64 v[48:49], v[8:9], v[42:43]
	s_waitcnt vmcnt(6)
	v_mul_f64 v[46:47], v[8:9], v[40:41]
	;; [unrolled: 2-line block ×8, first 2 shown]
	global_store_dwordx2 v[24:25], v[48:49], off
	global_store_dwordx2 v[26:27], v[46:47], off
	;; [unrolled: 1-line block ×8, first 2 shown]
	s_and_saveexec_b64 s[18:19], s[0:1]
	s_cbranch_execz .LBB91_3
; %bb.13:                               ;   in Loop: Header=BB91_5 Depth=1
	v_add_u32_e32 v24, v50, v1
	v_add_u32_e32 v2, s23, v24
	v_lshl_add_u64 v[10:11], v[2:3], 3, s[4:5]
	global_load_dwordx2 v[12:13], v[10:11], off
	v_add_u32_e32 v2, s24, v24
	v_lshl_add_u64 v[16:17], v[2:3], 3, s[4:5]
	v_add_u32_e32 v2, s25, v24
	global_load_dwordx2 v[18:19], v[16:17], off
	v_lshl_add_u64 v[20:21], v[2:3], 3, s[4:5]
	v_add_u32_e32 v2, s26, v24
	s_waitcnt vmcnt(1)
	v_fma_f64 v[12:13], -v[4:5], v[48:49], v[12:13]
	global_store_dwordx2 v[10:11], v[12:13], off
	global_load_dwordx2 v[10:11], v[20:21], off
	v_lshl_add_u64 v[12:13], v[2:3], 3, s[4:5]
	s_waitcnt vmcnt(2)
	v_fma_f64 v[18:19], -v[4:5], v[46:47], v[18:19]
	global_store_dwordx2 v[16:17], v[18:19], off
	v_add_u32_e32 v2, s27, v24
	global_load_dwordx2 v[16:17], v[12:13], off
	v_lshl_add_u64 v[22:23], v[2:3], 3, s[4:5]
	v_add_u32_e32 v2, s28, v24
	v_lshl_add_u64 v[18:19], v[2:3], 3, s[4:5]
	v_add_u32_e32 v2, s29, v24
	s_waitcnt vmcnt(2)
	v_fma_f64 v[10:11], -v[4:5], v[42:43], v[10:11]
	global_store_dwordx2 v[20:21], v[10:11], off
	global_load_dwordx2 v[10:11], v[22:23], off
	s_waitcnt vmcnt(2)
	v_fma_f64 v[16:17], -v[4:5], v[40:41], v[16:17]
	global_store_dwordx2 v[12:13], v[16:17], off
	v_lshl_add_u64 v[12:13], v[2:3], 3, s[4:5]
	v_add_u32_e32 v2, s30, v24
	s_waitcnt vmcnt(1)
	v_fma_f64 v[10:11], -v[4:5], v[38:39], v[10:11]
	global_store_dwordx2 v[22:23], v[10:11], off
	global_load_dwordx2 v[10:11], v[18:19], off
	s_waitcnt vmcnt(0)
	v_fma_f64 v[10:11], -v[4:5], v[36:37], v[10:11]
	global_store_dwordx2 v[18:19], v[10:11], off
	global_load_dwordx2 v[10:11], v[12:13], off
	s_waitcnt vmcnt(0)
	v_fma_f64 v[10:11], -v[4:5], v[30:31], v[10:11]
	global_store_dwordx2 v[12:13], v[10:11], off
	v_lshl_add_u64 v[10:11], v[2:3], 3, s[4:5]
	global_load_dwordx2 v[12:13], v[10:11], off
	s_waitcnt vmcnt(0)
	v_fma_f64 v[4:5], -v[4:5], v[14:15], v[12:13]
	global_store_dwordx2 v[10:11], v[4:5], off
	s_branch .LBB91_3
.LBB91_14:
	s_or_b64 exec, exec, s[16:17]
	s_branch .LBB91_16
.LBB91_15:
	v_mov_b32_e32 v1, 0
.LBB91_16:
	v_subrev_u32_e32 v1, s20, v1
	v_add_u32_e32 v2, v1, v0
	v_ashrrev_i32_e32 v3, 31, v2
	s_waitcnt lgkmcnt(0)
	v_lshl_add_u64 v[2:3], v[2:3], 2, s[12:13]
	buffer_wbl2 sc1
	s_waitcnt vmcnt(0)
	buffer_inv sc1
	global_load_dword v2, v[2:3], off
	s_waitcnt vmcnt(0)
	v_mul_lo_u32 v2, v2, s20
	v_sub_u32_e32 v1, v1, v2
	v_cmp_lt_i32_e32 vcc, -1, v1
	s_and_b64 exec, exec, vcc
	s_cbranch_execz .LBB91_23
; %bb.17:
	s_lshl_b32 s8, s22, 3
	s_add_i32 s9, s8, s21
	s_add_i32 s10, s9, s21
	s_add_i32 s11, s10, s21
	s_add_i32 s14, s11, s21
	s_add_i32 s15, s14, s21
	s_add_i32 s16, s15, s21
	s_add_i32 s17, s16, s21
	s_and_b32 s18, s21, -2
	s_mov_b64 s[0:1], 0
	v_mov_b32_e32 v3, 0
	s_branch .LBB91_19
.LBB91_18:                              ;   in Loop: Header=BB91_19 Depth=1
	s_or_b64 exec, exec, s[2:3]
	v_sub_u32_e32 v1, v1, v2
	v_cmp_gt_i32_e32 vcc, 0, v1
	s_or_b64 s[0:1], vcc, s[0:1]
	s_andn2_b64 exec, exec, s[0:1]
	s_cbranch_execz .LBB91_23
.LBB91_19:                              ; =>This Inner Loop Header: Depth=1
	v_add_u32_e32 v6, v1, v0
	v_ashrrev_i32_e32 v7, 31, v6
	s_waitcnt vmcnt(0)
	v_lshl_add_u64 v[4:5], v[6:7], 2, s[12:13]
	global_load_dword v2, v[4:5], off
	v_lshl_add_u64 v[4:5], v[6:7], 3, s[6:7]
	global_load_dwordx2 v[4:5], v[4:5], off
	s_waitcnt vmcnt(1)
	v_cmp_ne_u32_e32 vcc, 1, v2
	s_and_saveexec_b64 s[2:3], vcc
	s_xor_b64 s[2:3], exec, s[2:3]
	s_cbranch_execz .LBB91_21
; %bb.20:                               ;   in Loop: Header=BB91_19 Depth=1
	v_add_u32_e32 v7, v50, v1
	v_add_u32_e32 v2, s8, v7
	v_lshl_add_u64 v[8:9], v[2:3], 3, s[4:5]
	v_add_u32_e32 v2, s9, v7
	v_lshl_add_u64 v[10:11], v[2:3], 3, s[4:5]
	;; [unrolled: 2-line block ×9, first 2 shown]
	global_load_dwordx2 v[26:27], v[24:25], off
	global_load_dwordx2 v[28:29], v[8:9], off
	;; [unrolled: 1-line block ×9, first 2 shown]
	v_add_u32_e32 v2, s9, v6
	v_lshl_add_u64 v[8:9], v[2:3], 3, s[4:5]
	v_add_u32_e32 v2, s10, v6
	v_lshl_add_u64 v[12:13], v[2:3], 3, s[4:5]
	v_add_u32_e32 v2, s11, v6
	s_waitcnt vmcnt(7)
	v_fma_f64 v[10:11], -v[4:5], v[28:29], v[26:27]
	global_store_dwordx2 v[24:25], v[10:11], off
	global_load_dwordx2 v[10:11], v[8:9], off
	s_waitcnt vmcnt(0)
	v_fma_f64 v[10:11], -v[4:5], v[30:31], v[10:11]
	global_store_dwordx2 v[8:9], v[10:11], off
	global_load_dwordx2 v[8:9], v[12:13], off
	v_lshl_add_u64 v[10:11], v[2:3], 3, s[4:5]
	v_add_u32_e32 v2, s14, v6
	s_waitcnt vmcnt(0)
	v_fma_f64 v[8:9], -v[4:5], v[32:33], v[8:9]
	global_store_dwordx2 v[12:13], v[8:9], off
	global_load_dwordx2 v[8:9], v[10:11], off
	v_lshl_add_u64 v[12:13], v[2:3], 3, s[4:5]
	v_add_u32_e32 v2, s15, v6
	;; [unrolled: 6-line block ×4, first 2 shown]
	v_lshl_add_u64 v[6:7], v[2:3], 3, s[4:5]
	v_subrev_u32_e32 v2, s20, v1
	s_waitcnt vmcnt(0)
	v_fma_f64 v[8:9], -v[4:5], v[38:39], v[8:9]
	global_store_dwordx2 v[10:11], v[8:9], off
	global_load_dwordx2 v[8:9], v[12:13], off
	v_add_u32_e32 v10, v2, v0
	v_ashrrev_i32_e32 v11, 31, v10
	v_add_u32_e32 v2, s8, v10
	v_lshl_add_u64 v[14:15], v[2:3], 3, s[4:5]
	v_add_u32_e32 v2, s9, v10
	s_waitcnt vmcnt(0)
	v_fma_f64 v[8:9], -v[4:5], v[40:41], v[8:9]
	global_store_dwordx2 v[12:13], v[8:9], off
	global_load_dwordx2 v[8:9], v[6:7], off
	v_lshl_add_u64 v[12:13], v[10:11], 3, s[6:7]
	global_load_dwordx2 v[12:13], v[12:13], off
	s_waitcnt vmcnt(1)
	v_fma_f64 v[4:5], -v[4:5], v[42:43], v[8:9]
	global_store_dwordx2 v[6:7], v[4:5], off
	global_load_dwordx2 v[4:5], v[14:15], off
	v_lshl_add_u64 v[6:7], v[2:3], 3, s[4:5]
	v_add_u32_e32 v2, s10, v10
	v_lshl_add_u64 v[8:9], v[2:3], 3, s[4:5]
	v_add_u32_e32 v2, s11, v10
	s_waitcnt vmcnt(0)
	v_fma_f64 v[4:5], -v[12:13], v[28:29], v[4:5]
	global_store_dwordx2 v[14:15], v[4:5], off
	global_load_dwordx2 v[4:5], v[6:7], off
	s_waitcnt vmcnt(0)
	v_fma_f64 v[4:5], -v[12:13], v[30:31], v[4:5]
	global_store_dwordx2 v[6:7], v[4:5], off
	global_load_dwordx2 v[4:5], v[8:9], off
	v_lshl_add_u64 v[6:7], v[2:3], 3, s[4:5]
	v_add_u32_e32 v2, s14, v10
	s_waitcnt vmcnt(0)
	v_fma_f64 v[4:5], -v[12:13], v[32:33], v[4:5]
	global_store_dwordx2 v[8:9], v[4:5], off
	global_load_dwordx2 v[4:5], v[6:7], off
	v_lshl_add_u64 v[8:9], v[2:3], 3, s[4:5]
	v_add_u32_e32 v2, s15, v10
	;; [unrolled: 6-line block ×4, first 2 shown]
	s_waitcnt vmcnt(0)
	v_fma_f64 v[4:5], -v[12:13], v[38:39], v[4:5]
	global_store_dwordx2 v[6:7], v[4:5], off
	global_load_dwordx2 v[4:5], v[8:9], off
	s_waitcnt vmcnt(0)
	v_fma_f64 v[4:5], -v[12:13], v[40:41], v[4:5]
	global_store_dwordx2 v[8:9], v[4:5], off
	v_lshl_add_u64 v[4:5], v[2:3], 3, s[4:5]
	global_load_dwordx2 v[6:7], v[4:5], off
	s_waitcnt vmcnt(0)
	v_fma_f64 v[6:7], -v[12:13], v[42:43], v[6:7]
	global_store_dwordx2 v[4:5], v[6:7], off
                                        ; implicit-def: $vgpr6
                                        ; implicit-def: $vgpr4_vgpr5
.LBB91_21:                              ;   in Loop: Header=BB91_19 Depth=1
	s_or_saveexec_b64 s[2:3], s[2:3]
	v_mov_b32_e32 v2, s18
	s_xor_b64 exec, exec, s[2:3]
	s_cbranch_execz .LBB91_18
; %bb.22:                               ;   in Loop: Header=BB91_19 Depth=1
	v_add_u32_e32 v7, v50, v1
	v_add_u32_e32 v2, s8, v7
	v_lshl_add_u64 v[8:9], v[2:3], 3, s[4:5]
	v_add_u32_e32 v2, s8, v6
	v_lshl_add_u64 v[10:11], v[2:3], 3, s[4:5]
	global_load_dwordx2 v[12:13], v[8:9], off
	global_load_dwordx2 v[14:15], v[10:11], off
	v_add_u32_e32 v2, s9, v7
	v_lshl_add_u64 v[8:9], v[2:3], 3, s[4:5]
	v_add_u32_e32 v2, s9, v6
	v_lshl_add_u64 v[16:17], v[2:3], 3, s[4:5]
	v_add_u32_e32 v2, s10, v7
	s_waitcnt vmcnt(0)
	v_fma_f64 v[12:13], -v[4:5], v[12:13], v[14:15]
	global_store_dwordx2 v[10:11], v[12:13], off
	global_load_dwordx2 v[10:11], v[8:9], off
	s_nop 0
	global_load_dwordx2 v[12:13], v[16:17], off
	v_lshl_add_u64 v[8:9], v[2:3], 3, s[4:5]
	v_add_u32_e32 v2, s10, v6
	v_lshl_add_u64 v[14:15], v[2:3], 3, s[4:5]
	v_add_u32_e32 v2, s11, v7
	s_waitcnt vmcnt(0)
	v_fma_f64 v[10:11], -v[4:5], v[10:11], v[12:13]
	global_store_dwordx2 v[16:17], v[10:11], off
	global_load_dwordx2 v[10:11], v[8:9], off
	s_nop 0
	global_load_dwordx2 v[12:13], v[14:15], off
	;; [unrolled: 10-line block ×6, first 2 shown]
	v_lshl_add_u64 v[8:9], v[2:3], 3, s[4:5]
	v_add_u32_e32 v2, s17, v6
	v_lshl_add_u64 v[6:7], v[2:3], 3, s[4:5]
	v_mov_b32_e32 v2, s20
	s_waitcnt vmcnt(0)
	v_fma_f64 v[10:11], -v[4:5], v[10:11], v[12:13]
	global_store_dwordx2 v[14:15], v[10:11], off
	global_load_dwordx2 v[10:11], v[8:9], off
	s_nop 0
	global_load_dwordx2 v[12:13], v[6:7], off
	s_waitcnt vmcnt(0)
	v_fma_f64 v[4:5], -v[4:5], v[10:11], v[12:13]
	global_store_dwordx2 v[6:7], v[4:5], off
	s_branch .LBB91_18
.LBB91_23:
	s_endpgm
	.section	.rodata,"a",@progbits
	.p2align	6, 0x0
	.amdhsa_kernel _ZN9rocsparseL19gtsv_LBM_rhs_kernelILj256ELj2ELj8EdEEviiiPKT2_S3_S3_PS1_S3_PKi
		.amdhsa_group_segment_fixed_size 0
		.amdhsa_private_segment_fixed_size 0
		.amdhsa_kernarg_size 64
		.amdhsa_user_sgpr_count 2
		.amdhsa_user_sgpr_dispatch_ptr 0
		.amdhsa_user_sgpr_queue_ptr 0
		.amdhsa_user_sgpr_kernarg_segment_ptr 1
		.amdhsa_user_sgpr_dispatch_id 0
		.amdhsa_user_sgpr_kernarg_preload_length 0
		.amdhsa_user_sgpr_kernarg_preload_offset 0
		.amdhsa_user_sgpr_private_segment_size 0
		.amdhsa_uses_dynamic_stack 0
		.amdhsa_enable_private_segment 0
		.amdhsa_system_sgpr_workgroup_id_x 1
		.amdhsa_system_sgpr_workgroup_id_y 1
		.amdhsa_system_sgpr_workgroup_id_z 0
		.amdhsa_system_sgpr_workgroup_info 0
		.amdhsa_system_vgpr_workitem_id 0
		.amdhsa_next_free_vgpr 82
		.amdhsa_next_free_sgpr 32
		.amdhsa_accum_offset 84
		.amdhsa_reserve_vcc 1
		.amdhsa_float_round_mode_32 0
		.amdhsa_float_round_mode_16_64 0
		.amdhsa_float_denorm_mode_32 3
		.amdhsa_float_denorm_mode_16_64 3
		.amdhsa_dx10_clamp 1
		.amdhsa_ieee_mode 1
		.amdhsa_fp16_overflow 0
		.amdhsa_tg_split 0
		.amdhsa_exception_fp_ieee_invalid_op 0
		.amdhsa_exception_fp_denorm_src 0
		.amdhsa_exception_fp_ieee_div_zero 0
		.amdhsa_exception_fp_ieee_overflow 0
		.amdhsa_exception_fp_ieee_underflow 0
		.amdhsa_exception_fp_ieee_inexact 0
		.amdhsa_exception_int_div_zero 0
	.end_amdhsa_kernel
	.section	.text._ZN9rocsparseL19gtsv_LBM_rhs_kernelILj256ELj2ELj8EdEEviiiPKT2_S3_S3_PS1_S3_PKi,"axG",@progbits,_ZN9rocsparseL19gtsv_LBM_rhs_kernelILj256ELj2ELj8EdEEviiiPKT2_S3_S3_PS1_S3_PKi,comdat
.Lfunc_end91:
	.size	_ZN9rocsparseL19gtsv_LBM_rhs_kernelILj256ELj2ELj8EdEEviiiPKT2_S3_S3_PS1_S3_PKi, .Lfunc_end91-_ZN9rocsparseL19gtsv_LBM_rhs_kernelILj256ELj2ELj8EdEEviiiPKT2_S3_S3_PS1_S3_PKi
                                        ; -- End function
	.set _ZN9rocsparseL19gtsv_LBM_rhs_kernelILj256ELj2ELj8EdEEviiiPKT2_S3_S3_PS1_S3_PKi.num_vgpr, 82
	.set _ZN9rocsparseL19gtsv_LBM_rhs_kernelILj256ELj2ELj8EdEEviiiPKT2_S3_S3_PS1_S3_PKi.num_agpr, 0
	.set _ZN9rocsparseL19gtsv_LBM_rhs_kernelILj256ELj2ELj8EdEEviiiPKT2_S3_S3_PS1_S3_PKi.numbered_sgpr, 32
	.set _ZN9rocsparseL19gtsv_LBM_rhs_kernelILj256ELj2ELj8EdEEviiiPKT2_S3_S3_PS1_S3_PKi.num_named_barrier, 0
	.set _ZN9rocsparseL19gtsv_LBM_rhs_kernelILj256ELj2ELj8EdEEviiiPKT2_S3_S3_PS1_S3_PKi.private_seg_size, 0
	.set _ZN9rocsparseL19gtsv_LBM_rhs_kernelILj256ELj2ELj8EdEEviiiPKT2_S3_S3_PS1_S3_PKi.uses_vcc, 1
	.set _ZN9rocsparseL19gtsv_LBM_rhs_kernelILj256ELj2ELj8EdEEviiiPKT2_S3_S3_PS1_S3_PKi.uses_flat_scratch, 0
	.set _ZN9rocsparseL19gtsv_LBM_rhs_kernelILj256ELj2ELj8EdEEviiiPKT2_S3_S3_PS1_S3_PKi.has_dyn_sized_stack, 0
	.set _ZN9rocsparseL19gtsv_LBM_rhs_kernelILj256ELj2ELj8EdEEviiiPKT2_S3_S3_PS1_S3_PKi.has_recursion, 0
	.set _ZN9rocsparseL19gtsv_LBM_rhs_kernelILj256ELj2ELj8EdEEviiiPKT2_S3_S3_PS1_S3_PKi.has_indirect_call, 0
	.section	.AMDGPU.csdata,"",@progbits
; Kernel info:
; codeLenInByte = 3540
; TotalNumSgprs: 38
; NumVgprs: 82
; NumAgprs: 0
; TotalNumVgprs: 82
; ScratchSize: 0
; MemoryBound: 0
; FloatMode: 240
; IeeeMode: 1
; LDSByteSize: 0 bytes/workgroup (compile time only)
; SGPRBlocks: 4
; VGPRBlocks: 10
; NumSGPRsForWavesPerEU: 38
; NumVGPRsForWavesPerEU: 82
; AccumOffset: 84
; Occupancy: 5
; WaveLimiterHint : 0
; COMPUTE_PGM_RSRC2:SCRATCH_EN: 0
; COMPUTE_PGM_RSRC2:USER_SGPR: 2
; COMPUTE_PGM_RSRC2:TRAP_HANDLER: 0
; COMPUTE_PGM_RSRC2:TGID_X_EN: 1
; COMPUTE_PGM_RSRC2:TGID_Y_EN: 1
; COMPUTE_PGM_RSRC2:TGID_Z_EN: 0
; COMPUTE_PGM_RSRC2:TIDIG_COMP_CNT: 0
; COMPUTE_PGM_RSRC3_GFX90A:ACCUM_OFFSET: 20
; COMPUTE_PGM_RSRC3_GFX90A:TG_SPLIT: 0
	.section	.text._ZN9rocsparseL19gtsv_LBM_rhs_kernelILj256ELj2ELj4EdEEviiiPKT2_S3_S3_PS1_S3_PKi,"axG",@progbits,_ZN9rocsparseL19gtsv_LBM_rhs_kernelILj256ELj2ELj4EdEEviiiPKT2_S3_S3_PS1_S3_PKi,comdat
	.globl	_ZN9rocsparseL19gtsv_LBM_rhs_kernelILj256ELj2ELj4EdEEviiiPKT2_S3_S3_PS1_S3_PKi ; -- Begin function _ZN9rocsparseL19gtsv_LBM_rhs_kernelILj256ELj2ELj4EdEEviiiPKT2_S3_S3_PS1_S3_PKi
	.p2align	8
	.type	_ZN9rocsparseL19gtsv_LBM_rhs_kernelILj256ELj2ELj4EdEEviiiPKT2_S3_S3_PS1_S3_PKi,@function
_ZN9rocsparseL19gtsv_LBM_rhs_kernelILj256ELj2ELj4EdEEviiiPKT2_S3_S3_PS1_S3_PKi: ; @_ZN9rocsparseL19gtsv_LBM_rhs_kernelILj256ELj2ELj4EdEEviiiPKT2_S3_S3_PS1_S3_PKi
; %bb.0:
	s_load_dword s21, s[0:1], 0x0
	v_lshl_or_b32 v0, s2, 8, v0
	s_waitcnt lgkmcnt(0)
	s_lshr_b32 s20, s21, 1
	v_cmp_gt_i32_e32 vcc, s20, v0
	s_and_saveexec_b64 s[4:5], vcc
	s_cbranch_execz .LBB92_23
; %bb.1:
	s_load_dwordx4 s[4:7], s[0:1], 0x28
	s_load_dwordx2 s[12:13], s[0:1], 0x38
	s_cmp_lt_i32 s21, 1
	v_add_u32_e32 v32, s20, v0
	s_mul_i32 s22, s3, s21
	s_cbranch_scc1 .LBB92_15
; %bb.2:
	s_load_dwordx4 s[8:11], s[0:1], 0x10
	s_load_dwordx2 s[14:15], s[0:1], 0x20
	v_ashrrev_i32_e32 v1, 31, v0
	s_lshl_b32 s23, s22, 2
	s_add_i32 s24, s23, s21
	s_waitcnt lgkmcnt(0)
	v_lshl_add_u64 v[2:3], v[0:1], 3, s[10:11]
	global_load_dwordx2 v[6:7], v[2:3], off
	s_add_i32 s25, s24, s21
	s_add_i32 s26, s25, s21
	s_and_b32 s27, s21, 0x7ffffffe
	v_mov_b32_e32 v3, 0
	s_mov_b64 s[16:17], 0
	v_mov_b32_e32 v1, 0
	s_branch .LBB92_5
.LBB92_3:                               ;   in Loop: Header=BB92_5 Depth=1
	s_or_b64 exec, exec, s[18:19]
	v_fma_f64 v[14:15], -v[6:7], v[20:21], v[4:5]
	v_mov_b32_e32 v2, s20
.LBB92_4:                               ;   in Loop: Header=BB92_5 Depth=1
	s_or_b64 exec, exec, s[2:3]
	v_add_u32_e32 v1, v2, v1
	v_cmp_le_i32_e32 vcc, s21, v1
	s_or_b64 s[16:17], vcc, s[16:17]
	v_mov_b64_e32 v[6:7], v[14:15]
	s_andn2_b64 exec, exec, s[16:17]
	s_cbranch_execz .LBB92_14
.LBB92_5:                               ; =>This Inner Loop Header: Depth=1
	v_add_u32_e32 v18, v1, v0
	v_ashrrev_i32_e32 v19, 31, v18
	v_lshl_add_u64 v[4:5], v[18:19], 3, s[14:15]
	global_load_dwordx2 v[14:15], v[4:5], off
	v_cmp_gt_u32_e64 s[0:1], s20, v1
	v_mov_b64_e32 v[4:5], 0
	v_mov_b64_e32 v[8:9], 0
	s_and_saveexec_b64 s[2:3], s[0:1]
	s_cbranch_execz .LBB92_7
; %bb.6:                                ;   in Loop: Header=BB92_5 Depth=1
	v_add_u32_e32 v8, v32, v1
	v_ashrrev_i32_e32 v9, 31, v8
	v_lshl_add_u64 v[8:9], v[8:9], 3, s[8:9]
	global_load_dwordx2 v[8:9], v[8:9], off
.LBB92_7:                               ;   in Loop: Header=BB92_5 Depth=1
	s_or_b64 exec, exec, s[2:3]
	s_and_saveexec_b64 s[2:3], s[0:1]
	s_cbranch_execz .LBB92_9
; %bb.8:                                ;   in Loop: Header=BB92_5 Depth=1
	v_add_u32_e32 v4, v32, v1
	v_ashrrev_i32_e32 v5, 31, v4
	v_lshl_add_u64 v[4:5], v[4:5], 3, s[10:11]
	global_load_dwordx2 v[4:5], v[4:5], off
.LBB92_9:                               ;   in Loop: Header=BB92_5 Depth=1
	s_or_b64 exec, exec, s[2:3]
	v_lshl_add_u64 v[10:11], v[18:19], 2, s[12:13]
	v_add_u32_e32 v2, s23, v18
	global_load_dword v20, v[10:11], off
	v_lshl_add_u64 v[10:11], v[2:3], 3, s[4:5]
	v_add_u32_e32 v2, s24, v18
	v_lshl_add_u64 v[12:13], v[2:3], 3, s[4:5]
	v_add_u32_e32 v2, s25, v18
	;; [unrolled: 2-line block ×3, first 2 shown]
	v_lshl_add_u64 v[18:19], v[2:3], 3, s[4:5]
	global_load_dwordx2 v[22:23], v[10:11], off
	global_load_dwordx2 v[24:25], v[12:13], off
	global_load_dwordx2 v[26:27], v[16:17], off
	global_load_dwordx2 v[28:29], v[18:19], off
	v_cmp_ne_u32_e64 s[2:3], s20, v1
	s_waitcnt vmcnt(4)
	v_cmp_ne_u32_e32 vcc, 1, v20
	s_and_b64 s[2:3], s[2:3], vcc
	v_mul_f64 v[20:21], v[14:15], v[8:9]
	s_and_saveexec_b64 s[18:19], s[2:3]
	s_xor_b64 s[2:3], exec, s[18:19]
	s_cbranch_execz .LBB92_11
; %bb.10:                               ;   in Loop: Header=BB92_5 Depth=1
	v_add_u32_e32 v33, v32, v1
	v_add_u32_e32 v2, s23, v33
	v_lshl_add_u64 v[30:31], v[2:3], 3, s[4:5]
	v_add_u32_e32 v2, s24, v33
	v_lshl_add_u64 v[34:35], v[2:3], 3, s[4:5]
	v_add_u32_e32 v2, s25, v33
	global_load_dwordx2 v[36:37], v[30:31], off
	global_load_dwordx2 v[38:39], v[34:35], off
	v_lshl_add_u64 v[40:41], v[2:3], 3, s[4:5]
	v_add_u32_e32 v2, s26, v33
	v_lshl_add_u64 v[44:45], v[2:3], 3, s[4:5]
	global_load_dwordx2 v[42:43], v[40:41], off
	global_load_dwordx2 v[46:47], v[44:45], off
	v_fma_f64 v[20:21], v[6:7], v[4:5], -v[20:21]
	v_div_scale_f64 v[48:49], s[18:19], v[20:21], v[20:21], 1.0
	v_rcp_f64_e32 v[50:51], v[48:49]
	v_div_scale_f64 v[52:53], vcc, 1.0, v[20:21], 1.0
	v_fma_f64 v[54:55], -v[48:49], v[50:51], 1.0
	v_fmac_f64_e32 v[50:51], v[50:51], v[54:55]
	v_fma_f64 v[54:55], -v[48:49], v[50:51], 1.0
	v_fmac_f64_e32 v[50:51], v[50:51], v[54:55]
	v_mul_f64 v[54:55], v[52:53], v[50:51]
	v_fma_f64 v[48:49], -v[48:49], v[54:55], v[52:53]
	v_div_fmas_f64 v[48:49], v[48:49], v[50:51], v[54:55]
	v_div_fixup_f64 v[20:21], v[48:49], v[20:21], 1.0
	s_waitcnt vmcnt(7)
	v_mul_f64 v[22:23], v[20:21], v[22:23]
	v_mul_f64 v[48:49], v[8:9], v[22:23]
	s_waitcnt vmcnt(6)
	v_mul_f64 v[24:25], v[20:21], v[24:25]
	s_waitcnt vmcnt(5)
	;; [unrolled: 2-line block ×3, first 2 shown]
	v_mul_f64 v[28:29], v[20:21], v[28:29]
	v_mul_f64 v[50:51], v[8:9], v[24:25]
	;; [unrolled: 1-line block ×4, first 2 shown]
	s_waitcnt vmcnt(3)
	v_mul_f64 v[36:37], v[20:21], v[36:37]
	s_waitcnt vmcnt(2)
	v_mul_f64 v[38:39], v[20:21], v[38:39]
	v_mul_f64 v[54:55], v[14:15], v[36:37]
	v_fma_f64 v[36:37], v[6:7], v[36:37], -v[48:49]
	v_fma_f64 v[22:23], v[4:5], v[22:23], -v[54:55]
	v_mul_f64 v[48:49], v[14:15], v[38:39]
	s_waitcnt vmcnt(1)
	v_mul_f64 v[42:43], v[20:21], v[42:43]
	s_waitcnt vmcnt(0)
	v_mul_f64 v[20:21], v[20:21], v[46:47]
	global_store_dwordx2 v[10:11], v[22:23], off
	v_fma_f64 v[10:11], v[4:5], v[24:25], -v[48:49]
	v_mul_f64 v[22:23], v[14:15], v[42:43]
	global_store_dwordx2 v[12:13], v[10:11], off
	v_mul_f64 v[12:13], v[14:15], v[20:21]
	v_fma_f64 v[38:39], v[6:7], v[38:39], -v[50:51]
	v_fma_f64 v[24:25], v[6:7], v[42:43], -v[52:53]
	;; [unrolled: 1-line block ×5, first 2 shown]
	global_store_dwordx2 v[16:17], v[10:11], off
	global_store_dwordx2 v[18:19], v[4:5], off
	;; [unrolled: 1-line block ×6, first 2 shown]
                                        ; implicit-def: $vgpr6_vgpr7
                                        ; implicit-def: $vgpr8_vgpr9
                                        ; implicit-def: $vgpr4_vgpr5
                                        ; implicit-def: $vgpr20_vgpr21
                                        ; implicit-def: $vgpr10_vgpr11
                                        ; implicit-def: $vgpr22_vgpr23
                                        ; implicit-def: $vgpr12_vgpr13
                                        ; implicit-def: $vgpr24_vgpr25
                                        ; implicit-def: $vgpr16_vgpr17
                                        ; implicit-def: $vgpr26_vgpr27
                                        ; implicit-def: $vgpr18_vgpr19
                                        ; implicit-def: $vgpr28_vgpr29
.LBB92_11:                              ;   in Loop: Header=BB92_5 Depth=1
	s_or_saveexec_b64 s[2:3], s[2:3]
	v_mov_b64_e32 v[14:15], 0
	v_mov_b32_e32 v2, s27
	s_xor_b64 exec, exec, s[2:3]
	s_cbranch_execz .LBB92_4
; %bb.12:                               ;   in Loop: Header=BB92_5 Depth=1
	v_div_scale_f64 v[14:15], s[18:19], v[6:7], v[6:7], 1.0
	v_rcp_f64_e32 v[30:31], v[14:15]
	v_div_scale_f64 v[34:35], vcc, 1.0, v[6:7], 1.0
	v_fma_f64 v[36:37], -v[14:15], v[30:31], 1.0
	v_fmac_f64_e32 v[30:31], v[30:31], v[36:37]
	v_fma_f64 v[36:37], -v[14:15], v[30:31], 1.0
	v_fmac_f64_e32 v[30:31], v[30:31], v[36:37]
	v_mul_f64 v[36:37], v[34:35], v[30:31]
	v_fma_f64 v[14:15], -v[14:15], v[36:37], v[34:35]
	v_div_fmas_f64 v[14:15], v[14:15], v[30:31], v[36:37]
	v_div_fixup_f64 v[6:7], v[14:15], v[6:7], 1.0
	s_waitcnt vmcnt(3)
	v_mul_f64 v[30:31], v[6:7], v[22:23]
	s_waitcnt vmcnt(2)
	v_mul_f64 v[24:25], v[6:7], v[24:25]
	;; [unrolled: 2-line block ×4, first 2 shown]
	global_store_dwordx2 v[10:11], v[30:31], off
	global_store_dwordx2 v[12:13], v[24:25], off
	;; [unrolled: 1-line block ×4, first 2 shown]
	s_and_saveexec_b64 s[18:19], s[0:1]
	s_cbranch_execz .LBB92_3
; %bb.13:                               ;   in Loop: Header=BB92_5 Depth=1
	v_add_u32_e32 v28, v32, v1
	v_add_u32_e32 v2, s23, v28
	v_lshl_add_u64 v[10:11], v[2:3], 3, s[4:5]
	v_add_u32_e32 v2, s24, v28
	global_load_dwordx2 v[12:13], v[10:11], off
	v_lshl_add_u64 v[16:17], v[2:3], 3, s[4:5]
	global_load_dwordx2 v[18:19], v[16:17], off
	v_add_u32_e32 v2, s25, v28
	v_lshl_add_u64 v[26:27], v[2:3], 3, s[4:5]
	v_add_u32_e32 v2, s26, v28
	v_lshl_add_u64 v[28:29], v[2:3], 3, s[4:5]
	s_waitcnt vmcnt(1)
	v_fma_f64 v[12:13], -v[8:9], v[30:31], v[12:13]
	global_store_dwordx2 v[10:11], v[12:13], off
	s_waitcnt vmcnt(1)
	v_fma_f64 v[10:11], -v[8:9], v[24:25], v[18:19]
	global_store_dwordx2 v[16:17], v[10:11], off
	global_load_dwordx2 v[12:13], v[26:27], off
	s_nop 0
	global_load_dwordx2 v[10:11], v[28:29], off
	s_waitcnt vmcnt(1)
	v_fma_f64 v[12:13], -v[8:9], v[22:23], v[12:13]
	global_store_dwordx2 v[26:27], v[12:13], off
	s_waitcnt vmcnt(1)
	v_fma_f64 v[8:9], -v[8:9], v[14:15], v[10:11]
	global_store_dwordx2 v[28:29], v[8:9], off
	s_branch .LBB92_3
.LBB92_14:
	s_or_b64 exec, exec, s[16:17]
	s_branch .LBB92_16
.LBB92_15:
	v_mov_b32_e32 v1, 0
.LBB92_16:
	v_subrev_u32_e32 v1, s20, v1
	v_add_u32_e32 v2, v1, v0
	v_ashrrev_i32_e32 v3, 31, v2
	s_waitcnt lgkmcnt(0)
	v_lshl_add_u64 v[2:3], v[2:3], 2, s[12:13]
	buffer_wbl2 sc1
	s_waitcnt vmcnt(0)
	buffer_inv sc1
	global_load_dword v2, v[2:3], off
	s_waitcnt vmcnt(0)
	v_mul_lo_u32 v2, v2, s20
	v_sub_u32_e32 v1, v1, v2
	v_cmp_lt_i32_e32 vcc, -1, v1
	s_and_b64 exec, exec, vcc
	s_cbranch_execz .LBB92_23
; %bb.17:
	s_lshl_b32 s8, s22, 2
	s_add_i32 s9, s8, s21
	s_add_i32 s10, s9, s21
	;; [unrolled: 1-line block ×3, first 2 shown]
	s_and_b32 s14, s21, -2
	s_mov_b64 s[0:1], 0
	v_mov_b32_e32 v3, 0
	s_branch .LBB92_19
.LBB92_18:                              ;   in Loop: Header=BB92_19 Depth=1
	s_or_b64 exec, exec, s[2:3]
	v_sub_u32_e32 v1, v1, v2
	v_cmp_gt_i32_e32 vcc, 0, v1
	s_or_b64 s[0:1], vcc, s[0:1]
	s_andn2_b64 exec, exec, s[0:1]
	s_cbranch_execz .LBB92_23
.LBB92_19:                              ; =>This Inner Loop Header: Depth=1
	v_add_u32_e32 v6, v1, v0
	v_ashrrev_i32_e32 v7, 31, v6
	s_waitcnt vmcnt(0)
	v_lshl_add_u64 v[4:5], v[6:7], 2, s[12:13]
	global_load_dword v2, v[4:5], off
	v_lshl_add_u64 v[4:5], v[6:7], 3, s[6:7]
	global_load_dwordx2 v[4:5], v[4:5], off
	s_waitcnt vmcnt(1)
	v_cmp_ne_u32_e32 vcc, 1, v2
	s_and_saveexec_b64 s[2:3], vcc
	s_xor_b64 s[2:3], exec, s[2:3]
	s_cbranch_execz .LBB92_21
; %bb.20:                               ;   in Loop: Header=BB92_19 Depth=1
	v_add_u32_e32 v7, v32, v1
	v_add_u32_e32 v2, s8, v7
	v_lshl_add_u64 v[8:9], v[2:3], 3, s[4:5]
	v_add_u32_e32 v2, s9, v7
	v_lshl_add_u64 v[10:11], v[2:3], 3, s[4:5]
	;; [unrolled: 2-line block ×5, first 2 shown]
	global_load_dwordx2 v[18:19], v[16:17], off
	global_load_dwordx2 v[20:21], v[8:9], off
	;; [unrolled: 1-line block ×5, first 2 shown]
	v_add_u32_e32 v2, s9, v6
	v_lshl_add_u64 v[8:9], v[2:3], 3, s[4:5]
	v_add_u32_e32 v2, s10, v6
	v_lshl_add_u64 v[12:13], v[2:3], 3, s[4:5]
	;; [unrolled: 2-line block ×3, first 2 shown]
	v_subrev_u32_e32 v2, s20, v1
	s_waitcnt vmcnt(3)
	v_fma_f64 v[10:11], -v[4:5], v[20:21], v[18:19]
	global_store_dwordx2 v[16:17], v[10:11], off
	global_load_dwordx2 v[10:11], v[8:9], off
	s_waitcnt vmcnt(0)
	v_fma_f64 v[10:11], -v[4:5], v[22:23], v[10:11]
	global_store_dwordx2 v[8:9], v[10:11], off
	global_load_dwordx2 v[8:9], v[12:13], off
	v_add_u32_e32 v10, v2, v0
	v_ashrrev_i32_e32 v11, 31, v10
	v_add_u32_e32 v2, s8, v10
	v_lshl_add_u64 v[14:15], v[2:3], 3, s[4:5]
	v_add_u32_e32 v2, s9, v10
	s_waitcnt vmcnt(0)
	v_fma_f64 v[8:9], -v[4:5], v[24:25], v[8:9]
	global_store_dwordx2 v[12:13], v[8:9], off
	global_load_dwordx2 v[8:9], v[6:7], off
	v_lshl_add_u64 v[12:13], v[10:11], 3, s[6:7]
	global_load_dwordx2 v[12:13], v[12:13], off
	s_waitcnt vmcnt(1)
	v_fma_f64 v[4:5], -v[4:5], v[26:27], v[8:9]
	global_store_dwordx2 v[6:7], v[4:5], off
	global_load_dwordx2 v[4:5], v[14:15], off
	v_lshl_add_u64 v[6:7], v[2:3], 3, s[4:5]
	v_add_u32_e32 v2, s10, v10
	v_lshl_add_u64 v[8:9], v[2:3], 3, s[4:5]
	v_add_u32_e32 v2, s11, v10
	s_waitcnt vmcnt(0)
	v_fma_f64 v[4:5], -v[12:13], v[20:21], v[4:5]
	global_store_dwordx2 v[14:15], v[4:5], off
	global_load_dwordx2 v[4:5], v[6:7], off
	s_waitcnt vmcnt(0)
	v_fma_f64 v[4:5], -v[12:13], v[22:23], v[4:5]
	global_store_dwordx2 v[6:7], v[4:5], off
	global_load_dwordx2 v[4:5], v[8:9], off
	s_waitcnt vmcnt(0)
	v_fma_f64 v[4:5], -v[12:13], v[24:25], v[4:5]
	global_store_dwordx2 v[8:9], v[4:5], off
	v_lshl_add_u64 v[4:5], v[2:3], 3, s[4:5]
	global_load_dwordx2 v[6:7], v[4:5], off
	s_waitcnt vmcnt(0)
	v_fma_f64 v[6:7], -v[12:13], v[26:27], v[6:7]
	global_store_dwordx2 v[4:5], v[6:7], off
                                        ; implicit-def: $vgpr6
                                        ; implicit-def: $vgpr4_vgpr5
.LBB92_21:                              ;   in Loop: Header=BB92_19 Depth=1
	s_or_saveexec_b64 s[2:3], s[2:3]
	v_mov_b32_e32 v2, s14
	s_xor_b64 exec, exec, s[2:3]
	s_cbranch_execz .LBB92_18
; %bb.22:                               ;   in Loop: Header=BB92_19 Depth=1
	v_add_u32_e32 v7, v32, v1
	v_add_u32_e32 v2, s8, v7
	v_lshl_add_u64 v[8:9], v[2:3], 3, s[4:5]
	v_add_u32_e32 v2, s8, v6
	v_lshl_add_u64 v[10:11], v[2:3], 3, s[4:5]
	global_load_dwordx2 v[12:13], v[8:9], off
	global_load_dwordx2 v[14:15], v[10:11], off
	v_add_u32_e32 v2, s9, v7
	v_lshl_add_u64 v[8:9], v[2:3], 3, s[4:5]
	v_add_u32_e32 v2, s9, v6
	v_lshl_add_u64 v[16:17], v[2:3], 3, s[4:5]
	v_add_u32_e32 v2, s10, v7
	s_waitcnt vmcnt(0)
	v_fma_f64 v[12:13], -v[4:5], v[12:13], v[14:15]
	global_store_dwordx2 v[10:11], v[12:13], off
	global_load_dwordx2 v[10:11], v[8:9], off
	s_nop 0
	global_load_dwordx2 v[12:13], v[16:17], off
	v_lshl_add_u64 v[8:9], v[2:3], 3, s[4:5]
	v_add_u32_e32 v2, s10, v6
	v_lshl_add_u64 v[14:15], v[2:3], 3, s[4:5]
	v_add_u32_e32 v2, s11, v7
	s_waitcnt vmcnt(0)
	v_fma_f64 v[10:11], -v[4:5], v[10:11], v[12:13]
	global_store_dwordx2 v[16:17], v[10:11], off
	global_load_dwordx2 v[10:11], v[8:9], off
	s_nop 0
	global_load_dwordx2 v[12:13], v[14:15], off
	v_lshl_add_u64 v[8:9], v[2:3], 3, s[4:5]
	v_add_u32_e32 v2, s11, v6
	v_lshl_add_u64 v[6:7], v[2:3], 3, s[4:5]
	v_mov_b32_e32 v2, s20
	s_waitcnt vmcnt(0)
	v_fma_f64 v[10:11], -v[4:5], v[10:11], v[12:13]
	global_store_dwordx2 v[14:15], v[10:11], off
	global_load_dwordx2 v[10:11], v[8:9], off
	s_nop 0
	global_load_dwordx2 v[12:13], v[6:7], off
	s_waitcnt vmcnt(0)
	v_fma_f64 v[4:5], -v[4:5], v[10:11], v[12:13]
	global_store_dwordx2 v[6:7], v[4:5], off
	s_branch .LBB92_18
.LBB92_23:
	s_endpgm
	.section	.rodata,"a",@progbits
	.p2align	6, 0x0
	.amdhsa_kernel _ZN9rocsparseL19gtsv_LBM_rhs_kernelILj256ELj2ELj4EdEEviiiPKT2_S3_S3_PS1_S3_PKi
		.amdhsa_group_segment_fixed_size 0
		.amdhsa_private_segment_fixed_size 0
		.amdhsa_kernarg_size 64
		.amdhsa_user_sgpr_count 2
		.amdhsa_user_sgpr_dispatch_ptr 0
		.amdhsa_user_sgpr_queue_ptr 0
		.amdhsa_user_sgpr_kernarg_segment_ptr 1
		.amdhsa_user_sgpr_dispatch_id 0
		.amdhsa_user_sgpr_kernarg_preload_length 0
		.amdhsa_user_sgpr_kernarg_preload_offset 0
		.amdhsa_user_sgpr_private_segment_size 0
		.amdhsa_uses_dynamic_stack 0
		.amdhsa_enable_private_segment 0
		.amdhsa_system_sgpr_workgroup_id_x 1
		.amdhsa_system_sgpr_workgroup_id_y 1
		.amdhsa_system_sgpr_workgroup_id_z 0
		.amdhsa_system_sgpr_workgroup_info 0
		.amdhsa_system_vgpr_workitem_id 0
		.amdhsa_next_free_vgpr 56
		.amdhsa_next_free_sgpr 28
		.amdhsa_accum_offset 56
		.amdhsa_reserve_vcc 1
		.amdhsa_float_round_mode_32 0
		.amdhsa_float_round_mode_16_64 0
		.amdhsa_float_denorm_mode_32 3
		.amdhsa_float_denorm_mode_16_64 3
		.amdhsa_dx10_clamp 1
		.amdhsa_ieee_mode 1
		.amdhsa_fp16_overflow 0
		.amdhsa_tg_split 0
		.amdhsa_exception_fp_ieee_invalid_op 0
		.amdhsa_exception_fp_denorm_src 0
		.amdhsa_exception_fp_ieee_div_zero 0
		.amdhsa_exception_fp_ieee_overflow 0
		.amdhsa_exception_fp_ieee_underflow 0
		.amdhsa_exception_fp_ieee_inexact 0
		.amdhsa_exception_int_div_zero 0
	.end_amdhsa_kernel
	.section	.text._ZN9rocsparseL19gtsv_LBM_rhs_kernelILj256ELj2ELj4EdEEviiiPKT2_S3_S3_PS1_S3_PKi,"axG",@progbits,_ZN9rocsparseL19gtsv_LBM_rhs_kernelILj256ELj2ELj4EdEEviiiPKT2_S3_S3_PS1_S3_PKi,comdat
.Lfunc_end92:
	.size	_ZN9rocsparseL19gtsv_LBM_rhs_kernelILj256ELj2ELj4EdEEviiiPKT2_S3_S3_PS1_S3_PKi, .Lfunc_end92-_ZN9rocsparseL19gtsv_LBM_rhs_kernelILj256ELj2ELj4EdEEviiiPKT2_S3_S3_PS1_S3_PKi
                                        ; -- End function
	.set _ZN9rocsparseL19gtsv_LBM_rhs_kernelILj256ELj2ELj4EdEEviiiPKT2_S3_S3_PS1_S3_PKi.num_vgpr, 56
	.set _ZN9rocsparseL19gtsv_LBM_rhs_kernelILj256ELj2ELj4EdEEviiiPKT2_S3_S3_PS1_S3_PKi.num_agpr, 0
	.set _ZN9rocsparseL19gtsv_LBM_rhs_kernelILj256ELj2ELj4EdEEviiiPKT2_S3_S3_PS1_S3_PKi.numbered_sgpr, 28
	.set _ZN9rocsparseL19gtsv_LBM_rhs_kernelILj256ELj2ELj4EdEEviiiPKT2_S3_S3_PS1_S3_PKi.num_named_barrier, 0
	.set _ZN9rocsparseL19gtsv_LBM_rhs_kernelILj256ELj2ELj4EdEEviiiPKT2_S3_S3_PS1_S3_PKi.private_seg_size, 0
	.set _ZN9rocsparseL19gtsv_LBM_rhs_kernelILj256ELj2ELj4EdEEviiiPKT2_S3_S3_PS1_S3_PKi.uses_vcc, 1
	.set _ZN9rocsparseL19gtsv_LBM_rhs_kernelILj256ELj2ELj4EdEEviiiPKT2_S3_S3_PS1_S3_PKi.uses_flat_scratch, 0
	.set _ZN9rocsparseL19gtsv_LBM_rhs_kernelILj256ELj2ELj4EdEEviiiPKT2_S3_S3_PS1_S3_PKi.has_dyn_sized_stack, 0
	.set _ZN9rocsparseL19gtsv_LBM_rhs_kernelILj256ELj2ELj4EdEEviiiPKT2_S3_S3_PS1_S3_PKi.has_recursion, 0
	.set _ZN9rocsparseL19gtsv_LBM_rhs_kernelILj256ELj2ELj4EdEEviiiPKT2_S3_S3_PS1_S3_PKi.has_indirect_call, 0
	.section	.AMDGPU.csdata,"",@progbits
; Kernel info:
; codeLenInByte = 2180
; TotalNumSgprs: 34
; NumVgprs: 56
; NumAgprs: 0
; TotalNumVgprs: 56
; ScratchSize: 0
; MemoryBound: 0
; FloatMode: 240
; IeeeMode: 1
; LDSByteSize: 0 bytes/workgroup (compile time only)
; SGPRBlocks: 4
; VGPRBlocks: 6
; NumSGPRsForWavesPerEU: 34
; NumVGPRsForWavesPerEU: 56
; AccumOffset: 56
; Occupancy: 8
; WaveLimiterHint : 0
; COMPUTE_PGM_RSRC2:SCRATCH_EN: 0
; COMPUTE_PGM_RSRC2:USER_SGPR: 2
; COMPUTE_PGM_RSRC2:TRAP_HANDLER: 0
; COMPUTE_PGM_RSRC2:TGID_X_EN: 1
; COMPUTE_PGM_RSRC2:TGID_Y_EN: 1
; COMPUTE_PGM_RSRC2:TGID_Z_EN: 0
; COMPUTE_PGM_RSRC2:TIDIG_COMP_CNT: 0
; COMPUTE_PGM_RSRC3_GFX90A:ACCUM_OFFSET: 13
; COMPUTE_PGM_RSRC3_GFX90A:TG_SPLIT: 0
	.section	.text._ZN9rocsparseL19gtsv_LBM_rhs_kernelILj256ELj2ELj2EdEEviiiPKT2_S3_S3_PS1_S3_PKi,"axG",@progbits,_ZN9rocsparseL19gtsv_LBM_rhs_kernelILj256ELj2ELj2EdEEviiiPKT2_S3_S3_PS1_S3_PKi,comdat
	.globl	_ZN9rocsparseL19gtsv_LBM_rhs_kernelILj256ELj2ELj2EdEEviiiPKT2_S3_S3_PS1_S3_PKi ; -- Begin function _ZN9rocsparseL19gtsv_LBM_rhs_kernelILj256ELj2ELj2EdEEviiiPKT2_S3_S3_PS1_S3_PKi
	.p2align	8
	.type	_ZN9rocsparseL19gtsv_LBM_rhs_kernelILj256ELj2ELj2EdEEviiiPKT2_S3_S3_PS1_S3_PKi,@function
_ZN9rocsparseL19gtsv_LBM_rhs_kernelILj256ELj2ELj2EdEEviiiPKT2_S3_S3_PS1_S3_PKi: ; @_ZN9rocsparseL19gtsv_LBM_rhs_kernelILj256ELj2ELj2EdEEviiiPKT2_S3_S3_PS1_S3_PKi
; %bb.0:
	s_load_dword s21, s[0:1], 0x0
	v_lshl_or_b32 v0, s2, 8, v0
	s_waitcnt lgkmcnt(0)
	s_lshr_b32 s20, s21, 1
	v_cmp_gt_i32_e32 vcc, s20, v0
	s_and_saveexec_b64 s[4:5], vcc
	s_cbranch_execz .LBB93_23
; %bb.1:
	s_load_dwordx4 s[4:7], s[0:1], 0x28
	s_load_dwordx2 s[12:13], s[0:1], 0x38
	s_cmp_lt_i32 s21, 1
	v_add_u32_e32 v22, s20, v0
	s_mul_i32 s22, s3, s21
	s_cbranch_scc1 .LBB93_15
; %bb.2:
	s_load_dwordx4 s[8:11], s[0:1], 0x10
	s_load_dwordx2 s[14:15], s[0:1], 0x20
	v_ashrrev_i32_e32 v1, 31, v0
	s_lshl_b32 s23, s22, 1
	s_add_i32 s24, s23, s21
	s_waitcnt lgkmcnt(0)
	v_lshl_add_u64 v[2:3], v[0:1], 3, s[10:11]
	global_load_dwordx2 v[6:7], v[2:3], off
	s_and_b32 s25, s21, 0x7ffffffe
	v_mov_b32_e32 v3, 0
	s_mov_b64 s[16:17], 0
	v_mov_b32_e32 v1, 0
	s_branch .LBB93_5
.LBB93_3:                               ;   in Loop: Header=BB93_5 Depth=1
	s_or_b64 exec, exec, s[18:19]
	v_fma_f64 v[10:11], -v[6:7], v[16:17], v[4:5]
	v_mov_b32_e32 v2, s20
.LBB93_4:                               ;   in Loop: Header=BB93_5 Depth=1
	s_or_b64 exec, exec, s[2:3]
	v_add_u32_e32 v1, v2, v1
	v_cmp_le_i32_e32 vcc, s21, v1
	s_or_b64 s[16:17], vcc, s[16:17]
	v_mov_b64_e32 v[6:7], v[10:11]
	s_andn2_b64 exec, exec, s[16:17]
	s_cbranch_execz .LBB93_14
.LBB93_5:                               ; =>This Inner Loop Header: Depth=1
	v_add_u32_e32 v14, v1, v0
	v_ashrrev_i32_e32 v15, 31, v14
	v_lshl_add_u64 v[4:5], v[14:15], 3, s[14:15]
	global_load_dwordx2 v[10:11], v[4:5], off
	v_cmp_gt_u32_e64 s[0:1], s20, v1
	v_mov_b64_e32 v[4:5], 0
	v_mov_b64_e32 v[8:9], 0
	s_and_saveexec_b64 s[2:3], s[0:1]
	s_cbranch_execz .LBB93_7
; %bb.6:                                ;   in Loop: Header=BB93_5 Depth=1
	v_add_u32_e32 v8, v22, v1
	v_ashrrev_i32_e32 v9, 31, v8
	v_lshl_add_u64 v[8:9], v[8:9], 3, s[8:9]
	global_load_dwordx2 v[8:9], v[8:9], off
.LBB93_7:                               ;   in Loop: Header=BB93_5 Depth=1
	s_or_b64 exec, exec, s[2:3]
	s_and_saveexec_b64 s[2:3], s[0:1]
	s_cbranch_execz .LBB93_9
; %bb.8:                                ;   in Loop: Header=BB93_5 Depth=1
	v_add_u32_e32 v4, v22, v1
	v_ashrrev_i32_e32 v5, 31, v4
	v_lshl_add_u64 v[4:5], v[4:5], 3, s[10:11]
	global_load_dwordx2 v[4:5], v[4:5], off
.LBB93_9:                               ;   in Loop: Header=BB93_5 Depth=1
	s_or_b64 exec, exec, s[2:3]
	v_lshl_add_u64 v[12:13], v[14:15], 2, s[12:13]
	global_load_dword v16, v[12:13], off
	v_add_u32_e32 v2, s23, v14
	v_lshl_add_u64 v[12:13], v[2:3], 3, s[4:5]
	v_add_u32_e32 v2, s24, v14
	v_lshl_add_u64 v[14:15], v[2:3], 3, s[4:5]
	global_load_dwordx2 v[18:19], v[12:13], off
	global_load_dwordx2 v[20:21], v[14:15], off
	v_cmp_ne_u32_e32 vcc, s20, v1
	s_waitcnt vmcnt(2)
	v_cmp_ne_u32_e64 s[2:3], 1, v16
	s_and_b64 s[2:3], vcc, s[2:3]
	v_mul_f64 v[16:17], v[10:11], v[8:9]
	s_and_saveexec_b64 s[18:19], s[2:3]
	s_xor_b64 s[2:3], exec, s[18:19]
	s_cbranch_execz .LBB93_11
; %bb.10:                               ;   in Loop: Header=BB93_5 Depth=1
	v_add_u32_e32 v23, v22, v1
	v_add_u32_e32 v2, s23, v23
	v_lshl_add_u64 v[24:25], v[2:3], 3, s[4:5]
	v_add_u32_e32 v2, s24, v23
	v_lshl_add_u64 v[26:27], v[2:3], 3, s[4:5]
	global_load_dwordx2 v[28:29], v[24:25], off
	global_load_dwordx2 v[30:31], v[26:27], off
	v_fma_f64 v[16:17], v[6:7], v[4:5], -v[16:17]
	v_div_scale_f64 v[32:33], s[18:19], v[16:17], v[16:17], 1.0
	v_rcp_f64_e32 v[34:35], v[32:33]
	v_div_scale_f64 v[36:37], vcc, 1.0, v[16:17], 1.0
	v_fma_f64 v[38:39], -v[32:33], v[34:35], 1.0
	v_fmac_f64_e32 v[34:35], v[34:35], v[38:39]
	v_fma_f64 v[38:39], -v[32:33], v[34:35], 1.0
	v_fmac_f64_e32 v[34:35], v[34:35], v[38:39]
	v_mul_f64 v[38:39], v[36:37], v[34:35]
	v_fma_f64 v[32:33], -v[32:33], v[38:39], v[36:37]
	v_div_fmas_f64 v[32:33], v[32:33], v[34:35], v[38:39]
	v_div_fixup_f64 v[16:17], v[32:33], v[16:17], 1.0
	s_waitcnt vmcnt(3)
	v_mul_f64 v[18:19], v[16:17], v[18:19]
	s_waitcnt vmcnt(2)
	v_mul_f64 v[20:21], v[16:17], v[20:21]
	v_mul_f64 v[32:33], v[8:9], v[18:19]
	;; [unrolled: 1-line block ×3, first 2 shown]
	s_waitcnt vmcnt(1)
	v_mul_f64 v[28:29], v[16:17], v[28:29]
	s_waitcnt vmcnt(0)
	v_mul_f64 v[16:17], v[16:17], v[30:31]
	v_mul_f64 v[30:31], v[10:11], v[28:29]
	v_mul_f64 v[10:11], v[10:11], v[16:17]
	v_fma_f64 v[28:29], v[6:7], v[28:29], -v[32:33]
	v_fma_f64 v[18:19], v[4:5], v[18:19], -v[30:31]
	;; [unrolled: 1-line block ×4, first 2 shown]
	global_store_dwordx2 v[12:13], v[18:19], off
	global_store_dwordx2 v[14:15], v[4:5], off
	;; [unrolled: 1-line block ×4, first 2 shown]
                                        ; implicit-def: $vgpr16_vgpr17
                                        ; implicit-def: $vgpr4_vgpr5
                                        ; implicit-def: $vgpr6_vgpr7
                                        ; implicit-def: $vgpr18_vgpr19
                                        ; implicit-def: $vgpr20_vgpr21
                                        ; implicit-def: $vgpr12_vgpr13
                                        ; implicit-def: $vgpr14_vgpr15
                                        ; implicit-def: $vgpr8_vgpr9
.LBB93_11:                              ;   in Loop: Header=BB93_5 Depth=1
	s_or_saveexec_b64 s[2:3], s[2:3]
	v_mov_b64_e32 v[10:11], 0
	v_mov_b32_e32 v2, s25
	s_xor_b64 exec, exec, s[2:3]
	s_cbranch_execz .LBB93_4
; %bb.12:                               ;   in Loop: Header=BB93_5 Depth=1
	v_div_scale_f64 v[10:11], s[18:19], v[6:7], v[6:7], 1.0
	v_rcp_f64_e32 v[24:25], v[10:11]
	v_div_scale_f64 v[26:27], vcc, 1.0, v[6:7], 1.0
	v_fma_f64 v[28:29], -v[10:11], v[24:25], 1.0
	v_fmac_f64_e32 v[24:25], v[24:25], v[28:29]
	v_fma_f64 v[28:29], -v[10:11], v[24:25], 1.0
	v_fmac_f64_e32 v[24:25], v[24:25], v[28:29]
	v_mul_f64 v[28:29], v[26:27], v[24:25]
	v_fma_f64 v[10:11], -v[10:11], v[28:29], v[26:27]
	v_div_fmas_f64 v[10:11], v[10:11], v[24:25], v[28:29]
	v_div_fixup_f64 v[6:7], v[10:11], v[6:7], 1.0
	s_waitcnt vmcnt(1)
	v_mul_f64 v[18:19], v[6:7], v[18:19]
	s_waitcnt vmcnt(0)
	v_mul_f64 v[10:11], v[6:7], v[20:21]
	global_store_dwordx2 v[12:13], v[18:19], off
	global_store_dwordx2 v[14:15], v[10:11], off
	s_and_saveexec_b64 s[18:19], s[0:1]
	s_cbranch_execz .LBB93_3
; %bb.13:                               ;   in Loop: Header=BB93_5 Depth=1
	v_add_u32_e32 v20, v22, v1
	v_add_u32_e32 v2, s23, v20
	v_lshl_add_u64 v[12:13], v[2:3], 3, s[4:5]
	v_add_u32_e32 v2, s24, v20
	v_lshl_add_u64 v[20:21], v[2:3], 3, s[4:5]
	global_load_dwordx2 v[14:15], v[12:13], off
	global_load_dwordx2 v[24:25], v[20:21], off
	s_waitcnt vmcnt(1)
	v_fma_f64 v[14:15], -v[8:9], v[18:19], v[14:15]
	s_waitcnt vmcnt(0)
	v_fma_f64 v[8:9], -v[8:9], v[10:11], v[24:25]
	global_store_dwordx2 v[12:13], v[14:15], off
	global_store_dwordx2 v[20:21], v[8:9], off
	s_branch .LBB93_3
.LBB93_14:
	s_or_b64 exec, exec, s[16:17]
	s_branch .LBB93_16
.LBB93_15:
	v_mov_b32_e32 v1, 0
.LBB93_16:
	v_subrev_u32_e32 v1, s20, v1
	v_add_u32_e32 v2, v1, v0
	v_ashrrev_i32_e32 v3, 31, v2
	s_waitcnt lgkmcnt(0)
	v_lshl_add_u64 v[2:3], v[2:3], 2, s[12:13]
	buffer_wbl2 sc1
	s_waitcnt vmcnt(0)
	buffer_inv sc1
	global_load_dword v2, v[2:3], off
	s_waitcnt vmcnt(0)
	v_mul_lo_u32 v2, v2, s20
	v_sub_u32_e32 v1, v1, v2
	v_cmp_lt_i32_e32 vcc, -1, v1
	s_and_b64 exec, exec, vcc
	s_cbranch_execz .LBB93_23
; %bb.17:
	s_lshl_b32 s8, s22, 1
	s_add_i32 s9, s8, s21
	s_and_b32 s10, s21, -2
	s_mov_b64 s[0:1], 0
	v_mov_b32_e32 v3, 0
	s_branch .LBB93_19
.LBB93_18:                              ;   in Loop: Header=BB93_19 Depth=1
	s_or_b64 exec, exec, s[2:3]
	v_sub_u32_e32 v1, v1, v2
	v_cmp_gt_i32_e32 vcc, 0, v1
	s_or_b64 s[0:1], vcc, s[0:1]
	s_andn2_b64 exec, exec, s[0:1]
	s_cbranch_execz .LBB93_23
.LBB93_19:                              ; =>This Inner Loop Header: Depth=1
	v_add_u32_e32 v6, v1, v0
	v_ashrrev_i32_e32 v7, 31, v6
	s_waitcnt vmcnt(0)
	v_lshl_add_u64 v[4:5], v[6:7], 2, s[12:13]
	global_load_dword v2, v[4:5], off
	v_lshl_add_u64 v[4:5], v[6:7], 3, s[6:7]
	global_load_dwordx2 v[4:5], v[4:5], off
	s_waitcnt vmcnt(1)
	v_cmp_ne_u32_e32 vcc, 1, v2
	s_and_saveexec_b64 s[2:3], vcc
	s_xor_b64 s[2:3], exec, s[2:3]
	s_cbranch_execz .LBB93_21
; %bb.20:                               ;   in Loop: Header=BB93_19 Depth=1
	v_add_u32_e32 v7, v22, v1
	v_add_u32_e32 v2, s8, v7
	v_lshl_add_u64 v[8:9], v[2:3], 3, s[4:5]
	v_add_u32_e32 v2, s9, v7
	v_lshl_add_u64 v[10:11], v[2:3], 3, s[4:5]
	;; [unrolled: 2-line block ×3, first 2 shown]
	global_load_dwordx2 v[14:15], v[8:9], off
	global_load_dwordx2 v[16:17], v[12:13], off
	;; [unrolled: 1-line block ×3, first 2 shown]
	v_add_u32_e32 v2, s9, v6
	v_lshl_add_u64 v[6:7], v[2:3], 3, s[4:5]
	v_subrev_u32_e32 v2, s20, v1
	v_add_u32_e32 v10, v2, v0
	v_ashrrev_i32_e32 v11, 31, v10
	v_add_u32_e32 v2, s8, v10
	s_waitcnt vmcnt(1)
	v_fma_f64 v[8:9], -v[4:5], v[14:15], v[16:17]
	global_store_dwordx2 v[12:13], v[8:9], off
	global_load_dwordx2 v[8:9], v[6:7], off
	v_lshl_add_u64 v[12:13], v[10:11], 3, s[6:7]
	v_lshl_add_u64 v[16:17], v[2:3], 3, s[4:5]
	global_load_dwordx2 v[12:13], v[12:13], off
	v_add_u32_e32 v2, s9, v10
	s_waitcnt vmcnt(1)
	v_fma_f64 v[4:5], -v[4:5], v[18:19], v[8:9]
	global_store_dwordx2 v[6:7], v[4:5], off
	global_load_dwordx2 v[4:5], v[16:17], off
	s_waitcnt vmcnt(0)
	v_fma_f64 v[4:5], -v[12:13], v[14:15], v[4:5]
	global_store_dwordx2 v[16:17], v[4:5], off
	v_lshl_add_u64 v[4:5], v[2:3], 3, s[4:5]
	global_load_dwordx2 v[6:7], v[4:5], off
	s_waitcnt vmcnt(0)
	v_fma_f64 v[6:7], -v[12:13], v[18:19], v[6:7]
	global_store_dwordx2 v[4:5], v[6:7], off
                                        ; implicit-def: $vgpr6
                                        ; implicit-def: $vgpr4_vgpr5
.LBB93_21:                              ;   in Loop: Header=BB93_19 Depth=1
	s_or_saveexec_b64 s[2:3], s[2:3]
	v_mov_b32_e32 v2, s10
	s_xor_b64 exec, exec, s[2:3]
	s_cbranch_execz .LBB93_18
; %bb.22:                               ;   in Loop: Header=BB93_19 Depth=1
	v_add_u32_e32 v7, v22, v1
	v_add_u32_e32 v2, s8, v7
	v_lshl_add_u64 v[8:9], v[2:3], 3, s[4:5]
	v_add_u32_e32 v2, s8, v6
	v_lshl_add_u64 v[10:11], v[2:3], 3, s[4:5]
	global_load_dwordx2 v[12:13], v[8:9], off
	global_load_dwordx2 v[14:15], v[10:11], off
	v_add_u32_e32 v2, s9, v7
	v_lshl_add_u64 v[8:9], v[2:3], 3, s[4:5]
	v_add_u32_e32 v2, s9, v6
	v_lshl_add_u64 v[6:7], v[2:3], 3, s[4:5]
	v_mov_b32_e32 v2, s20
	s_waitcnt vmcnt(0)
	v_fma_f64 v[12:13], -v[4:5], v[12:13], v[14:15]
	global_store_dwordx2 v[10:11], v[12:13], off
	global_load_dwordx2 v[10:11], v[8:9], off
	s_nop 0
	global_load_dwordx2 v[12:13], v[6:7], off
	s_waitcnt vmcnt(0)
	v_fma_f64 v[4:5], -v[4:5], v[10:11], v[12:13]
	global_store_dwordx2 v[6:7], v[4:5], off
	s_branch .LBB93_18
.LBB93_23:
	s_endpgm
	.section	.rodata,"a",@progbits
	.p2align	6, 0x0
	.amdhsa_kernel _ZN9rocsparseL19gtsv_LBM_rhs_kernelILj256ELj2ELj2EdEEviiiPKT2_S3_S3_PS1_S3_PKi
		.amdhsa_group_segment_fixed_size 0
		.amdhsa_private_segment_fixed_size 0
		.amdhsa_kernarg_size 64
		.amdhsa_user_sgpr_count 2
		.amdhsa_user_sgpr_dispatch_ptr 0
		.amdhsa_user_sgpr_queue_ptr 0
		.amdhsa_user_sgpr_kernarg_segment_ptr 1
		.amdhsa_user_sgpr_dispatch_id 0
		.amdhsa_user_sgpr_kernarg_preload_length 0
		.amdhsa_user_sgpr_kernarg_preload_offset 0
		.amdhsa_user_sgpr_private_segment_size 0
		.amdhsa_uses_dynamic_stack 0
		.amdhsa_enable_private_segment 0
		.amdhsa_system_sgpr_workgroup_id_x 1
		.amdhsa_system_sgpr_workgroup_id_y 1
		.amdhsa_system_sgpr_workgroup_id_z 0
		.amdhsa_system_sgpr_workgroup_info 0
		.amdhsa_system_vgpr_workitem_id 0
		.amdhsa_next_free_vgpr 40
		.amdhsa_next_free_sgpr 26
		.amdhsa_accum_offset 40
		.amdhsa_reserve_vcc 1
		.amdhsa_float_round_mode_32 0
		.amdhsa_float_round_mode_16_64 0
		.amdhsa_float_denorm_mode_32 3
		.amdhsa_float_denorm_mode_16_64 3
		.amdhsa_dx10_clamp 1
		.amdhsa_ieee_mode 1
		.amdhsa_fp16_overflow 0
		.amdhsa_tg_split 0
		.amdhsa_exception_fp_ieee_invalid_op 0
		.amdhsa_exception_fp_denorm_src 0
		.amdhsa_exception_fp_ieee_div_zero 0
		.amdhsa_exception_fp_ieee_overflow 0
		.amdhsa_exception_fp_ieee_underflow 0
		.amdhsa_exception_fp_ieee_inexact 0
		.amdhsa_exception_int_div_zero 0
	.end_amdhsa_kernel
	.section	.text._ZN9rocsparseL19gtsv_LBM_rhs_kernelILj256ELj2ELj2EdEEviiiPKT2_S3_S3_PS1_S3_PKi,"axG",@progbits,_ZN9rocsparseL19gtsv_LBM_rhs_kernelILj256ELj2ELj2EdEEviiiPKT2_S3_S3_PS1_S3_PKi,comdat
.Lfunc_end93:
	.size	_ZN9rocsparseL19gtsv_LBM_rhs_kernelILj256ELj2ELj2EdEEviiiPKT2_S3_S3_PS1_S3_PKi, .Lfunc_end93-_ZN9rocsparseL19gtsv_LBM_rhs_kernelILj256ELj2ELj2EdEEviiiPKT2_S3_S3_PS1_S3_PKi
                                        ; -- End function
	.set _ZN9rocsparseL19gtsv_LBM_rhs_kernelILj256ELj2ELj2EdEEviiiPKT2_S3_S3_PS1_S3_PKi.num_vgpr, 40
	.set _ZN9rocsparseL19gtsv_LBM_rhs_kernelILj256ELj2ELj2EdEEviiiPKT2_S3_S3_PS1_S3_PKi.num_agpr, 0
	.set _ZN9rocsparseL19gtsv_LBM_rhs_kernelILj256ELj2ELj2EdEEviiiPKT2_S3_S3_PS1_S3_PKi.numbered_sgpr, 26
	.set _ZN9rocsparseL19gtsv_LBM_rhs_kernelILj256ELj2ELj2EdEEviiiPKT2_S3_S3_PS1_S3_PKi.num_named_barrier, 0
	.set _ZN9rocsparseL19gtsv_LBM_rhs_kernelILj256ELj2ELj2EdEEviiiPKT2_S3_S3_PS1_S3_PKi.private_seg_size, 0
	.set _ZN9rocsparseL19gtsv_LBM_rhs_kernelILj256ELj2ELj2EdEEviiiPKT2_S3_S3_PS1_S3_PKi.uses_vcc, 1
	.set _ZN9rocsparseL19gtsv_LBM_rhs_kernelILj256ELj2ELj2EdEEviiiPKT2_S3_S3_PS1_S3_PKi.uses_flat_scratch, 0
	.set _ZN9rocsparseL19gtsv_LBM_rhs_kernelILj256ELj2ELj2EdEEviiiPKT2_S3_S3_PS1_S3_PKi.has_dyn_sized_stack, 0
	.set _ZN9rocsparseL19gtsv_LBM_rhs_kernelILj256ELj2ELj2EdEEviiiPKT2_S3_S3_PS1_S3_PKi.has_recursion, 0
	.set _ZN9rocsparseL19gtsv_LBM_rhs_kernelILj256ELj2ELj2EdEEviiiPKT2_S3_S3_PS1_S3_PKi.has_indirect_call, 0
	.section	.AMDGPU.csdata,"",@progbits
; Kernel info:
; codeLenInByte = 1488
; TotalNumSgprs: 32
; NumVgprs: 40
; NumAgprs: 0
; TotalNumVgprs: 40
; ScratchSize: 0
; MemoryBound: 0
; FloatMode: 240
; IeeeMode: 1
; LDSByteSize: 0 bytes/workgroup (compile time only)
; SGPRBlocks: 3
; VGPRBlocks: 4
; NumSGPRsForWavesPerEU: 32
; NumVGPRsForWavesPerEU: 40
; AccumOffset: 40
; Occupancy: 8
; WaveLimiterHint : 0
; COMPUTE_PGM_RSRC2:SCRATCH_EN: 0
; COMPUTE_PGM_RSRC2:USER_SGPR: 2
; COMPUTE_PGM_RSRC2:TRAP_HANDLER: 0
; COMPUTE_PGM_RSRC2:TGID_X_EN: 1
; COMPUTE_PGM_RSRC2:TGID_Y_EN: 1
; COMPUTE_PGM_RSRC2:TGID_Z_EN: 0
; COMPUTE_PGM_RSRC2:TIDIG_COMP_CNT: 0
; COMPUTE_PGM_RSRC3_GFX90A:ACCUM_OFFSET: 9
; COMPUTE_PGM_RSRC3_GFX90A:TG_SPLIT: 0
	.section	.text._ZN9rocsparseL19gtsv_LBM_rhs_kernelILj256ELj2ELj1EdEEviiiPKT2_S3_S3_PS1_S3_PKi,"axG",@progbits,_ZN9rocsparseL19gtsv_LBM_rhs_kernelILj256ELj2ELj1EdEEviiiPKT2_S3_S3_PS1_S3_PKi,comdat
	.globl	_ZN9rocsparseL19gtsv_LBM_rhs_kernelILj256ELj2ELj1EdEEviiiPKT2_S3_S3_PS1_S3_PKi ; -- Begin function _ZN9rocsparseL19gtsv_LBM_rhs_kernelILj256ELj2ELj1EdEEviiiPKT2_S3_S3_PS1_S3_PKi
	.p2align	8
	.type	_ZN9rocsparseL19gtsv_LBM_rhs_kernelILj256ELj2ELj1EdEEviiiPKT2_S3_S3_PS1_S3_PKi,@function
_ZN9rocsparseL19gtsv_LBM_rhs_kernelILj256ELj2ELj1EdEEviiiPKT2_S3_S3_PS1_S3_PKi: ; @_ZN9rocsparseL19gtsv_LBM_rhs_kernelILj256ELj2ELj1EdEEviiiPKT2_S3_S3_PS1_S3_PKi
; %bb.0:
	s_load_dword s22, s[0:1], 0x0
	v_lshl_or_b32 v0, s2, 8, v0
	s_waitcnt lgkmcnt(0)
	s_lshr_b32 s20, s22, 1
	v_cmp_gt_i32_e32 vcc, s20, v0
	s_and_saveexec_b64 s[4:5], vcc
	s_cbranch_execz .LBB94_23
; %bb.1:
	s_load_dwordx4 s[4:7], s[0:1], 0x28
	s_load_dwordx2 s[12:13], s[0:1], 0x38
	s_cmp_lt_i32 s22, 1
	s_mul_i32 s21, s22, s3
	s_cbranch_scc1 .LBB94_15
; %bb.2:
	s_load_dwordx4 s[8:11], s[0:1], 0x10
	s_load_dwordx2 s[14:15], s[0:1], 0x20
	v_ashrrev_i32_e32 v1, 31, v0
	v_add_u32_e32 v18, s20, v0
	v_add_u32_e32 v19, s21, v18
	s_waitcnt lgkmcnt(0)
	v_lshl_add_u64 v[2:3], v[0:1], 3, s[10:11]
	global_load_dwordx2 v[4:5], v[2:3], off
	s_and_b32 s23, s22, 0x7ffffffe
	v_mov_b32_e32 v3, 0
	s_mov_b64 s[16:17], 0
	v_mov_b32_e32 v1, 0
	s_branch .LBB94_5
.LBB94_3:                               ;   in Loop: Header=BB94_5 Depth=1
	s_or_b64 exec, exec, s[18:19]
	v_fma_f64 v[10:11], -v[4:5], v[14:15], v[6:7]
	v_mov_b32_e32 v2, s20
.LBB94_4:                               ;   in Loop: Header=BB94_5 Depth=1
	s_or_b64 exec, exec, s[2:3]
	v_add_u32_e32 v1, v2, v1
	v_cmp_le_i32_e32 vcc, s22, v1
	s_or_b64 s[16:17], vcc, s[16:17]
	v_mov_b64_e32 v[4:5], v[10:11]
	s_andn2_b64 exec, exec, s[16:17]
	s_cbranch_execz .LBB94_14
.LBB94_5:                               ; =>This Inner Loop Header: Depth=1
	v_add_u32_e32 v12, v1, v0
	v_ashrrev_i32_e32 v13, 31, v12
	v_lshl_add_u64 v[6:7], v[12:13], 3, s[14:15]
	global_load_dwordx2 v[10:11], v[6:7], off
	v_cmp_gt_u32_e64 s[0:1], s20, v1
	v_mov_b64_e32 v[6:7], 0
	v_add_u32_e32 v14, v18, v1
	v_mov_b64_e32 v[8:9], 0
	s_and_saveexec_b64 s[2:3], s[0:1]
	s_cbranch_execz .LBB94_7
; %bb.6:                                ;   in Loop: Header=BB94_5 Depth=1
	v_ashrrev_i32_e32 v15, 31, v14
	v_lshl_add_u64 v[8:9], v[14:15], 3, s[8:9]
	global_load_dwordx2 v[8:9], v[8:9], off
.LBB94_7:                               ;   in Loop: Header=BB94_5 Depth=1
	s_or_b64 exec, exec, s[2:3]
	s_and_saveexec_b64 s[2:3], s[0:1]
	s_cbranch_execz .LBB94_9
; %bb.8:                                ;   in Loop: Header=BB94_5 Depth=1
	v_ashrrev_i32_e32 v15, 31, v14
	v_lshl_add_u64 v[6:7], v[14:15], 3, s[10:11]
	global_load_dwordx2 v[6:7], v[6:7], off
.LBB94_9:                               ;   in Loop: Header=BB94_5 Depth=1
	s_or_b64 exec, exec, s[2:3]
	v_lshl_add_u64 v[14:15], v[12:13], 2, s[12:13]
	global_load_dword v14, v[14:15], off
	v_add_u32_e32 v2, s21, v12
	v_lshl_add_u64 v[12:13], v[2:3], 3, s[4:5]
	global_load_dwordx2 v[16:17], v[12:13], off
	v_cmp_ne_u32_e32 vcc, s20, v1
	s_waitcnt vmcnt(1)
	v_cmp_ne_u32_e64 s[2:3], 1, v14
	s_and_b64 s[2:3], vcc, s[2:3]
	v_mul_f64 v[14:15], v[10:11], v[8:9]
	s_and_saveexec_b64 s[18:19], s[2:3]
	s_xor_b64 s[2:3], exec, s[18:19]
	s_cbranch_execz .LBB94_11
; %bb.10:                               ;   in Loop: Header=BB94_5 Depth=1
	v_add_u32_e32 v2, v19, v1
	v_lshl_add_u64 v[20:21], v[2:3], 3, s[4:5]
	global_load_dwordx2 v[22:23], v[20:21], off
	v_fma_f64 v[14:15], v[4:5], v[6:7], -v[14:15]
	v_div_scale_f64 v[24:25], s[18:19], v[14:15], v[14:15], 1.0
	v_rcp_f64_e32 v[26:27], v[24:25]
	v_div_scale_f64 v[28:29], vcc, 1.0, v[14:15], 1.0
	v_fma_f64 v[30:31], -v[24:25], v[26:27], 1.0
	v_fmac_f64_e32 v[26:27], v[26:27], v[30:31]
	v_fma_f64 v[30:31], -v[24:25], v[26:27], 1.0
	v_fmac_f64_e32 v[26:27], v[26:27], v[30:31]
	v_mul_f64 v[30:31], v[28:29], v[26:27]
	v_fma_f64 v[24:25], -v[24:25], v[30:31], v[28:29]
	v_div_fmas_f64 v[24:25], v[24:25], v[26:27], v[30:31]
	v_div_fixup_f64 v[14:15], v[24:25], v[14:15], 1.0
	s_waitcnt vmcnt(1)
	v_mul_f64 v[16:17], v[14:15], v[16:17]
	v_mul_f64 v[8:9], v[8:9], v[16:17]
	s_waitcnt vmcnt(0)
	v_mul_f64 v[14:15], v[14:15], v[22:23]
	v_mul_f64 v[10:11], v[10:11], v[14:15]
	v_fma_f64 v[4:5], v[4:5], v[14:15], -v[8:9]
	v_fma_f64 v[6:7], v[6:7], v[16:17], -v[10:11]
	global_store_dwordx2 v[12:13], v[6:7], off
	global_store_dwordx2 v[20:21], v[4:5], off
                                        ; implicit-def: $vgpr14_vgpr15
                                        ; implicit-def: $vgpr6_vgpr7
                                        ; implicit-def: $vgpr4_vgpr5
                                        ; implicit-def: $vgpr16_vgpr17
                                        ; implicit-def: $vgpr12_vgpr13
                                        ; implicit-def: $vgpr8_vgpr9
.LBB94_11:                              ;   in Loop: Header=BB94_5 Depth=1
	s_or_saveexec_b64 s[2:3], s[2:3]
	v_mov_b64_e32 v[10:11], 0
	v_mov_b32_e32 v2, s23
	s_xor_b64 exec, exec, s[2:3]
	s_cbranch_execz .LBB94_4
; %bb.12:                               ;   in Loop: Header=BB94_5 Depth=1
	v_div_scale_f64 v[10:11], s[18:19], v[4:5], v[4:5], 1.0
	v_rcp_f64_e32 v[20:21], v[10:11]
	v_div_scale_f64 v[22:23], vcc, 1.0, v[4:5], 1.0
	v_fma_f64 v[24:25], -v[10:11], v[20:21], 1.0
	v_fmac_f64_e32 v[20:21], v[20:21], v[24:25]
	v_fma_f64 v[24:25], -v[10:11], v[20:21], 1.0
	v_fmac_f64_e32 v[20:21], v[20:21], v[24:25]
	v_mul_f64 v[24:25], v[22:23], v[20:21]
	v_fma_f64 v[10:11], -v[10:11], v[24:25], v[22:23]
	v_div_fmas_f64 v[10:11], v[10:11], v[20:21], v[24:25]
	v_div_fixup_f64 v[4:5], v[10:11], v[4:5], 1.0
	s_waitcnt vmcnt(0)
	v_mul_f64 v[10:11], v[4:5], v[16:17]
	global_store_dwordx2 v[12:13], v[10:11], off
	s_and_saveexec_b64 s[18:19], s[0:1]
	s_cbranch_execz .LBB94_3
; %bb.13:                               ;   in Loop: Header=BB94_5 Depth=1
	v_add_u32_e32 v2, v19, v1
	v_lshl_add_u64 v[12:13], v[2:3], 3, s[4:5]
	global_load_dwordx2 v[16:17], v[12:13], off
	s_waitcnt vmcnt(0)
	v_fma_f64 v[8:9], -v[8:9], v[10:11], v[16:17]
	global_store_dwordx2 v[12:13], v[8:9], off
	s_branch .LBB94_3
.LBB94_14:
	s_or_b64 exec, exec, s[16:17]
	s_branch .LBB94_16
.LBB94_15:
	v_mov_b32_e32 v1, 0
.LBB94_16:
	v_subrev_u32_e32 v1, s20, v1
	v_add_u32_e32 v2, v1, v0
	v_ashrrev_i32_e32 v3, 31, v2
	s_waitcnt lgkmcnt(0)
	v_lshl_add_u64 v[2:3], v[2:3], 2, s[12:13]
	buffer_wbl2 sc1
	s_waitcnt vmcnt(0)
	buffer_inv sc1
	global_load_dword v2, v[2:3], off
	s_waitcnt vmcnt(0)
	v_mul_lo_u32 v2, v2, s20
	v_sub_u32_e32 v1, v1, v2
	v_cmp_lt_i32_e32 vcc, -1, v1
	s_and_b64 exec, exec, vcc
	s_cbranch_execz .LBB94_23
; %bb.17:
	s_add_i32 s0, s21, s20
	v_add_u32_e32 v8, s0, v0
	s_and_b32 s8, s22, -2
	s_mov_b64 s[0:1], 0
	v_mov_b32_e32 v3, 0
	s_branch .LBB94_19
.LBB94_18:                              ;   in Loop: Header=BB94_19 Depth=1
	s_or_b64 exec, exec, s[2:3]
	v_sub_u32_e32 v1, v1, v2
	v_cmp_gt_i32_e32 vcc, 0, v1
	s_or_b64 s[0:1], vcc, s[0:1]
	s_andn2_b64 exec, exec, s[0:1]
	s_cbranch_execz .LBB94_23
.LBB94_19:                              ; =>This Inner Loop Header: Depth=1
	v_add_u32_e32 v6, v1, v0
	v_ashrrev_i32_e32 v7, 31, v6
	s_waitcnt vmcnt(0)
	v_lshl_add_u64 v[4:5], v[6:7], 2, s[12:13]
	global_load_dword v2, v[4:5], off
	v_lshl_add_u64 v[4:5], v[6:7], 3, s[6:7]
	global_load_dwordx2 v[4:5], v[4:5], off
	s_waitcnt vmcnt(1)
	v_cmp_ne_u32_e32 vcc, 1, v2
	s_and_saveexec_b64 s[2:3], vcc
	s_xor_b64 s[2:3], exec, s[2:3]
	s_cbranch_execz .LBB94_21
; %bb.20:                               ;   in Loop: Header=BB94_19 Depth=1
	v_add_u32_e32 v2, v8, v1
	v_lshl_add_u64 v[10:11], v[2:3], 3, s[4:5]
	v_add_u32_e32 v2, s21, v6
	v_lshl_add_u64 v[6:7], v[2:3], 3, s[4:5]
	global_load_dwordx2 v[12:13], v[10:11], off
	global_load_dwordx2 v[14:15], v[6:7], off
	v_subrev_u32_e32 v2, s20, v1
	v_add_u32_e32 v10, v2, v0
	v_ashrrev_i32_e32 v11, 31, v10
	v_add_u32_e32 v2, s21, v10
	v_lshl_add_u64 v[10:11], v[10:11], 3, s[6:7]
	global_load_dwordx2 v[10:11], v[10:11], off
	s_waitcnt vmcnt(1)
	v_fma_f64 v[4:5], -v[4:5], v[12:13], v[14:15]
	global_store_dwordx2 v[6:7], v[4:5], off
	v_lshl_add_u64 v[4:5], v[2:3], 3, s[4:5]
	global_load_dwordx2 v[6:7], v[4:5], off
	s_waitcnt vmcnt(0)
	v_fma_f64 v[6:7], -v[10:11], v[12:13], v[6:7]
	global_store_dwordx2 v[4:5], v[6:7], off
                                        ; implicit-def: $vgpr6
                                        ; implicit-def: $vgpr4_vgpr5
.LBB94_21:                              ;   in Loop: Header=BB94_19 Depth=1
	s_or_saveexec_b64 s[2:3], s[2:3]
	v_mov_b32_e32 v2, s8
	s_xor_b64 exec, exec, s[2:3]
	s_cbranch_execz .LBB94_18
; %bb.22:                               ;   in Loop: Header=BB94_19 Depth=1
	v_add_u32_e32 v2, v8, v1
	v_lshl_add_u64 v[10:11], v[2:3], 3, s[4:5]
	v_add_u32_e32 v2, s21, v6
	v_lshl_add_u64 v[6:7], v[2:3], 3, s[4:5]
	global_load_dwordx2 v[12:13], v[10:11], off
	global_load_dwordx2 v[14:15], v[6:7], off
	v_mov_b32_e32 v2, s20
	s_waitcnt vmcnt(0)
	v_fma_f64 v[4:5], -v[4:5], v[12:13], v[14:15]
	global_store_dwordx2 v[6:7], v[4:5], off
	s_branch .LBB94_18
.LBB94_23:
	s_endpgm
	.section	.rodata,"a",@progbits
	.p2align	6, 0x0
	.amdhsa_kernel _ZN9rocsparseL19gtsv_LBM_rhs_kernelILj256ELj2ELj1EdEEviiiPKT2_S3_S3_PS1_S3_PKi
		.amdhsa_group_segment_fixed_size 0
		.amdhsa_private_segment_fixed_size 0
		.amdhsa_kernarg_size 64
		.amdhsa_user_sgpr_count 2
		.amdhsa_user_sgpr_dispatch_ptr 0
		.amdhsa_user_sgpr_queue_ptr 0
		.amdhsa_user_sgpr_kernarg_segment_ptr 1
		.amdhsa_user_sgpr_dispatch_id 0
		.amdhsa_user_sgpr_kernarg_preload_length 0
		.amdhsa_user_sgpr_kernarg_preload_offset 0
		.amdhsa_user_sgpr_private_segment_size 0
		.amdhsa_uses_dynamic_stack 0
		.amdhsa_enable_private_segment 0
		.amdhsa_system_sgpr_workgroup_id_x 1
		.amdhsa_system_sgpr_workgroup_id_y 1
		.amdhsa_system_sgpr_workgroup_id_z 0
		.amdhsa_system_sgpr_workgroup_info 0
		.amdhsa_system_vgpr_workitem_id 0
		.amdhsa_next_free_vgpr 32
		.amdhsa_next_free_sgpr 24
		.amdhsa_accum_offset 32
		.amdhsa_reserve_vcc 1
		.amdhsa_float_round_mode_32 0
		.amdhsa_float_round_mode_16_64 0
		.amdhsa_float_denorm_mode_32 3
		.amdhsa_float_denorm_mode_16_64 3
		.amdhsa_dx10_clamp 1
		.amdhsa_ieee_mode 1
		.amdhsa_fp16_overflow 0
		.amdhsa_tg_split 0
		.amdhsa_exception_fp_ieee_invalid_op 0
		.amdhsa_exception_fp_denorm_src 0
		.amdhsa_exception_fp_ieee_div_zero 0
		.amdhsa_exception_fp_ieee_overflow 0
		.amdhsa_exception_fp_ieee_underflow 0
		.amdhsa_exception_fp_ieee_inexact 0
		.amdhsa_exception_int_div_zero 0
	.end_amdhsa_kernel
	.section	.text._ZN9rocsparseL19gtsv_LBM_rhs_kernelILj256ELj2ELj1EdEEviiiPKT2_S3_S3_PS1_S3_PKi,"axG",@progbits,_ZN9rocsparseL19gtsv_LBM_rhs_kernelILj256ELj2ELj1EdEEviiiPKT2_S3_S3_PS1_S3_PKi,comdat
.Lfunc_end94:
	.size	_ZN9rocsparseL19gtsv_LBM_rhs_kernelILj256ELj2ELj1EdEEviiiPKT2_S3_S3_PS1_S3_PKi, .Lfunc_end94-_ZN9rocsparseL19gtsv_LBM_rhs_kernelILj256ELj2ELj1EdEEviiiPKT2_S3_S3_PS1_S3_PKi
                                        ; -- End function
	.set _ZN9rocsparseL19gtsv_LBM_rhs_kernelILj256ELj2ELj1EdEEviiiPKT2_S3_S3_PS1_S3_PKi.num_vgpr, 32
	.set _ZN9rocsparseL19gtsv_LBM_rhs_kernelILj256ELj2ELj1EdEEviiiPKT2_S3_S3_PS1_S3_PKi.num_agpr, 0
	.set _ZN9rocsparseL19gtsv_LBM_rhs_kernelILj256ELj2ELj1EdEEviiiPKT2_S3_S3_PS1_S3_PKi.numbered_sgpr, 24
	.set _ZN9rocsparseL19gtsv_LBM_rhs_kernelILj256ELj2ELj1EdEEviiiPKT2_S3_S3_PS1_S3_PKi.num_named_barrier, 0
	.set _ZN9rocsparseL19gtsv_LBM_rhs_kernelILj256ELj2ELj1EdEEviiiPKT2_S3_S3_PS1_S3_PKi.private_seg_size, 0
	.set _ZN9rocsparseL19gtsv_LBM_rhs_kernelILj256ELj2ELj1EdEEviiiPKT2_S3_S3_PS1_S3_PKi.uses_vcc, 1
	.set _ZN9rocsparseL19gtsv_LBM_rhs_kernelILj256ELj2ELj1EdEEviiiPKT2_S3_S3_PS1_S3_PKi.uses_flat_scratch, 0
	.set _ZN9rocsparseL19gtsv_LBM_rhs_kernelILj256ELj2ELj1EdEEviiiPKT2_S3_S3_PS1_S3_PKi.has_dyn_sized_stack, 0
	.set _ZN9rocsparseL19gtsv_LBM_rhs_kernelILj256ELj2ELj1EdEEviiiPKT2_S3_S3_PS1_S3_PKi.has_recursion, 0
	.set _ZN9rocsparseL19gtsv_LBM_rhs_kernelILj256ELj2ELj1EdEEviiiPKT2_S3_S3_PS1_S3_PKi.has_indirect_call, 0
	.section	.AMDGPU.csdata,"",@progbits
; Kernel info:
; codeLenInByte = 1128
; TotalNumSgprs: 30
; NumVgprs: 32
; NumAgprs: 0
; TotalNumVgprs: 32
; ScratchSize: 0
; MemoryBound: 0
; FloatMode: 240
; IeeeMode: 1
; LDSByteSize: 0 bytes/workgroup (compile time only)
; SGPRBlocks: 3
; VGPRBlocks: 3
; NumSGPRsForWavesPerEU: 30
; NumVGPRsForWavesPerEU: 32
; AccumOffset: 32
; Occupancy: 8
; WaveLimiterHint : 0
; COMPUTE_PGM_RSRC2:SCRATCH_EN: 0
; COMPUTE_PGM_RSRC2:USER_SGPR: 2
; COMPUTE_PGM_RSRC2:TRAP_HANDLER: 0
; COMPUTE_PGM_RSRC2:TGID_X_EN: 1
; COMPUTE_PGM_RSRC2:TGID_Y_EN: 1
; COMPUTE_PGM_RSRC2:TGID_Z_EN: 0
; COMPUTE_PGM_RSRC2:TIDIG_COMP_CNT: 0
; COMPUTE_PGM_RSRC3_GFX90A:ACCUM_OFFSET: 7
; COMPUTE_PGM_RSRC3_GFX90A:TG_SPLIT: 0
	.section	.text._ZN9rocsparseL29gtsv_spike_block_level_kernelILj256ELj2EdEEviiiPT1_PKS1_S4_S2_S2_S2_S2_S2_,"axG",@progbits,_ZN9rocsparseL29gtsv_spike_block_level_kernelILj256ELj2EdEEviiiPT1_PKS1_S4_S2_S2_S2_S2_S2_,comdat
	.globl	_ZN9rocsparseL29gtsv_spike_block_level_kernelILj256ELj2EdEEviiiPT1_PKS1_S4_S2_S2_S2_S2_S2_ ; -- Begin function _ZN9rocsparseL29gtsv_spike_block_level_kernelILj256ELj2EdEEviiiPT1_PKS1_S4_S2_S2_S2_S2_S2_
	.p2align	8
	.type	_ZN9rocsparseL29gtsv_spike_block_level_kernelILj256ELj2EdEEviiiPT1_PKS1_S4_S2_S2_S2_S2_S2_,@function
_ZN9rocsparseL29gtsv_spike_block_level_kernelILj256ELj2EdEEviiiPT1_PKS1_S4_S2_S2_S2_S2_S2_: ; @_ZN9rocsparseL29gtsv_spike_block_level_kernelILj256ELj2EdEEviiiPT1_PKS1_S4_S2_S2_S2_S2_S2_
; %bb.0:
	s_load_dword s19, s[0:1], 0x0
	s_load_dwordx2 s[8:9], s[0:1], 0x18
	v_lshl_or_b32 v2, s2, 8, v0
	v_mov_b64_e32 v[6:7], 0
	v_mov_b64_e32 v[8:9], 0
	s_waitcnt lgkmcnt(0)
	s_lshr_b32 s18, s19, 1
	v_cmp_gt_i32_e64 s[4:5], s18, v2
	s_and_saveexec_b64 s[6:7], s[4:5]
	s_cbranch_execz .LBB95_2
; %bb.1:
	v_ashrrev_i32_e32 v3, 31, v2
	v_lshl_add_u64 v[4:5], v[2:3], 3, s[8:9]
	global_load_dwordx2 v[8:9], v[4:5], off
.LBB95_2:
	s_or_b64 exec, exec, s[6:7]
	s_load_dwordx2 s[6:7], s[0:1], 0x20
	v_lshlrev_b32_e32 v1, 3, v0
	v_or_b32_e32 v5, 0x1000, v1
	v_add_u32_e32 v4, s18, v2
	s_waitcnt vmcnt(0)
	ds_write_b64 v1, v[8:9] offset:4096
	s_and_saveexec_b64 s[10:11], s[4:5]
	s_cbranch_execz .LBB95_4
; %bb.3:
	v_add_u32_e32 v6, s18, v2
	v_mov_b32_e32 v7, 0
	v_lshl_add_u64 v[6:7], v[6:7], 3, s[8:9]
	global_load_dwordx2 v[6:7], v[6:7], off
.LBB95_4:
	s_or_b64 exec, exec, s[10:11]
	s_waitcnt vmcnt(0)
	ds_write_b64 v5, v[6:7] offset:2048
	v_mov_b64_e32 v[6:7], 0
	v_mov_b64_e32 v[8:9], 0
	s_and_saveexec_b64 s[8:9], s[4:5]
	s_cbranch_execz .LBB95_6
; %bb.5:
	v_ashrrev_i32_e32 v3, 31, v2
	s_waitcnt lgkmcnt(0)
	v_lshl_add_u64 v[8:9], v[2:3], 3, s[6:7]
	global_load_dwordx2 v[8:9], v[8:9], off
.LBB95_6:
	s_or_b64 exec, exec, s[8:9]
	s_load_dwordx2 s[12:13], s[0:1], 0x10
	s_waitcnt vmcnt(0)
	ds_write_b64 v1, v[8:9]
	s_and_saveexec_b64 s[8:9], s[4:5]
	s_cbranch_execz .LBB95_8
; %bb.7:
	v_add_u32_e32 v6, s18, v2
	v_mov_b32_e32 v7, 0
	s_waitcnt lgkmcnt(0)
	v_lshl_add_u64 v[6:7], v[6:7], 3, s[6:7]
	global_load_dwordx2 v[6:7], v[6:7], off
.LBB95_8:
	s_or_b64 exec, exec, s[8:9]
	s_mul_i32 s19, s19, s3
	s_waitcnt vmcnt(0)
	ds_write_b64 v1, v[6:7] offset:2048
	v_mov_b64_e32 v[8:9], 0
	v_add_u32_e32 v6, s19, v2
	v_mov_b64_e32 v[10:11], 0
	s_waitcnt lgkmcnt(0)
	s_and_saveexec_b64 s[6:7], s[4:5]
	s_cbranch_execz .LBB95_10
; %bb.9:
	v_ashrrev_i32_e32 v7, 31, v6
	v_lshl_add_u64 v[10:11], v[6:7], 3, s[12:13]
	global_load_dwordx2 v[10:11], v[10:11], off
.LBB95_10:
	s_or_b64 exec, exec, s[6:7]
	v_or_b32_e32 v7, 0x2000, v1
	s_waitcnt vmcnt(0)
	ds_write_b64 v1, v[10:11] offset:8192
	s_and_saveexec_b64 s[6:7], s[4:5]
	s_cbranch_execz .LBB95_12
; %bb.11:
	s_add_i32 s8, s19, s18
	v_add_u32_e32 v8, s8, v2
	v_mov_b32_e32 v9, 0
	v_lshl_add_u64 v[8:9], v[8:9], 3, s[12:13]
	global_load_dwordx2 v[8:9], v[8:9], off
.LBB95_12:
	s_or_b64 exec, exec, s[6:7]
	s_movk_i32 s6, 0x80
	v_cmp_gt_u32_e32 vcc, s6, v0
	s_waitcnt vmcnt(0)
	ds_write_b64 v7, v[8:9] offset:2048
	s_waitcnt lgkmcnt(0)
	s_barrier
	s_and_saveexec_b64 s[6:7], vcc
	s_cbranch_execz .LBB95_14
; %bb.13:
	v_add_u32_e32 v3, v5, v1
	ds_read_b128 v[8:11], v3
	v_add_u32_e32 v42, v1, v1
	ds_read_b128 v[12:15], v42 offset:2048
	ds_read_b128 v[16:19], v42
	ds_read_b128 v[20:23], v3 offset:2048
	v_add_u32_e32 v43, v7, v1
	s_waitcnt lgkmcnt(2)
	v_fma_f64 v[32:33], -v[10:11], v[12:13], 1.0
	v_div_scale_f64 v[34:35], s[8:9], v[32:33], v[32:33], 1.0
	v_rcp_f64_e32 v[36:37], v[34:35]
	v_div_scale_f64 v[38:39], vcc, 1.0, v[32:33], 1.0
	v_fma_f64 v[24:25], -v[34:35], v[36:37], 1.0
	v_fmac_f64_e32 v[36:37], v[36:37], v[24:25]
	v_fma_f64 v[24:25], -v[34:35], v[36:37], 1.0
	v_fmac_f64_e32 v[36:37], v[36:37], v[24:25]
	ds_read_b128 v[24:27], v43 offset:2048
	ds_read_b128 v[28:31], v43
	v_mul_f64 v[40:41], v[38:39], v[36:37]
	v_fma_f64 v[34:35], -v[34:35], v[40:41], v[38:39]
	v_div_fmas_f64 v[34:35], v[34:35], v[36:37], v[40:41]
	v_div_fixup_f64 v[36:37], v[34:35], v[32:33], 1.0
	s_waitcnt lgkmcnt(0)
	v_fma_f64 v[32:33], -v[12:13], v[30:31], v[24:25]
	v_fma_f64 v[24:25], -v[10:11], v[24:25], v[30:31]
	v_mul_f64 v[12:13], v[12:13], v[18:19]
	v_mul_f64 v[10:11], v[10:11], v[20:21]
	;; [unrolled: 1-line block ×4, first 2 shown]
	v_mul_f64 v[12:13], v[12:13], -v[36:37]
	v_mul_f64 v[18:19], v[36:37], v[18:19]
	v_mul_f64 v[10:11], v[10:11], -v[36:37]
	v_mul_f64 v[20:21], v[36:37], v[20:21]
	v_fma_f64 v[28:29], -v[30:31], v[16:17], v[28:29]
	v_fma_f64 v[34:35], -v[22:23], v[32:33], v[26:27]
	;; [unrolled: 1-line block ×3, first 2 shown]
	v_mul_f64 v[16:17], v[18:19], -v[16:17]
	v_fma_f64 v[14:15], -v[12:13], v[22:23], v[14:15]
	v_mul_f64 v[22:23], v[20:21], -v[22:23]
	ds_write_b128 v43, v[28:31]
	ds_write_b128 v43, v[32:35] offset:2048
	ds_write_b128 v3, v[8:11]
	ds_write_b128 v42, v[16:19]
	ds_write_b128 v42, v[12:15] offset:2048
	ds_write_b128 v3, v[20:23] offset:2048
.LBB95_14:
	s_or_b64 exec, exec, s[6:7]
	v_cmp_gt_u32_e32 vcc, 64, v0
	s_waitcnt lgkmcnt(0)
	s_barrier
	s_and_saveexec_b64 s[6:7], vcc
	s_cbranch_execz .LBB95_16
; %bb.15:
	v_lshlrev_b32_e32 v3, 5, v0
	v_add_u32_e32 v36, 0x1000, v3
	v_add_u32_e32 v37, 0x800, v3
	ds_read2_b64 v[8:11], v36 offset1:2
	ds_read2_b64 v[12:15], v37 offset0:1 offset1:3
	v_mad_u32_u24 v38, v0, 24, v7
	v_add_u32_e32 v39, 0x800, v38
	v_add_u32_e32 v40, 0x1800, v3
	s_waitcnt lgkmcnt(0)
	v_fma_f64 v[24:25], -v[10:11], v[12:13], 1.0
	v_div_scale_f64 v[26:27], s[8:9], v[24:25], v[24:25], 1.0
	v_rcp_f64_e32 v[28:29], v[26:27]
	v_div_scale_f64 v[30:31], vcc, 1.0, v[24:25], 1.0
	v_fma_f64 v[16:17], -v[26:27], v[28:29], 1.0
	v_fmac_f64_e32 v[28:29], v[28:29], v[16:17]
	v_fma_f64 v[16:17], -v[26:27], v[28:29], 1.0
	v_fmac_f64_e32 v[28:29], v[28:29], v[16:17]
	ds_read2_b64 v[16:19], v39 offset0:1 offset1:3
	ds_read2_b64 v[20:23], v38 offset1:2
	v_mul_f64 v[32:33], v[30:31], v[28:29]
	v_fma_f64 v[26:27], -v[26:27], v[32:33], v[30:31]
	v_div_fmas_f64 v[26:27], v[26:27], v[28:29], v[32:33]
	v_div_fixup_f64 v[32:33], v[26:27], v[24:25], 1.0
	s_waitcnt lgkmcnt(0)
	v_fma_f64 v[24:25], -v[12:13], v[22:23], v[16:17]
	v_mul_f64 v[34:35], v[32:33], v[24:25]
	ds_read2_b64 v[24:27], v3 offset1:2
	ds_read2_b64 v[28:31], v40 offset0:1 offset1:3
	v_fma_f64 v[16:17], -v[10:11], v[16:17], v[22:23]
	v_mul_f64 v[16:17], v[16:17], v[32:33]
	s_waitcnt lgkmcnt(1)
	v_fma_f64 v[20:21], -v[16:17], v[24:25], v[20:21]
	s_waitcnt lgkmcnt(0)
	v_mul_f64 v[10:11], v[10:11], v[28:29]
	ds_write2_b64 v38, v[20:21], v[16:17] offset1:2
	v_fma_f64 v[16:17], -v[30:31], v[34:35], v[18:19]
	v_mul_f64 v[10:11], v[10:11], -v[32:33]
	ds_write2_b64 v39, v[34:35], v[16:17] offset0:1 offset1:3
	v_mul_f64 v[12:13], v[12:13], v[26:27]
	v_mul_f64 v[16:17], v[32:33], v[26:27]
	v_fma_f64 v[8:9], -v[10:11], v[24:25], v[8:9]
	v_mul_f64 v[12:13], v[12:13], -v[32:33]
	ds_write2_b64 v36, v[8:9], v[10:11] offset1:2
	v_mul_f64 v[8:9], v[16:17], -v[24:25]
	v_mul_f64 v[18:19], v[32:33], v[28:29]
	ds_write2_b64 v3, v[8:9], v[16:17] offset1:2
	v_fma_f64 v[8:9], -v[12:13], v[30:31], v[14:15]
	ds_write2_b64 v37, v[12:13], v[8:9] offset0:1 offset1:3
	v_mul_f64 v[8:9], v[18:19], -v[30:31]
	ds_write2_b64 v40, v[18:19], v[8:9] offset0:1 offset1:3
.LBB95_16:
	s_or_b64 exec, exec, s[6:7]
	v_cmp_gt_u32_e32 vcc, 32, v0
	s_waitcnt lgkmcnt(0)
	s_barrier
	s_and_saveexec_b64 s[6:7], vcc
	s_cbranch_execz .LBB95_18
; %bb.17:
	v_lshlrev_b32_e32 v3, 6, v0
	v_add_u32_e32 v36, 0x1000, v3
	v_add_u32_e32 v37, 0x800, v3
	ds_read2_b64 v[8:11], v36 offset1:4
	ds_read2_b64 v[12:15], v37 offset0:3 offset1:7
	v_add_u32_e32 v38, 0x2800, v3
	v_add_u32_e32 v39, 0x2000, v3
	ds_read2_b64 v[16:19], v38 offset0:3 offset1:7
	v_add_u32_e32 v40, 0x1800, v3
	s_waitcnt lgkmcnt(1)
	v_fma_f64 v[24:25], -v[10:11], v[12:13], 1.0
	v_div_scale_f64 v[26:27], s[8:9], v[24:25], v[24:25], 1.0
	v_rcp_f64_e32 v[28:29], v[26:27]
	v_div_scale_f64 v[30:31], vcc, 1.0, v[24:25], 1.0
	v_fma_f64 v[20:21], -v[26:27], v[28:29], 1.0
	v_fmac_f64_e32 v[28:29], v[28:29], v[20:21]
	v_fma_f64 v[20:21], -v[26:27], v[28:29], 1.0
	v_fmac_f64_e32 v[28:29], v[28:29], v[20:21]
	ds_read2_b64 v[20:23], v39 offset1:4
	v_mul_f64 v[32:33], v[30:31], v[28:29]
	v_fma_f64 v[26:27], -v[26:27], v[32:33], v[30:31]
	v_div_fmas_f64 v[26:27], v[26:27], v[28:29], v[32:33]
	v_div_fixup_f64 v[32:33], v[26:27], v[24:25], 1.0
	s_waitcnt lgkmcnt(0)
	v_fma_f64 v[24:25], -v[12:13], v[22:23], v[16:17]
	v_mul_f64 v[34:35], v[32:33], v[24:25]
	ds_read2_b64 v[24:27], v3 offset1:4
	ds_read2_b64 v[28:31], v40 offset0:3 offset1:7
	v_fma_f64 v[16:17], -v[10:11], v[16:17], v[22:23]
	v_mul_f64 v[16:17], v[16:17], v[32:33]
	s_waitcnt lgkmcnt(1)
	v_fma_f64 v[20:21], -v[16:17], v[24:25], v[20:21]
	s_waitcnt lgkmcnt(0)
	v_mul_f64 v[10:11], v[10:11], v[28:29]
	ds_write2_b64 v39, v[20:21], v[16:17] offset1:4
	v_fma_f64 v[16:17], -v[30:31], v[34:35], v[18:19]
	v_mul_f64 v[10:11], v[10:11], -v[32:33]
	ds_write2_b64 v38, v[34:35], v[16:17] offset0:3 offset1:7
	v_mul_f64 v[12:13], v[12:13], v[26:27]
	v_mul_f64 v[16:17], v[32:33], v[26:27]
	v_fma_f64 v[8:9], -v[10:11], v[24:25], v[8:9]
	v_mul_f64 v[12:13], v[12:13], -v[32:33]
	ds_write2_b64 v36, v[8:9], v[10:11] offset1:4
	v_mul_f64 v[8:9], v[16:17], -v[24:25]
	v_mul_f64 v[18:19], v[32:33], v[28:29]
	ds_write2_b64 v3, v[8:9], v[16:17] offset1:4
	v_fma_f64 v[8:9], -v[12:13], v[30:31], v[14:15]
	ds_write2_b64 v37, v[12:13], v[8:9] offset0:3 offset1:7
	v_mul_f64 v[8:9], v[18:19], -v[30:31]
	ds_write2_b64 v40, v[18:19], v[8:9] offset0:3 offset1:7
.LBB95_18:
	s_or_b64 exec, exec, s[6:7]
	v_cmp_gt_u32_e32 vcc, 16, v0
	s_waitcnt lgkmcnt(0)
	s_barrier
	s_and_saveexec_b64 s[6:7], vcc
	s_cbranch_execz .LBB95_20
; %bb.19:
	v_lshlrev_b32_e32 v3, 7, v0
	v_add_u32_e32 v36, 0x1000, v3
	v_add_u32_e32 v37, 0x800, v3
	ds_read2_b64 v[8:11], v36 offset1:8
	ds_read2_b64 v[12:15], v37 offset0:7 offset1:15
	v_add_u32_e32 v38, 0x2800, v3
	v_add_u32_e32 v39, 0x2000, v3
	ds_read2_b64 v[16:19], v38 offset0:7 offset1:15
	v_add_u32_e32 v40, 0x1800, v3
	s_waitcnt lgkmcnt(1)
	v_fma_f64 v[24:25], -v[10:11], v[12:13], 1.0
	v_div_scale_f64 v[26:27], s[8:9], v[24:25], v[24:25], 1.0
	v_rcp_f64_e32 v[28:29], v[26:27]
	v_div_scale_f64 v[30:31], vcc, 1.0, v[24:25], 1.0
	v_fma_f64 v[20:21], -v[26:27], v[28:29], 1.0
	v_fmac_f64_e32 v[28:29], v[28:29], v[20:21]
	v_fma_f64 v[20:21], -v[26:27], v[28:29], 1.0
	v_fmac_f64_e32 v[28:29], v[28:29], v[20:21]
	ds_read2_b64 v[20:23], v39 offset1:8
	v_mul_f64 v[32:33], v[30:31], v[28:29]
	v_fma_f64 v[26:27], -v[26:27], v[32:33], v[30:31]
	v_div_fmas_f64 v[26:27], v[26:27], v[28:29], v[32:33]
	v_div_fixup_f64 v[32:33], v[26:27], v[24:25], 1.0
	s_waitcnt lgkmcnt(0)
	v_fma_f64 v[24:25], -v[12:13], v[22:23], v[16:17]
	v_mul_f64 v[34:35], v[32:33], v[24:25]
	ds_read2_b64 v[24:27], v3 offset1:8
	ds_read2_b64 v[28:31], v40 offset0:7 offset1:15
	v_fma_f64 v[16:17], -v[10:11], v[16:17], v[22:23]
	v_mul_f64 v[16:17], v[16:17], v[32:33]
	s_waitcnt lgkmcnt(1)
	v_fma_f64 v[20:21], -v[16:17], v[24:25], v[20:21]
	s_waitcnt lgkmcnt(0)
	v_mul_f64 v[10:11], v[10:11], v[28:29]
	ds_write2_b64 v39, v[20:21], v[16:17] offset1:8
	v_fma_f64 v[16:17], -v[30:31], v[34:35], v[18:19]
	v_mul_f64 v[10:11], v[10:11], -v[32:33]
	ds_write2_b64 v38, v[34:35], v[16:17] offset0:7 offset1:15
	v_mul_f64 v[12:13], v[12:13], v[26:27]
	v_mul_f64 v[16:17], v[32:33], v[26:27]
	v_fma_f64 v[8:9], -v[10:11], v[24:25], v[8:9]
	v_mul_f64 v[12:13], v[12:13], -v[32:33]
	ds_write2_b64 v36, v[8:9], v[10:11] offset1:8
	v_mul_f64 v[8:9], v[16:17], -v[24:25]
	v_mul_f64 v[18:19], v[32:33], v[28:29]
	ds_write2_b64 v3, v[8:9], v[16:17] offset1:8
	v_fma_f64 v[8:9], -v[12:13], v[30:31], v[14:15]
	ds_write2_b64 v37, v[12:13], v[8:9] offset0:7 offset1:15
	v_mul_f64 v[8:9], v[18:19], -v[30:31]
	ds_write2_b64 v40, v[18:19], v[8:9] offset0:7 offset1:15
.LBB95_20:
	;; [unrolled: 58-line block ×4, first 2 shown]
	s_or_b64 exec, exec, s[6:7]
	v_cmp_gt_u32_e32 vcc, 2, v0
	s_waitcnt lgkmcnt(0)
	s_barrier
	s_and_saveexec_b64 s[6:7], vcc
	s_cbranch_execz .LBB95_26
; %bb.25:
	v_lshlrev_b32_e32 v3, 10, v0
	v_add_u32_e32 v42, 0x1f8, v3
	ds_read2st64_b64 v[8:11], v42 offset0:4 offset1:5
	ds_read2st64_b64 v[12:15], v3 offset0:8 offset1:9
	ds_read2st64_b64 v[16:19], v3 offset1:1
	ds_read2st64_b64 v[20:23], v42 offset0:12 offset1:13
	ds_read2st64_b64 v[24:27], v42 offset0:20 offset1:21
	s_waitcnt lgkmcnt(3)
	v_fma_f64 v[32:33], -v[14:15], v[8:9], 1.0
	v_div_scale_f64 v[34:35], s[8:9], v[32:33], v[32:33], 1.0
	v_rcp_f64_e32 v[36:37], v[34:35]
	v_div_scale_f64 v[38:39], vcc, 1.0, v[32:33], 1.0
	v_fma_f64 v[28:29], -v[34:35], v[36:37], 1.0
	v_fmac_f64_e32 v[36:37], v[36:37], v[28:29]
	v_fma_f64 v[28:29], -v[34:35], v[36:37], 1.0
	v_fmac_f64_e32 v[36:37], v[36:37], v[28:29]
	ds_read2st64_b64 v[28:31], v3 offset0:16 offset1:17
	v_mul_f64 v[40:41], v[38:39], v[36:37]
	v_fma_f64 v[34:35], -v[34:35], v[40:41], v[38:39]
	v_div_fmas_f64 v[34:35], v[34:35], v[36:37], v[40:41]
	v_div_fixup_f64 v[32:33], v[34:35], v[32:33], 1.0
	s_waitcnt lgkmcnt(0)
	v_fma_f64 v[34:35], -v[8:9], v[30:31], v[24:25]
	v_fma_f64 v[24:25], -v[14:15], v[24:25], v[30:31]
	v_mul_f64 v[8:9], v[8:9], v[18:19]
	v_mul_f64 v[14:15], v[14:15], v[20:21]
	;; [unrolled: 1-line block ×3, first 2 shown]
	v_mul_f64 v[8:9], v[8:9], -v[32:33]
	v_mul_f64 v[14:15], v[14:15], -v[32:33]
	v_mul_f64 v[34:35], v[32:33], v[34:35]
	v_fma_f64 v[28:29], -v[24:25], v[16:17], v[28:29]
	v_mul_f64 v[18:19], v[32:33], v[18:19]
	v_mul_f64 v[20:21], v[32:33], v[20:21]
	v_fma_f64 v[12:13], -v[14:15], v[16:17], v[12:13]
	v_fma_f64 v[10:11], -v[8:9], v[22:23], v[10:11]
	ds_write2st64_b64 v3, v[28:29], v[24:25] offset0:16 offset1:17
	v_fma_f64 v[24:25], -v[22:23], v[34:35], v[26:27]
	ds_write2st64_b64 v3, v[12:13], v[14:15] offset0:8 offset1:9
	v_mul_f64 v[12:13], v[18:19], -v[16:17]
	ds_write2st64_b64 v42, v[8:9], v[10:11] offset0:4 offset1:5
	v_mul_f64 v[8:9], v[20:21], -v[22:23]
	ds_write2st64_b64 v42, v[34:35], v[24:25] offset0:20 offset1:21
	ds_write2st64_b64 v3, v[12:13], v[18:19] offset1:1
	ds_write2st64_b64 v42, v[20:21], v[8:9] offset0:12 offset1:13
.LBB95_26:
	s_or_b64 exec, exec, s[6:7]
	v_cmp_eq_u32_e64 s[6:7], 0, v0
	s_waitcnt lgkmcnt(0)
	s_barrier
	s_and_saveexec_b64 s[8:9], s[6:7]
	s_cbranch_execz .LBB95_28
; %bb.27:
	s_movk_i32 s10, 0x1400
	v_add_u32_e64 v3, s10, 0
	v_mov_b32_e32 v0, 0
	ds_read2_b64 v[8:11], v3 offset1:255
	ds_read_b64 v[24:25], v0 offset:3064
	ds_read_b64 v[26:27], v0 offset:12280
	v_mov_b32_e32 v35, 0x1ff8
	s_waitcnt lgkmcnt(1)
	v_fma_f64 v[16:17], -v[8:9], v[24:25], 1.0
	v_div_scale_f64 v[18:19], s[10:11], v[16:17], v[16:17], 1.0
	v_rcp_f64_e32 v[20:21], v[18:19]
	s_movk_i32 s10, 0x2400
	v_add_u32_e64 v34, s10, 0
	v_div_scale_f64 v[22:23], vcc, 1.0, v[16:17], 1.0
	v_fma_f64 v[12:13], -v[18:19], v[20:21], 1.0
	v_fmac_f64_e32 v[20:21], v[20:21], v[12:13]
	v_fma_f64 v[12:13], -v[18:19], v[20:21], 1.0
	v_fmac_f64_e32 v[20:21], v[20:21], v[12:13]
	ds_read2_b64 v[12:15], v34 offset1:255
	v_mul_f64 v[28:29], v[22:23], v[20:21]
	v_fma_f64 v[18:19], -v[18:19], v[28:29], v[22:23]
	v_div_fmas_f64 v[18:19], v[18:19], v[20:21], v[28:29]
	v_div_fixup_f64 v[28:29], v[18:19], v[16:17], 1.0
	s_waitcnt lgkmcnt(0)
	v_fma_f64 v[16:17], -v[24:25], v[12:13], v[14:15]
	v_fma_f64 v[20:21], -v[8:9], v[14:15], v[12:13]
	v_mul_f64 v[30:31], v[28:29], v[16:17]
	v_mul_f64 v[32:33], v[20:21], v[28:29]
	ds_read2_b64 v[12:15], v35 offset1:1
	ds_read2st64_b64 v[16:19], v0 offset1:2
	ds_write2_b64 v34, v[32:33], v[30:31] offset1:255
	v_mov_b32_e32 v34, 0xff8
	ds_read2_b64 v[20:23], v34 offset1:1
	v_mul_f64 v[8:9], v[8:9], v[10:11]
	s_waitcnt lgkmcnt(2)
	v_mul_f64 v[24:25], v[24:25], v[18:19]
	v_mul_f64 v[18:19], v[28:29], v[18:19]
	v_mul_f64 v[8:9], v[8:9], -v[28:29]
	v_mul_f64 v[10:11], v[28:29], v[10:11]
	v_fma_f64 v[14:15], -v[32:33], v[16:17], v[14:15]
	v_mul_f64 v[24:25], v[24:25], -v[28:29]
	ds_write2_b64 v3, v[8:9], v[10:11] offset1:255
	s_waitcnt lgkmcnt(1)
	v_fma_f64 v[8:9], -v[8:9], v[16:17], v[22:23]
	v_mul_f64 v[16:17], v[18:19], -v[16:17]
	ds_write2st64_b64 v0, v[16:17], v[18:19] offset1:2
	v_fma_f64 v[16:17], -v[24:25], v[12:13], v[20:21]
	v_fma_f64 v[26:27], -v[12:13], v[30:31], v[26:27]
	ds_write2_b64 v34, v[16:17], v[8:9] offset1:1
	v_mul_f64 v[8:9], v[10:11], -v[12:13]
	ds_write_b64 v0, v[26:27] offset:12280
	ds_write_b64 v0, v[24:25] offset:3064
	ds_write2_b64 v35, v[8:9], v[14:15] offset1:1
.LBB95_28:
	s_or_b64 exec, exec, s[8:9]
	s_load_dwordx2 s[14:15], s[0:1], 0x48
	s_load_dwordx4 s[8:11], s[0:1], 0x38
	s_waitcnt lgkmcnt(0)
	s_barrier
	s_and_saveexec_b64 s[16:17], s[4:5]
	s_cbranch_execnz .LBB95_31
; %bb.29:
	s_or_b64 exec, exec, s[16:17]
	s_and_saveexec_b64 s[4:5], s[6:7]
	s_cbranch_execnz .LBB95_35
.LBB95_30:
	s_endpgm
.LBB95_31:
	s_cmp_eq_u32 s3, 0
	s_cbranch_scc1 .LBB95_39
; %bb.32:
	v_add_u32_e32 v0, s18, v2
	s_cbranch_execnz .LBB95_34
.LBB95_33:
	s_load_dwordx4 s[20:23], s[0:1], 0x28
	ds_read2st64_b64 v[8:11], v5 offset1:4
	v_ashrrev_i32_e32 v3, 31, v2
	v_lshlrev_b64 v[12:13], 3, v[2:3]
	v_mov_b32_e32 v5, 0
	s_waitcnt lgkmcnt(0)
	v_lshl_add_u64 v[2:3], s[20:21], 0, v[12:13]
	global_store_dwordx2 v[2:3], v[8:9], off
	ds_read2st64_b64 v[0:3], v1 offset1:4
	v_lshlrev_b64 v[8:9], 3, v[4:5]
	v_lshl_add_u64 v[14:15], s[20:21], 0, v[8:9]
	global_store_dwordx2 v[14:15], v[10:11], off
	v_lshl_add_u64 v[10:11], s[22:23], 0, v[12:13]
	s_waitcnt lgkmcnt(0)
	global_store_dwordx2 v[10:11], v[0:1], off
	v_lshl_add_u64 v[0:1], s[22:23], 0, v[8:9]
	global_store_dwordx2 v[0:1], v[2:3], off
	v_mov_b32_e32 v0, v4
.LBB95_34:
	ds_read2st64_b64 v[2:5], v7 offset1:4
	v_ashrrev_i32_e32 v7, 31, v6
	v_add_u32_e32 v0, s19, v0
	v_mov_b32_e32 v1, 0
	v_lshl_add_u64 v[6:7], v[6:7], 3, s[12:13]
	v_lshl_add_u64 v[0:1], v[0:1], 3, s[12:13]
	s_waitcnt lgkmcnt(0)
	global_store_dwordx2 v[6:7], v[2:3], off
	global_store_dwordx2 v[0:1], v[4:5], off
	s_or_b64 exec, exec, s[16:17]
	s_and_saveexec_b64 s[4:5], s[6:7]
	s_cbranch_execz .LBB95_30
.LBB95_35:
	s_cmp_eq_u32 s3, 0
	s_cbranch_scc1 .LBB95_40
; %bb.36:
	s_load_dword s6, s[0:1], 0x50
	s_cbranch_execnz .LBB95_38
.LBB95_37:
	s_waitcnt lgkmcnt(0)
	s_load_dword s6, s[0:1], 0x50
	v_mov_b32_e32 v0, 0xff8
	ds_read2_b64 v[6:9], v0 offset1:1
	s_mov_b32 s4, s3
	s_ashr_i32 s3, s2, 31
	s_lshl_b64 s[12:13], s[2:3], 3
	v_mov_b32_e32 v4, 0
	s_mov_b32 s3, s4
	s_add_u32 s4, s10, s12
	ds_read_b64 v[2:3], v4 offset:8184
	s_addc_u32 s5, s11, s13
	s_waitcnt lgkmcnt(0)
	s_add_i32 s0, s6, s2
	s_mov_b32 s1, 0
	s_lshl_b64 s[0:1], s[0:1], 3
	global_store_dwordx2 v4, v[8:9], s[4:5]
	s_add_u32 s4, s10, s0
	ds_read_b64 v[0:1], v4
	s_addc_u32 s5, s11, s1
	global_store_dwordx2 v4, v[2:3], s[4:5]
	s_add_u32 s4, s14, s12
	s_addc_u32 s5, s15, s13
	s_add_u32 s0, s14, s0
	s_addc_u32 s1, s15, s1
	s_waitcnt lgkmcnt(0)
	global_store_dwordx2 v4, v[0:1], s[4:5]
	global_store_dwordx2 v4, v[6:7], s[0:1]
.LBB95_38:
	s_waitcnt lgkmcnt(0)
	s_mul_i32 s0, s6, s3
	s_lshl_b32 s0, s0, 1
	s_add_i32 s0, s0, s2
	s_mov_b32 s1, 0
	v_mov_b32_e32 v4, 0
	s_lshl_b64 s[2:3], s[0:1], 3
	ds_read_b64 v[0:1], v4 offset:8192
	ds_read_b64 v[2:3], v4 offset:12280
	s_add_u32 s2, s8, s2
	s_addc_u32 s3, s9, s3
	s_add_i32 s0, s0, s6
	s_lshl_b64 s[0:1], s[0:1], 3
	s_add_u32 s0, s8, s0
	s_addc_u32 s1, s9, s1
	s_waitcnt lgkmcnt(1)
	global_store_dwordx2 v4, v[0:1], s[2:3]
	s_waitcnt lgkmcnt(0)
	global_store_dwordx2 v4, v[2:3], s[0:1]
	s_endpgm
.LBB95_39:
                                        ; implicit-def: $vgpr0
	s_branch .LBB95_33
.LBB95_40:
                                        ; implicit-def: $sgpr6
	s_branch .LBB95_37
	.section	.rodata,"a",@progbits
	.p2align	6, 0x0
	.amdhsa_kernel _ZN9rocsparseL29gtsv_spike_block_level_kernelILj256ELj2EdEEviiiPT1_PKS1_S4_S2_S2_S2_S2_S2_
		.amdhsa_group_segment_fixed_size 12288
		.amdhsa_private_segment_fixed_size 0
		.amdhsa_kernarg_size 336
		.amdhsa_user_sgpr_count 2
		.amdhsa_user_sgpr_dispatch_ptr 0
		.amdhsa_user_sgpr_queue_ptr 0
		.amdhsa_user_sgpr_kernarg_segment_ptr 1
		.amdhsa_user_sgpr_dispatch_id 0
		.amdhsa_user_sgpr_kernarg_preload_length 0
		.amdhsa_user_sgpr_kernarg_preload_offset 0
		.amdhsa_user_sgpr_private_segment_size 0
		.amdhsa_uses_dynamic_stack 0
		.amdhsa_enable_private_segment 0
		.amdhsa_system_sgpr_workgroup_id_x 1
		.amdhsa_system_sgpr_workgroup_id_y 1
		.amdhsa_system_sgpr_workgroup_id_z 0
		.amdhsa_system_sgpr_workgroup_info 0
		.amdhsa_system_vgpr_workitem_id 0
		.amdhsa_next_free_vgpr 44
		.amdhsa_next_free_sgpr 24
		.amdhsa_accum_offset 44
		.amdhsa_reserve_vcc 1
		.amdhsa_float_round_mode_32 0
		.amdhsa_float_round_mode_16_64 0
		.amdhsa_float_denorm_mode_32 3
		.amdhsa_float_denorm_mode_16_64 3
		.amdhsa_dx10_clamp 1
		.amdhsa_ieee_mode 1
		.amdhsa_fp16_overflow 0
		.amdhsa_tg_split 0
		.amdhsa_exception_fp_ieee_invalid_op 0
		.amdhsa_exception_fp_denorm_src 0
		.amdhsa_exception_fp_ieee_div_zero 0
		.amdhsa_exception_fp_ieee_overflow 0
		.amdhsa_exception_fp_ieee_underflow 0
		.amdhsa_exception_fp_ieee_inexact 0
		.amdhsa_exception_int_div_zero 0
	.end_amdhsa_kernel
	.section	.text._ZN9rocsparseL29gtsv_spike_block_level_kernelILj256ELj2EdEEviiiPT1_PKS1_S4_S2_S2_S2_S2_S2_,"axG",@progbits,_ZN9rocsparseL29gtsv_spike_block_level_kernelILj256ELj2EdEEviiiPT1_PKS1_S4_S2_S2_S2_S2_S2_,comdat
.Lfunc_end95:
	.size	_ZN9rocsparseL29gtsv_spike_block_level_kernelILj256ELj2EdEEviiiPT1_PKS1_S4_S2_S2_S2_S2_S2_, .Lfunc_end95-_ZN9rocsparseL29gtsv_spike_block_level_kernelILj256ELj2EdEEviiiPT1_PKS1_S4_S2_S2_S2_S2_S2_
                                        ; -- End function
	.set _ZN9rocsparseL29gtsv_spike_block_level_kernelILj256ELj2EdEEviiiPT1_PKS1_S4_S2_S2_S2_S2_S2_.num_vgpr, 44
	.set _ZN9rocsparseL29gtsv_spike_block_level_kernelILj256ELj2EdEEviiiPT1_PKS1_S4_S2_S2_S2_S2_S2_.num_agpr, 0
	.set _ZN9rocsparseL29gtsv_spike_block_level_kernelILj256ELj2EdEEviiiPT1_PKS1_S4_S2_S2_S2_S2_S2_.numbered_sgpr, 24
	.set _ZN9rocsparseL29gtsv_spike_block_level_kernelILj256ELj2EdEEviiiPT1_PKS1_S4_S2_S2_S2_S2_S2_.num_named_barrier, 0
	.set _ZN9rocsparseL29gtsv_spike_block_level_kernelILj256ELj2EdEEviiiPT1_PKS1_S4_S2_S2_S2_S2_S2_.private_seg_size, 0
	.set _ZN9rocsparseL29gtsv_spike_block_level_kernelILj256ELj2EdEEviiiPT1_PKS1_S4_S2_S2_S2_S2_S2_.uses_vcc, 1
	.set _ZN9rocsparseL29gtsv_spike_block_level_kernelILj256ELj2EdEEviiiPT1_PKS1_S4_S2_S2_S2_S2_S2_.uses_flat_scratch, 0
	.set _ZN9rocsparseL29gtsv_spike_block_level_kernelILj256ELj2EdEEviiiPT1_PKS1_S4_S2_S2_S2_S2_S2_.has_dyn_sized_stack, 0
	.set _ZN9rocsparseL29gtsv_spike_block_level_kernelILj256ELj2EdEEviiiPT1_PKS1_S4_S2_S2_S2_S2_S2_.has_recursion, 0
	.set _ZN9rocsparseL29gtsv_spike_block_level_kernelILj256ELj2EdEEviiiPT1_PKS1_S4_S2_S2_S2_S2_S2_.has_indirect_call, 0
	.section	.AMDGPU.csdata,"",@progbits
; Kernel info:
; codeLenInByte = 4012
; TotalNumSgprs: 30
; NumVgprs: 44
; NumAgprs: 0
; TotalNumVgprs: 44
; ScratchSize: 0
; MemoryBound: 0
; FloatMode: 240
; IeeeMode: 1
; LDSByteSize: 12288 bytes/workgroup (compile time only)
; SGPRBlocks: 3
; VGPRBlocks: 5
; NumSGPRsForWavesPerEU: 30
; NumVGPRsForWavesPerEU: 44
; AccumOffset: 44
; Occupancy: 8
; WaveLimiterHint : 0
; COMPUTE_PGM_RSRC2:SCRATCH_EN: 0
; COMPUTE_PGM_RSRC2:USER_SGPR: 2
; COMPUTE_PGM_RSRC2:TRAP_HANDLER: 0
; COMPUTE_PGM_RSRC2:TGID_X_EN: 1
; COMPUTE_PGM_RSRC2:TGID_Y_EN: 1
; COMPUTE_PGM_RSRC2:TGID_Z_EN: 0
; COMPUTE_PGM_RSRC2:TIDIG_COMP_CNT: 0
; COMPUTE_PGM_RSRC3_GFX90A:ACCUM_OFFSET: 10
; COMPUTE_PGM_RSRC3_GFX90A:TG_SPLIT: 0
	.section	.text._ZN9rocsparseL34gtsv_solve_spike_grid_level_kernelILj2EdEEviiiPT0_PKS1_S4_,"axG",@progbits,_ZN9rocsparseL34gtsv_solve_spike_grid_level_kernelILj2EdEEviiiPT0_PKS1_S4_,comdat
	.globl	_ZN9rocsparseL34gtsv_solve_spike_grid_level_kernelILj2EdEEviiiPT0_PKS1_S4_ ; -- Begin function _ZN9rocsparseL34gtsv_solve_spike_grid_level_kernelILj2EdEEviiiPT0_PKS1_S4_
	.p2align	8
	.type	_ZN9rocsparseL34gtsv_solve_spike_grid_level_kernelILj2EdEEviiiPT0_PKS1_S4_,@function
_ZN9rocsparseL34gtsv_solve_spike_grid_level_kernelILj2EdEEviiiPT0_PKS1_S4_: ; @_ZN9rocsparseL34gtsv_solve_spike_grid_level_kernelILj2EdEEviiiPT0_PKS1_S4_
; %bb.0:
	s_load_dwordx4 s[4:7], s[0:1], 0x10
	s_load_dwordx2 s[8:9], s[0:1], 0x20
	v_lshl_or_b32 v4, s3, 2, v0
	v_mov_b32_e32 v5, 0
	v_lshlrev_b32_e32 v20, 3, v0
	s_waitcnt lgkmcnt(0)
	v_lshl_add_u64 v[2:3], v[4:5], 3, s[4:5]
	v_or_b32_e32 v4, 2, v4
	global_load_dwordx2 v[8:9], v20, s[6:7]
	global_load_dwordx2 v[10:11], v20, s[6:7] offset:16
	global_load_dwordx2 v[12:13], v20, s[8:9]
	global_load_dwordx2 v[14:15], v20, s[8:9] offset:16
	v_lshl_add_u64 v[6:7], v[4:5], 3, s[4:5]
	global_load_dwordx2 v[16:17], v[2:3], off
	global_load_dwordx2 v[18:19], v[6:7], off
	v_or_b32_e32 v1, 64, v20
	v_cmp_eq_u32_e32 vcc, 0, v0
	s_waitcnt vmcnt(4)
	ds_write2_b64 v20, v[8:9], v[10:11] offset0:4 offset1:6
	s_waitcnt vmcnt(2)
	ds_write2_b64 v20, v[12:13], v[14:15] offset1:2
	s_waitcnt vmcnt(0)
	ds_write2_b64 v20, v[16:17], v[18:19] offset0:8 offset1:10
	s_waitcnt lgkmcnt(0)
	; wave barrier
	s_and_saveexec_b64 s[0:1], vcc
	s_cbranch_execz .LBB96_2
; %bb.1:
	ds_read_b128 v[8:11], v5 offset:16
	ds_read_b128 v[12:15], v5 offset:32
	ds_read_b128 v[16:19], v5 offset:48
	ds_read_b128 v[20:23], v5
	s_waitcnt lgkmcnt(2)
	v_fma_f64 v[32:33], -v[14:15], v[8:9], 1.0
	v_div_scale_f64 v[34:35], s[2:3], v[32:33], v[32:33], 1.0
	v_rcp_f64_e32 v[36:37], v[34:35]
	v_div_scale_f64 v[38:39], vcc, 1.0, v[32:33], 1.0
	v_fma_f64 v[24:25], -v[34:35], v[36:37], 1.0
	v_fmac_f64_e32 v[36:37], v[36:37], v[24:25]
	v_fma_f64 v[24:25], -v[34:35], v[36:37], 1.0
	v_fmac_f64_e32 v[36:37], v[36:37], v[24:25]
	ds_read_b128 v[24:27], v5 offset:80
	ds_read_b128 v[28:31], v5 offset:64
	v_mul_f64 v[40:41], v[38:39], v[36:37]
	v_fma_f64 v[34:35], -v[34:35], v[40:41], v[38:39]
	v_div_fmas_f64 v[34:35], v[34:35], v[36:37], v[40:41]
	v_div_fixup_f64 v[36:37], v[34:35], v[32:33], 1.0
	s_waitcnt lgkmcnt(0)
	v_fma_f64 v[32:33], -v[8:9], v[30:31], v[24:25]
	v_fma_f64 v[24:25], -v[14:15], v[24:25], v[30:31]
	v_mul_f64 v[8:9], v[8:9], v[22:23]
	v_mul_f64 v[14:15], v[14:15], v[16:17]
	;; [unrolled: 1-line block ×4, first 2 shown]
	v_mul_f64 v[8:9], v[8:9], -v[36:37]
	v_mul_f64 v[22:23], v[36:37], v[22:23]
	v_mul_f64 v[14:15], v[14:15], -v[36:37]
	v_mul_f64 v[16:17], v[36:37], v[16:17]
	v_fma_f64 v[28:29], -v[30:31], v[20:21], v[28:29]
	v_fma_f64 v[34:35], -v[32:33], v[18:19], v[26:27]
	;; [unrolled: 1-line block ×3, first 2 shown]
	v_mul_f64 v[20:21], v[22:23], -v[20:21]
	v_fma_f64 v[10:11], -v[18:19], v[8:9], v[10:11]
	v_mul_f64 v[18:19], v[16:17], -v[18:19]
	ds_write_b128 v5, v[28:31] offset:64
	ds_write_b128 v5, v[32:35] offset:80
	;; [unrolled: 1-line block ×3, first 2 shown]
	ds_write_b128 v5, v[20:23]
	ds_write_b128 v5, v[8:11] offset:16
	ds_write_b128 v5, v[16:19] offset:48
.LBB96_2:
	s_or_b64 exec, exec, s[0:1]
	s_waitcnt lgkmcnt(0)
	; wave barrier
	ds_read2_b64 v[8:11], v1 offset1:2
	s_waitcnt lgkmcnt(0)
	global_store_dwordx2 v[2:3], v[8:9], off
	global_store_dwordx2 v[6:7], v[10:11], off
	s_endpgm
	.section	.rodata,"a",@progbits
	.p2align	6, 0x0
	.amdhsa_kernel _ZN9rocsparseL34gtsv_solve_spike_grid_level_kernelILj2EdEEviiiPT0_PKS1_S4_
		.amdhsa_group_segment_fixed_size 96
		.amdhsa_private_segment_fixed_size 0
		.amdhsa_kernarg_size 40
		.amdhsa_user_sgpr_count 2
		.amdhsa_user_sgpr_dispatch_ptr 0
		.amdhsa_user_sgpr_queue_ptr 0
		.amdhsa_user_sgpr_kernarg_segment_ptr 1
		.amdhsa_user_sgpr_dispatch_id 0
		.amdhsa_user_sgpr_kernarg_preload_length 0
		.amdhsa_user_sgpr_kernarg_preload_offset 0
		.amdhsa_user_sgpr_private_segment_size 0
		.amdhsa_uses_dynamic_stack 0
		.amdhsa_enable_private_segment 0
		.amdhsa_system_sgpr_workgroup_id_x 1
		.amdhsa_system_sgpr_workgroup_id_y 1
		.amdhsa_system_sgpr_workgroup_id_z 0
		.amdhsa_system_sgpr_workgroup_info 0
		.amdhsa_system_vgpr_workitem_id 0
		.amdhsa_next_free_vgpr 42
		.amdhsa_next_free_sgpr 10
		.amdhsa_accum_offset 44
		.amdhsa_reserve_vcc 1
		.amdhsa_float_round_mode_32 0
		.amdhsa_float_round_mode_16_64 0
		.amdhsa_float_denorm_mode_32 3
		.amdhsa_float_denorm_mode_16_64 3
		.amdhsa_dx10_clamp 1
		.amdhsa_ieee_mode 1
		.amdhsa_fp16_overflow 0
		.amdhsa_tg_split 0
		.amdhsa_exception_fp_ieee_invalid_op 0
		.amdhsa_exception_fp_denorm_src 0
		.amdhsa_exception_fp_ieee_div_zero 0
		.amdhsa_exception_fp_ieee_overflow 0
		.amdhsa_exception_fp_ieee_underflow 0
		.amdhsa_exception_fp_ieee_inexact 0
		.amdhsa_exception_int_div_zero 0
	.end_amdhsa_kernel
	.section	.text._ZN9rocsparseL34gtsv_solve_spike_grid_level_kernelILj2EdEEviiiPT0_PKS1_S4_,"axG",@progbits,_ZN9rocsparseL34gtsv_solve_spike_grid_level_kernelILj2EdEEviiiPT0_PKS1_S4_,comdat
.Lfunc_end96:
	.size	_ZN9rocsparseL34gtsv_solve_spike_grid_level_kernelILj2EdEEviiiPT0_PKS1_S4_, .Lfunc_end96-_ZN9rocsparseL34gtsv_solve_spike_grid_level_kernelILj2EdEEviiiPT0_PKS1_S4_
                                        ; -- End function
	.set _ZN9rocsparseL34gtsv_solve_spike_grid_level_kernelILj2EdEEviiiPT0_PKS1_S4_.num_vgpr, 42
	.set _ZN9rocsparseL34gtsv_solve_spike_grid_level_kernelILj2EdEEviiiPT0_PKS1_S4_.num_agpr, 0
	.set _ZN9rocsparseL34gtsv_solve_spike_grid_level_kernelILj2EdEEviiiPT0_PKS1_S4_.numbered_sgpr, 10
	.set _ZN9rocsparseL34gtsv_solve_spike_grid_level_kernelILj2EdEEviiiPT0_PKS1_S4_.num_named_barrier, 0
	.set _ZN9rocsparseL34gtsv_solve_spike_grid_level_kernelILj2EdEEviiiPT0_PKS1_S4_.private_seg_size, 0
	.set _ZN9rocsparseL34gtsv_solve_spike_grid_level_kernelILj2EdEEviiiPT0_PKS1_S4_.uses_vcc, 1
	.set _ZN9rocsparseL34gtsv_solve_spike_grid_level_kernelILj2EdEEviiiPT0_PKS1_S4_.uses_flat_scratch, 0
	.set _ZN9rocsparseL34gtsv_solve_spike_grid_level_kernelILj2EdEEviiiPT0_PKS1_S4_.has_dyn_sized_stack, 0
	.set _ZN9rocsparseL34gtsv_solve_spike_grid_level_kernelILj2EdEEviiiPT0_PKS1_S4_.has_recursion, 0
	.set _ZN9rocsparseL34gtsv_solve_spike_grid_level_kernelILj2EdEEviiiPT0_PKS1_S4_.has_indirect_call, 0
	.section	.AMDGPU.csdata,"",@progbits
; Kernel info:
; codeLenInByte = 516
; TotalNumSgprs: 16
; NumVgprs: 42
; NumAgprs: 0
; TotalNumVgprs: 42
; ScratchSize: 0
; MemoryBound: 1
; FloatMode: 240
; IeeeMode: 1
; LDSByteSize: 96 bytes/workgroup (compile time only)
; SGPRBlocks: 1
; VGPRBlocks: 5
; NumSGPRsForWavesPerEU: 16
; NumVGPRsForWavesPerEU: 42
; AccumOffset: 44
; Occupancy: 8
; WaveLimiterHint : 1
; COMPUTE_PGM_RSRC2:SCRATCH_EN: 0
; COMPUTE_PGM_RSRC2:USER_SGPR: 2
; COMPUTE_PGM_RSRC2:TRAP_HANDLER: 0
; COMPUTE_PGM_RSRC2:TGID_X_EN: 1
; COMPUTE_PGM_RSRC2:TGID_Y_EN: 1
; COMPUTE_PGM_RSRC2:TGID_Z_EN: 0
; COMPUTE_PGM_RSRC2:TIDIG_COMP_CNT: 0
; COMPUTE_PGM_RSRC3_GFX90A:ACCUM_OFFSET: 10
; COMPUTE_PGM_RSRC3_GFX90A:TG_SPLIT: 0
	.section	.text._ZN9rocsparseL34gtsv_solve_spike_grid_level_kernelILj4EdEEviiiPT0_PKS1_S4_,"axG",@progbits,_ZN9rocsparseL34gtsv_solve_spike_grid_level_kernelILj4EdEEviiiPT0_PKS1_S4_,comdat
	.globl	_ZN9rocsparseL34gtsv_solve_spike_grid_level_kernelILj4EdEEviiiPT0_PKS1_S4_ ; -- Begin function _ZN9rocsparseL34gtsv_solve_spike_grid_level_kernelILj4EdEEviiiPT0_PKS1_S4_
	.p2align	8
	.type	_ZN9rocsparseL34gtsv_solve_spike_grid_level_kernelILj4EdEEviiiPT0_PKS1_S4_,@function
_ZN9rocsparseL34gtsv_solve_spike_grid_level_kernelILj4EdEEviiiPT0_PKS1_S4_: ; @_ZN9rocsparseL34gtsv_solve_spike_grid_level_kernelILj4EdEEviiiPT0_PKS1_S4_
; %bb.0:
	s_load_dwordx4 s[4:7], s[0:1], 0x10
	s_load_dwordx2 s[8:9], s[0:1], 0x20
	v_lshl_or_b32 v4, s3, 3, v0
	v_mov_b32_e32 v5, 0
	v_lshlrev_b32_e32 v6, 3, v0
	s_waitcnt lgkmcnt(0)
	v_lshl_add_u64 v[2:3], v[4:5], 3, s[4:5]
	v_or_b32_e32 v4, 4, v4
	global_load_dwordx2 v[8:9], v6, s[6:7]
	global_load_dwordx2 v[10:11], v6, s[6:7] offset:32
	global_load_dwordx2 v[12:13], v6, s[8:9]
	global_load_dwordx2 v[14:15], v6, s[8:9] offset:32
	v_lshl_add_u64 v[4:5], v[4:5], 3, s[4:5]
	global_load_dwordx2 v[16:17], v[2:3], off
	global_load_dwordx2 v[18:19], v[4:5], off
	v_or_b32_e32 v1, 0x80, v6
	v_cmp_gt_u32_e64 s[0:1], 2, v0
	s_waitcnt vmcnt(4)
	ds_write2_b64 v6, v[8:9], v[10:11] offset0:8 offset1:12
	s_waitcnt vmcnt(2)
	ds_write2_b64 v6, v[12:13], v[14:15] offset1:4
	s_waitcnt vmcnt(0)
	ds_write2_b64 v6, v[16:17], v[18:19] offset0:16 offset1:20
	s_waitcnt lgkmcnt(0)
	; wave barrier
	s_and_saveexec_b64 s[2:3], s[0:1]
	s_cbranch_execz .LBB97_2
; %bb.1:
	v_or_b32_e32 v7, 64, v6
	v_add_u32_e32 v43, v6, v6
	v_add_u32_e32 v42, v7, v6
	ds_read_b128 v[8:11], v43 offset:32
	ds_read_b128 v[12:15], v42
	ds_read_b128 v[16:19], v42 offset:32
	v_add_u32_e32 v44, v1, v6
	ds_read_b128 v[20:23], v43
	s_waitcnt lgkmcnt(2)
	v_fma_f64 v[32:33], -v[14:15], v[8:9], 1.0
	v_div_scale_f64 v[34:35], s[4:5], v[32:33], v[32:33], 1.0
	v_rcp_f64_e32 v[36:37], v[34:35]
	v_div_scale_f64 v[38:39], vcc, 1.0, v[32:33], 1.0
	v_fma_f64 v[24:25], -v[34:35], v[36:37], 1.0
	v_fmac_f64_e32 v[36:37], v[36:37], v[24:25]
	v_fma_f64 v[24:25], -v[34:35], v[36:37], 1.0
	v_fmac_f64_e32 v[36:37], v[36:37], v[24:25]
	ds_read_b128 v[24:27], v44
	ds_read_b128 v[28:31], v44 offset:32
	v_mul_f64 v[40:41], v[38:39], v[36:37]
	v_fma_f64 v[6:7], -v[34:35], v[40:41], v[38:39]
	v_div_fmas_f64 v[6:7], v[6:7], v[36:37], v[40:41]
	v_div_fixup_f64 v[36:37], v[6:7], v[32:33], 1.0
	s_waitcnt lgkmcnt(0)
	v_fma_f64 v[6:7], -v[8:9], v[26:27], v[28:29]
	v_mul_f64 v[32:33], v[36:37], v[6:7]
	v_fma_f64 v[6:7], -v[14:15], v[28:29], v[26:27]
	v_mul_f64 v[26:27], v[6:7], v[36:37]
	v_mul_f64 v[6:7], v[8:9], v[22:23]
	;; [unrolled: 1-line block ×3, first 2 shown]
	v_mul_f64 v[6:7], v[6:7], -v[36:37]
	v_mul_f64 v[22:23], v[36:37], v[22:23]
	v_mul_f64 v[14:15], v[8:9], -v[36:37]
	v_mul_f64 v[16:17], v[36:37], v[16:17]
	v_fma_f64 v[24:25], -v[26:27], v[20:21], v[24:25]
	v_fma_f64 v[34:35], -v[18:19], v[32:33], v[30:31]
	v_fma_f64 v[12:13], -v[14:15], v[20:21], v[12:13]
	v_mul_f64 v[20:21], v[22:23], -v[20:21]
	v_fma_f64 v[8:9], -v[6:7], v[18:19], v[10:11]
	v_mul_f64 v[18:19], v[16:17], -v[18:19]
	ds_write_b128 v44, v[24:27]
	ds_write_b128 v44, v[32:35] offset:32
	ds_write_b128 v42, v[12:15]
	ds_write_b128 v43, v[20:23]
	ds_write_b128 v43, v[6:9] offset:32
	ds_write_b128 v42, v[16:19] offset:32
.LBB97_2:
	s_or_b64 exec, exec, s[2:3]
	v_cmp_eq_u32_e64 s[2:3], 0, v0
	s_waitcnt lgkmcnt(0)
	; wave barrier
	s_and_saveexec_b64 s[4:5], s[2:3]
	s_cbranch_execz .LBB97_4
; %bb.3:
	v_mov_b32_e32 v34, 0
	ds_read2_b64 v[6:9], v34 offset0:5 offset1:10
	ds_read2_b64 v[10:13], v34 offset1:2
	ds_read2_b64 v[14:17], v34 offset0:21 offset1:23
	ds_read2_b64 v[18:21], v34 offset0:13 offset1:18
	s_waitcnt lgkmcnt(3)
	v_fma_f64 v[22:23], -v[8:9], v[6:7], 1.0
	v_div_scale_f64 v[24:25], s[6:7], v[22:23], v[22:23], 1.0
	v_rcp_f64_e32 v[26:27], v[24:25]
	v_div_scale_f64 v[28:29], vcc, 1.0, v[22:23], 1.0
	v_fma_f64 v[30:31], -v[24:25], v[26:27], 1.0
	v_fmac_f64_e32 v[26:27], v[26:27], v[30:31]
	v_fma_f64 v[30:31], -v[24:25], v[26:27], 1.0
	v_fmac_f64_e32 v[26:27], v[26:27], v[30:31]
	v_mul_f64 v[30:31], v[28:29], v[26:27]
	v_fma_f64 v[24:25], -v[24:25], v[30:31], v[28:29]
	v_div_fmas_f64 v[24:25], v[24:25], v[26:27], v[30:31]
	v_div_fixup_f64 v[30:31], v[24:25], v[22:23], 1.0
	s_waitcnt lgkmcnt(0)
	v_fma_f64 v[26:27], -v[6:7], v[20:21], v[14:15]
	ds_read2_b64 v[22:25], v34 offset0:15 offset1:16
	v_mul_f64 v[32:33], v[30:31], v[26:27]
	ds_read2_b64 v[26:29], v34 offset0:7 offset1:8
	v_fma_f64 v[14:15], -v[8:9], v[14:15], v[20:21]
	v_mul_f64 v[6:7], v[6:7], v[12:13]
	v_mul_f64 v[8:9], v[8:9], v[18:19]
	s_waitcnt lgkmcnt(1)
	v_fma_f64 v[16:17], -v[22:23], v[32:33], v[16:17]
	v_mul_f64 v[6:7], v[6:7], -v[30:31]
	v_mul_f64 v[8:9], v[8:9], -v[30:31]
	v_mul_f64 v[14:15], v[14:15], v[30:31]
	ds_write2_b64 v34, v[32:33], v[16:17] offset0:21 offset1:23
	v_mul_f64 v[12:13], v[30:31], v[12:13]
	ds_write2_b64 v34, v[6:7], v[8:9] offset0:5 offset1:10
	v_mul_f64 v[16:17], v[30:31], v[18:19]
	s_waitcnt lgkmcnt(2)
	v_fma_f64 v[8:9], -v[8:9], v[10:11], v[28:29]
	v_fma_f64 v[6:7], -v[6:7], v[22:23], v[26:27]
	;; [unrolled: 1-line block ×3, first 2 shown]
	v_mul_f64 v[10:11], v[12:13], -v[10:11]
	ds_write2_b64 v34, v[6:7], v[8:9] offset0:7 offset1:8
	v_mul_f64 v[6:7], v[16:17], -v[22:23]
	ds_write2_b64 v34, v[16:17], v[14:15] offset0:13 offset1:18
	ds_write2_b64 v34, v[10:11], v[12:13] offset1:2
	ds_write2_b64 v34, v[6:7], v[20:21] offset0:15 offset1:16
.LBB97_4:
	s_or_b64 exec, exec, s[4:5]
	s_waitcnt lgkmcnt(0)
	; wave barrier
	s_and_saveexec_b64 s[4:5], s[0:1]
	s_cbranch_execz .LBB97_6
; %bb.5:
	v_lshlrev_b32_e32 v6, 1, v0
	v_lshlrev_b32_e32 v0, 4, v0
	v_mov_b32_e32 v7, 0x98
	v_mov_b32_e32 v8, 0x90
	v_max_u32_e32 v6, 1, v6
	v_cndmask_b32_e64 v22, v7, v8, s[2:3]
	v_lshlrev_b32_e32 v23, 3, v6
	ds_read2_b64 v[6:9], v0 offset0:17 offset1:20
	ds_read2_b64 v[10:13], v0 offset0:9 offset1:12
	;; [unrolled: 1-line block ×3, first 2 shown]
	ds_read_b64 v[18:19], v23 offset:152
	ds_read_b64 v[20:21], v22
	s_waitcnt lgkmcnt(1)
	v_fma_f64 v[8:9], -v[12:13], v[18:19], v[8:9]
	s_waitcnt lgkmcnt(0)
	v_fma_f64 v[8:9], -v[16:17], v[20:21], v[8:9]
	ds_write_b64 v0, v[8:9] offset:160
	ds_read_b64 v[8:9], v23 offset:152
	s_waitcnt lgkmcnt(0)
	v_fma_f64 v[6:7], -v[10:11], v[8:9], v[6:7]
	ds_write_b64 v0, v[6:7] offset:136
	ds_read_b64 v[8:9], v22
	s_waitcnt lgkmcnt(0)
	v_fma_f64 v[6:7], -v[14:15], v[8:9], v[6:7]
	ds_write_b64 v0, v[6:7] offset:136
.LBB97_6:
	s_or_b64 exec, exec, s[4:5]
	s_waitcnt lgkmcnt(0)
	; wave barrier
	ds_read2_b64 v[6:9], v1 offset1:4
	s_waitcnt lgkmcnt(0)
	global_store_dwordx2 v[2:3], v[6:7], off
	global_store_dwordx2 v[4:5], v[8:9], off
	s_endpgm
	.section	.rodata,"a",@progbits
	.p2align	6, 0x0
	.amdhsa_kernel _ZN9rocsparseL34gtsv_solve_spike_grid_level_kernelILj4EdEEviiiPT0_PKS1_S4_
		.amdhsa_group_segment_fixed_size 192
		.amdhsa_private_segment_fixed_size 0
		.amdhsa_kernarg_size 40
		.amdhsa_user_sgpr_count 2
		.amdhsa_user_sgpr_dispatch_ptr 0
		.amdhsa_user_sgpr_queue_ptr 0
		.amdhsa_user_sgpr_kernarg_segment_ptr 1
		.amdhsa_user_sgpr_dispatch_id 0
		.amdhsa_user_sgpr_kernarg_preload_length 0
		.amdhsa_user_sgpr_kernarg_preload_offset 0
		.amdhsa_user_sgpr_private_segment_size 0
		.amdhsa_uses_dynamic_stack 0
		.amdhsa_enable_private_segment 0
		.amdhsa_system_sgpr_workgroup_id_x 1
		.amdhsa_system_sgpr_workgroup_id_y 1
		.amdhsa_system_sgpr_workgroup_id_z 0
		.amdhsa_system_sgpr_workgroup_info 0
		.amdhsa_system_vgpr_workitem_id 0
		.amdhsa_next_free_vgpr 45
		.amdhsa_next_free_sgpr 10
		.amdhsa_accum_offset 48
		.amdhsa_reserve_vcc 1
		.amdhsa_float_round_mode_32 0
		.amdhsa_float_round_mode_16_64 0
		.amdhsa_float_denorm_mode_32 3
		.amdhsa_float_denorm_mode_16_64 3
		.amdhsa_dx10_clamp 1
		.amdhsa_ieee_mode 1
		.amdhsa_fp16_overflow 0
		.amdhsa_tg_split 0
		.amdhsa_exception_fp_ieee_invalid_op 0
		.amdhsa_exception_fp_denorm_src 0
		.amdhsa_exception_fp_ieee_div_zero 0
		.amdhsa_exception_fp_ieee_overflow 0
		.amdhsa_exception_fp_ieee_underflow 0
		.amdhsa_exception_fp_ieee_inexact 0
		.amdhsa_exception_int_div_zero 0
	.end_amdhsa_kernel
	.section	.text._ZN9rocsparseL34gtsv_solve_spike_grid_level_kernelILj4EdEEviiiPT0_PKS1_S4_,"axG",@progbits,_ZN9rocsparseL34gtsv_solve_spike_grid_level_kernelILj4EdEEviiiPT0_PKS1_S4_,comdat
.Lfunc_end97:
	.size	_ZN9rocsparseL34gtsv_solve_spike_grid_level_kernelILj4EdEEviiiPT0_PKS1_S4_, .Lfunc_end97-_ZN9rocsparseL34gtsv_solve_spike_grid_level_kernelILj4EdEEviiiPT0_PKS1_S4_
                                        ; -- End function
	.set _ZN9rocsparseL34gtsv_solve_spike_grid_level_kernelILj4EdEEviiiPT0_PKS1_S4_.num_vgpr, 45
	.set _ZN9rocsparseL34gtsv_solve_spike_grid_level_kernelILj4EdEEviiiPT0_PKS1_S4_.num_agpr, 0
	.set _ZN9rocsparseL34gtsv_solve_spike_grid_level_kernelILj4EdEEviiiPT0_PKS1_S4_.numbered_sgpr, 10
	.set _ZN9rocsparseL34gtsv_solve_spike_grid_level_kernelILj4EdEEviiiPT0_PKS1_S4_.num_named_barrier, 0
	.set _ZN9rocsparseL34gtsv_solve_spike_grid_level_kernelILj4EdEEviiiPT0_PKS1_S4_.private_seg_size, 0
	.set _ZN9rocsparseL34gtsv_solve_spike_grid_level_kernelILj4EdEEviiiPT0_PKS1_S4_.uses_vcc, 1
	.set _ZN9rocsparseL34gtsv_solve_spike_grid_level_kernelILj4EdEEviiiPT0_PKS1_S4_.uses_flat_scratch, 0
	.set _ZN9rocsparseL34gtsv_solve_spike_grid_level_kernelILj4EdEEviiiPT0_PKS1_S4_.has_dyn_sized_stack, 0
	.set _ZN9rocsparseL34gtsv_solve_spike_grid_level_kernelILj4EdEEviiiPT0_PKS1_S4_.has_recursion, 0
	.set _ZN9rocsparseL34gtsv_solve_spike_grid_level_kernelILj4EdEEviiiPT0_PKS1_S4_.has_indirect_call, 0
	.section	.AMDGPU.csdata,"",@progbits
; Kernel info:
; codeLenInByte = 1076
; TotalNumSgprs: 16
; NumVgprs: 45
; NumAgprs: 0
; TotalNumVgprs: 45
; ScratchSize: 0
; MemoryBound: 1
; FloatMode: 240
; IeeeMode: 1
; LDSByteSize: 192 bytes/workgroup (compile time only)
; SGPRBlocks: 1
; VGPRBlocks: 5
; NumSGPRsForWavesPerEU: 16
; NumVGPRsForWavesPerEU: 45
; AccumOffset: 48
; Occupancy: 8
; WaveLimiterHint : 1
; COMPUTE_PGM_RSRC2:SCRATCH_EN: 0
; COMPUTE_PGM_RSRC2:USER_SGPR: 2
; COMPUTE_PGM_RSRC2:TRAP_HANDLER: 0
; COMPUTE_PGM_RSRC2:TGID_X_EN: 1
; COMPUTE_PGM_RSRC2:TGID_Y_EN: 1
; COMPUTE_PGM_RSRC2:TGID_Z_EN: 0
; COMPUTE_PGM_RSRC2:TIDIG_COMP_CNT: 0
; COMPUTE_PGM_RSRC3_GFX90A:ACCUM_OFFSET: 11
; COMPUTE_PGM_RSRC3_GFX90A:TG_SPLIT: 0
	.section	.text._ZN9rocsparseL34gtsv_solve_spike_grid_level_kernelILj8EdEEviiiPT0_PKS1_S4_,"axG",@progbits,_ZN9rocsparseL34gtsv_solve_spike_grid_level_kernelILj8EdEEviiiPT0_PKS1_S4_,comdat
	.globl	_ZN9rocsparseL34gtsv_solve_spike_grid_level_kernelILj8EdEEviiiPT0_PKS1_S4_ ; -- Begin function _ZN9rocsparseL34gtsv_solve_spike_grid_level_kernelILj8EdEEviiiPT0_PKS1_S4_
	.p2align	8
	.type	_ZN9rocsparseL34gtsv_solve_spike_grid_level_kernelILj8EdEEviiiPT0_PKS1_S4_,@function
_ZN9rocsparseL34gtsv_solve_spike_grid_level_kernelILj8EdEEviiiPT0_PKS1_S4_: ; @_ZN9rocsparseL34gtsv_solve_spike_grid_level_kernelILj8EdEEviiiPT0_PKS1_S4_
; %bb.0:
	s_load_dwordx4 s[4:7], s[0:1], 0x10
	s_load_dwordx2 s[8:9], s[0:1], 0x20
	v_lshl_or_b32 v4, s3, 4, v0
	v_mov_b32_e32 v5, 0
	v_lshlrev_b32_e32 v7, 3, v0
	s_waitcnt lgkmcnt(0)
	v_lshl_add_u64 v[2:3], v[4:5], 3, s[4:5]
	v_or_b32_e32 v4, 8, v4
	global_load_dwordx2 v[8:9], v7, s[6:7]
	global_load_dwordx2 v[10:11], v7, s[6:7] offset:64
	global_load_dwordx2 v[12:13], v7, s[8:9]
	global_load_dwordx2 v[14:15], v7, s[8:9] offset:64
	v_lshl_add_u64 v[4:5], v[4:5], 3, s[4:5]
	global_load_dwordx2 v[16:17], v[2:3], off
	global_load_dwordx2 v[18:19], v[4:5], off
	v_or_b32_e32 v1, 0x100, v7
	v_cmp_gt_u32_e64 s[0:1], 4, v0
	s_waitcnt vmcnt(4)
	ds_write2_b64 v7, v[8:9], v[10:11] offset0:16 offset1:24
	s_waitcnt vmcnt(2)
	ds_write2_b64 v7, v[12:13], v[14:15] offset1:8
	s_waitcnt vmcnt(0)
	ds_write2_b64 v7, v[16:17], v[18:19] offset0:32 offset1:40
	s_waitcnt lgkmcnt(0)
	; wave barrier
	s_and_saveexec_b64 s[2:3], s[0:1]
	s_cbranch_execz .LBB98_2
; %bb.1:
	v_or_b32_e32 v6, 0x80, v7
	v_add_u32_e32 v6, v6, v7
	ds_read_b128 v[8:11], v6
	v_add_u32_e32 v42, v7, v7
	ds_read_b128 v[12:15], v42 offset:64
	ds_read_b128 v[16:19], v42
	ds_read_b128 v[20:23], v6 offset:64
	v_add_u32_e32 v43, v1, v7
	s_waitcnt lgkmcnt(2)
	v_fma_f64 v[32:33], -v[10:11], v[12:13], 1.0
	v_div_scale_f64 v[34:35], s[4:5], v[32:33], v[32:33], 1.0
	v_rcp_f64_e32 v[36:37], v[34:35]
	v_div_scale_f64 v[38:39], vcc, 1.0, v[32:33], 1.0
	v_fma_f64 v[24:25], -v[34:35], v[36:37], 1.0
	v_fmac_f64_e32 v[36:37], v[36:37], v[24:25]
	v_fma_f64 v[24:25], -v[34:35], v[36:37], 1.0
	v_fmac_f64_e32 v[36:37], v[36:37], v[24:25]
	ds_read_b128 v[24:27], v43 offset:64
	ds_read_b128 v[28:31], v43
	v_mul_f64 v[40:41], v[38:39], v[36:37]
	v_fma_f64 v[34:35], -v[34:35], v[40:41], v[38:39]
	v_div_fmas_f64 v[34:35], v[34:35], v[36:37], v[40:41]
	v_div_fixup_f64 v[36:37], v[34:35], v[32:33], 1.0
	s_waitcnt lgkmcnt(0)
	v_fma_f64 v[32:33], -v[12:13], v[30:31], v[24:25]
	v_fma_f64 v[24:25], -v[10:11], v[24:25], v[30:31]
	v_mul_f64 v[12:13], v[12:13], v[18:19]
	v_mul_f64 v[10:11], v[10:11], v[20:21]
	;; [unrolled: 1-line block ×4, first 2 shown]
	v_mul_f64 v[12:13], v[12:13], -v[36:37]
	v_mul_f64 v[18:19], v[36:37], v[18:19]
	v_mul_f64 v[10:11], v[10:11], -v[36:37]
	v_mul_f64 v[20:21], v[36:37], v[20:21]
	v_fma_f64 v[28:29], -v[30:31], v[16:17], v[28:29]
	v_fma_f64 v[34:35], -v[22:23], v[32:33], v[26:27]
	;; [unrolled: 1-line block ×3, first 2 shown]
	v_mul_f64 v[16:17], v[18:19], -v[16:17]
	v_fma_f64 v[14:15], -v[12:13], v[22:23], v[14:15]
	v_mul_f64 v[22:23], v[20:21], -v[22:23]
	ds_write_b128 v43, v[28:31]
	ds_write_b128 v43, v[32:35] offset:64
	ds_write_b128 v6, v[8:11]
	ds_write_b128 v42, v[16:19]
	ds_write_b128 v42, v[12:15] offset:64
	ds_write_b128 v6, v[20:23] offset:64
.LBB98_2:
	s_or_b64 exec, exec, s[2:3]
	v_cmp_gt_u32_e64 s[2:3], 2, v0
	v_lshlrev_b32_e32 v6, 5, v0
	s_waitcnt lgkmcnt(0)
	; wave barrier
	s_and_saveexec_b64 s[4:5], s[2:3]
	s_cbranch_execz .LBB98_4
; %bb.3:
	v_mad_u32_u24 v7, v0, 24, v7
	ds_read2_b64 v[8:11], v6 offset0:16 offset1:18
	ds_read2_b64 v[12:15], v7 offset0:9 offset1:11
	;; [unrolled: 1-line block ×3, first 2 shown]
	v_mad_u32_u24 v36, v0, 24, v1
	ds_read2_b64 v[20:23], v36 offset0:9 offset1:11
	s_waitcnt lgkmcnt(2)
	v_fma_f64 v[28:29], -v[10:11], v[12:13], 1.0
	v_div_scale_f64 v[24:25], s[6:7], v[28:29], v[28:29], 1.0
	v_rcp_f64_e32 v[30:31], v[24:25]
	v_div_scale_f64 v[26:27], vcc, 1.0, v[28:29], 1.0
	v_fma_f64 v[32:33], -v[24:25], v[30:31], 1.0
	v_fmac_f64_e32 v[30:31], v[30:31], v[32:33]
	v_fma_f64 v[32:33], -v[24:25], v[30:31], 1.0
	v_fmac_f64_e32 v[30:31], v[30:31], v[32:33]
	v_mul_f64 v[32:33], v[26:27], v[30:31]
	v_fma_f64 v[34:35], -v[24:25], v[32:33], v[26:27]
	ds_read2_b64 v[24:27], v36 offset1:2
	v_div_fmas_f64 v[30:31], v[34:35], v[30:31], v[32:33]
	v_div_fixup_f64 v[32:33], v[30:31], v[28:29], 1.0
	ds_read2_b64 v[28:31], v7 offset1:2
	s_waitcnt lgkmcnt(1)
	v_fma_f64 v[34:35], -v[12:13], v[26:27], v[20:21]
	v_fma_f64 v[20:21], -v[10:11], v[20:21], v[26:27]
	v_mul_f64 v[20:21], v[20:21], v[32:33]
	v_mul_f64 v[34:35], v[32:33], v[34:35]
	s_waitcnt lgkmcnt(0)
	v_fma_f64 v[24:25], -v[20:21], v[28:29], v[24:25]
	v_mul_f64 v[10:11], v[10:11], v[16:17]
	ds_write2_b64 v36, v[24:25], v[20:21] offset1:2
	v_fma_f64 v[20:21], -v[18:19], v[34:35], v[22:23]
	v_mul_f64 v[10:11], v[10:11], -v[32:33]
	ds_write2_b64 v36, v[34:35], v[20:21] offset0:9 offset1:11
	v_mul_f64 v[12:13], v[12:13], v[30:31]
	v_mul_f64 v[20:21], v[32:33], v[30:31]
	v_fma_f64 v[8:9], -v[10:11], v[28:29], v[8:9]
	v_mul_f64 v[12:13], v[12:13], -v[32:33]
	ds_write2_b64 v6, v[8:9], v[10:11] offset0:16 offset1:18
	v_mul_f64 v[8:9], v[20:21], -v[28:29]
	v_mul_f64 v[16:17], v[32:33], v[16:17]
	ds_write2_b64 v7, v[8:9], v[20:21] offset1:2
	v_fma_f64 v[8:9], -v[12:13], v[18:19], v[14:15]
	ds_write2_b64 v7, v[12:13], v[8:9] offset0:9 offset1:11
	v_mul_f64 v[8:9], v[16:17], -v[18:19]
	ds_write2_b64 v6, v[16:17], v[8:9] offset0:25 offset1:27
.LBB98_4:
	s_or_b64 exec, exec, s[4:5]
	v_cmp_eq_u32_e32 vcc, 0, v0
	s_waitcnt lgkmcnt(0)
	; wave barrier
	s_and_saveexec_b64 s[4:5], vcc
	s_cbranch_execz .LBB98_6
; %bb.5:
	v_mov_b32_e32 v7, 0
	ds_read2_b64 v[8:11], v7 offset0:11 offset1:20
	ds_read2_b64 v[12:15], v7 offset0:43 offset1:47
	;; [unrolled: 1-line block ×3, first 2 shown]
	s_waitcnt lgkmcnt(2)
	v_fma_f64 v[20:21], -v[10:11], v[8:9], 1.0
	v_div_scale_f64 v[22:23], s[6:7], v[20:21], v[20:21], 1.0
	v_rcp_f64_e32 v[24:25], v[22:23]
	v_div_scale_f64 v[26:27], vcc, 1.0, v[20:21], 1.0
	s_waitcnt lgkmcnt(0)
	v_fma_f64 v[28:29], -v[8:9], v[18:19], v[12:13]
	v_fma_f64 v[30:31], -v[22:23], v[24:25], 1.0
	v_fmac_f64_e32 v[24:25], v[24:25], v[30:31]
	v_fma_f64 v[30:31], -v[22:23], v[24:25], 1.0
	v_fmac_f64_e32 v[24:25], v[24:25], v[30:31]
	v_mul_f64 v[30:31], v[26:27], v[24:25]
	v_fma_f64 v[22:23], -v[22:23], v[30:31], v[26:27]
	v_div_fmas_f64 v[22:23], v[22:23], v[24:25], v[30:31]
	v_div_fixup_f64 v[32:33], v[22:23], v[20:21], 1.0
	ds_read2_b64 v[20:23], v7 offset0:31 offset1:32
	ds_read2_b64 v[24:27], v7 offset1:4
	v_mul_f64 v[34:35], v[32:33], v[28:29]
	ds_read2_b64 v[28:31], v7 offset0:15 offset1:16
	v_fma_f64 v[12:13], -v[10:11], v[12:13], v[18:19]
	v_mul_f64 v[10:11], v[10:11], v[16:17]
	s_waitcnt lgkmcnt(1)
	v_mul_f64 v[8:9], v[8:9], v[26:27]
	v_fma_f64 v[14:15], -v[20:21], v[34:35], v[14:15]
	v_mul_f64 v[8:9], v[8:9], -v[32:33]
	v_mul_f64 v[10:11], v[10:11], -v[32:33]
	v_mul_f64 v[12:13], v[12:13], v[32:33]
	ds_write2_b64 v7, v[34:35], v[14:15] offset0:43 offset1:47
	v_mul_f64 v[14:15], v[32:33], v[26:27]
	ds_write2_b64 v7, v[8:9], v[10:11] offset0:11 offset1:20
	v_mul_f64 v[16:17], v[32:33], v[16:17]
	s_waitcnt lgkmcnt(2)
	v_fma_f64 v[10:11], -v[10:11], v[24:25], v[30:31]
	v_fma_f64 v[8:9], -v[8:9], v[20:21], v[28:29]
	;; [unrolled: 1-line block ×3, first 2 shown]
	ds_write2_b64 v7, v[16:17], v[12:13] offset0:27 offset1:36
	v_mul_f64 v[12:13], v[14:15], -v[24:25]
	ds_write2_b64 v7, v[8:9], v[10:11] offset0:15 offset1:16
	v_mul_f64 v[8:9], v[16:17], -v[20:21]
	ds_write2_b64 v7, v[12:13], v[14:15] offset1:4
	ds_write2_b64 v7, v[8:9], v[18:19] offset0:31 offset1:32
.LBB98_6:
	s_or_b64 exec, exec, s[4:5]
	s_waitcnt lgkmcnt(0)
	; wave barrier
	s_and_saveexec_b64 s[4:5], s[2:3]
	s_cbranch_execz .LBB98_8
; %bb.7:
	v_lshlrev_b32_e32 v7, 2, v0
	v_max_u32_e32 v16, 1, v7
	v_min_u32_e32 v7, 3, v7
	ds_read2_b64 v[8:11], v6 offset0:34 offset1:41
	ds_read2_b64 v[12:15], v6 offset0:18 offset1:25
	v_lshlrev_b32_e32 v24, 3, v16
	ds_read2_b64 v[16:19], v6 offset0:2 offset1:9
	v_lshlrev_b32_e32 v7, 3, v7
	ds_read_b64 v[20:21], v24 offset:312
	ds_read_b64 v[22:23], v7 offset:288
	s_waitcnt lgkmcnt(1)
	v_fma_f64 v[10:11], -v[14:15], v[20:21], v[10:11]
	s_waitcnt lgkmcnt(0)
	v_fma_f64 v[10:11], -v[18:19], v[22:23], v[10:11]
	ds_write_b64 v6, v[10:11] offset:328
	ds_read_b64 v[10:11], v24 offset:312
	s_waitcnt lgkmcnt(0)
	v_fma_f64 v[8:9], -v[12:13], v[10:11], v[8:9]
	ds_write_b64 v6, v[8:9] offset:272
	ds_read_b64 v[10:11], v7 offset:288
	s_waitcnt lgkmcnt(0)
	v_fma_f64 v[8:9], -v[16:17], v[10:11], v[8:9]
	ds_write_b64 v6, v[8:9] offset:272
.LBB98_8:
	s_or_b64 exec, exec, s[4:5]
	s_waitcnt lgkmcnt(0)
	; wave barrier
	s_and_saveexec_b64 s[2:3], s[0:1]
	s_cbranch_execz .LBB98_10
; %bb.9:
	v_lshlrev_b32_e32 v6, 1, v0
	v_max_u32_e32 v14, 1, v6
	v_lshlrev_b32_e32 v0, 4, v0
	v_min_u32_e32 v18, 5, v6
	ds_read2_b64 v[6:9], v0 offset0:33 offset1:40
	ds_read2_b64 v[10:13], v0 offset0:17 offset1:24
	v_lshlrev_b32_e32 v22, 3, v14
	ds_read2_b64 v[14:17], v0 offset0:1 offset1:8
	v_lshlrev_b32_e32 v23, 3, v18
	ds_read_b64 v[18:19], v22 offset:312
	ds_read_b64 v[20:21], v23 offset:272
	s_waitcnt lgkmcnt(1)
	v_fma_f64 v[8:9], -v[12:13], v[18:19], v[8:9]
	s_waitcnt lgkmcnt(0)
	v_fma_f64 v[8:9], -v[16:17], v[20:21], v[8:9]
	ds_write_b64 v0, v[8:9] offset:320
	ds_read_b64 v[8:9], v22 offset:312
	s_waitcnt lgkmcnt(0)
	v_fma_f64 v[6:7], -v[10:11], v[8:9], v[6:7]
	ds_write_b64 v0, v[6:7] offset:264
	ds_read_b64 v[8:9], v23 offset:272
	s_waitcnt lgkmcnt(0)
	v_fma_f64 v[6:7], -v[14:15], v[8:9], v[6:7]
	ds_write_b64 v0, v[6:7] offset:264
.LBB98_10:
	s_or_b64 exec, exec, s[2:3]
	s_waitcnt lgkmcnt(0)
	; wave barrier
	ds_read2_b64 v[6:9], v1 offset1:8
	s_waitcnt lgkmcnt(0)
	global_store_dwordx2 v[2:3], v[6:7], off
	global_store_dwordx2 v[4:5], v[8:9], off
	s_endpgm
	.section	.rodata,"a",@progbits
	.p2align	6, 0x0
	.amdhsa_kernel _ZN9rocsparseL34gtsv_solve_spike_grid_level_kernelILj8EdEEviiiPT0_PKS1_S4_
		.amdhsa_group_segment_fixed_size 384
		.amdhsa_private_segment_fixed_size 0
		.amdhsa_kernarg_size 40
		.amdhsa_user_sgpr_count 2
		.amdhsa_user_sgpr_dispatch_ptr 0
		.amdhsa_user_sgpr_queue_ptr 0
		.amdhsa_user_sgpr_kernarg_segment_ptr 1
		.amdhsa_user_sgpr_dispatch_id 0
		.amdhsa_user_sgpr_kernarg_preload_length 0
		.amdhsa_user_sgpr_kernarg_preload_offset 0
		.amdhsa_user_sgpr_private_segment_size 0
		.amdhsa_uses_dynamic_stack 0
		.amdhsa_enable_private_segment 0
		.amdhsa_system_sgpr_workgroup_id_x 1
		.amdhsa_system_sgpr_workgroup_id_y 1
		.amdhsa_system_sgpr_workgroup_id_z 0
		.amdhsa_system_sgpr_workgroup_info 0
		.amdhsa_system_vgpr_workitem_id 0
		.amdhsa_next_free_vgpr 44
		.amdhsa_next_free_sgpr 10
		.amdhsa_accum_offset 44
		.amdhsa_reserve_vcc 1
		.amdhsa_float_round_mode_32 0
		.amdhsa_float_round_mode_16_64 0
		.amdhsa_float_denorm_mode_32 3
		.amdhsa_float_denorm_mode_16_64 3
		.amdhsa_dx10_clamp 1
		.amdhsa_ieee_mode 1
		.amdhsa_fp16_overflow 0
		.amdhsa_tg_split 0
		.amdhsa_exception_fp_ieee_invalid_op 0
		.amdhsa_exception_fp_denorm_src 0
		.amdhsa_exception_fp_ieee_div_zero 0
		.amdhsa_exception_fp_ieee_overflow 0
		.amdhsa_exception_fp_ieee_underflow 0
		.amdhsa_exception_fp_ieee_inexact 0
		.amdhsa_exception_int_div_zero 0
	.end_amdhsa_kernel
	.section	.text._ZN9rocsparseL34gtsv_solve_spike_grid_level_kernelILj8EdEEviiiPT0_PKS1_S4_,"axG",@progbits,_ZN9rocsparseL34gtsv_solve_spike_grid_level_kernelILj8EdEEviiiPT0_PKS1_S4_,comdat
.Lfunc_end98:
	.size	_ZN9rocsparseL34gtsv_solve_spike_grid_level_kernelILj8EdEEviiiPT0_PKS1_S4_, .Lfunc_end98-_ZN9rocsparseL34gtsv_solve_spike_grid_level_kernelILj8EdEEviiiPT0_PKS1_S4_
                                        ; -- End function
	.set _ZN9rocsparseL34gtsv_solve_spike_grid_level_kernelILj8EdEEviiiPT0_PKS1_S4_.num_vgpr, 44
	.set _ZN9rocsparseL34gtsv_solve_spike_grid_level_kernelILj8EdEEviiiPT0_PKS1_S4_.num_agpr, 0
	.set _ZN9rocsparseL34gtsv_solve_spike_grid_level_kernelILj8EdEEviiiPT0_PKS1_S4_.numbered_sgpr, 10
	.set _ZN9rocsparseL34gtsv_solve_spike_grid_level_kernelILj8EdEEviiiPT0_PKS1_S4_.num_named_barrier, 0
	.set _ZN9rocsparseL34gtsv_solve_spike_grid_level_kernelILj8EdEEviiiPT0_PKS1_S4_.private_seg_size, 0
	.set _ZN9rocsparseL34gtsv_solve_spike_grid_level_kernelILj8EdEEviiiPT0_PKS1_S4_.uses_vcc, 1
	.set _ZN9rocsparseL34gtsv_solve_spike_grid_level_kernelILj8EdEEviiiPT0_PKS1_S4_.uses_flat_scratch, 0
	.set _ZN9rocsparseL34gtsv_solve_spike_grid_level_kernelILj8EdEEviiiPT0_PKS1_S4_.has_dyn_sized_stack, 0
	.set _ZN9rocsparseL34gtsv_solve_spike_grid_level_kernelILj8EdEEviiiPT0_PKS1_S4_.has_recursion, 0
	.set _ZN9rocsparseL34gtsv_solve_spike_grid_level_kernelILj8EdEEviiiPT0_PKS1_S4_.has_indirect_call, 0
	.section	.AMDGPU.csdata,"",@progbits
; Kernel info:
; codeLenInByte = 1588
; TotalNumSgprs: 16
; NumVgprs: 44
; NumAgprs: 0
; TotalNumVgprs: 44
; ScratchSize: 0
; MemoryBound: 1
; FloatMode: 240
; IeeeMode: 1
; LDSByteSize: 384 bytes/workgroup (compile time only)
; SGPRBlocks: 1
; VGPRBlocks: 5
; NumSGPRsForWavesPerEU: 16
; NumVGPRsForWavesPerEU: 44
; AccumOffset: 44
; Occupancy: 8
; WaveLimiterHint : 1
; COMPUTE_PGM_RSRC2:SCRATCH_EN: 0
; COMPUTE_PGM_RSRC2:USER_SGPR: 2
; COMPUTE_PGM_RSRC2:TRAP_HANDLER: 0
; COMPUTE_PGM_RSRC2:TGID_X_EN: 1
; COMPUTE_PGM_RSRC2:TGID_Y_EN: 1
; COMPUTE_PGM_RSRC2:TGID_Z_EN: 0
; COMPUTE_PGM_RSRC2:TIDIG_COMP_CNT: 0
; COMPUTE_PGM_RSRC3_GFX90A:ACCUM_OFFSET: 10
; COMPUTE_PGM_RSRC3_GFX90A:TG_SPLIT: 0
	.section	.text._ZN9rocsparseL34gtsv_solve_spike_grid_level_kernelILj16EdEEviiiPT0_PKS1_S4_,"axG",@progbits,_ZN9rocsparseL34gtsv_solve_spike_grid_level_kernelILj16EdEEviiiPT0_PKS1_S4_,comdat
	.globl	_ZN9rocsparseL34gtsv_solve_spike_grid_level_kernelILj16EdEEviiiPT0_PKS1_S4_ ; -- Begin function _ZN9rocsparseL34gtsv_solve_spike_grid_level_kernelILj16EdEEviiiPT0_PKS1_S4_
	.p2align	8
	.type	_ZN9rocsparseL34gtsv_solve_spike_grid_level_kernelILj16EdEEviiiPT0_PKS1_S4_,@function
_ZN9rocsparseL34gtsv_solve_spike_grid_level_kernelILj16EdEEviiiPT0_PKS1_S4_: ; @_ZN9rocsparseL34gtsv_solve_spike_grid_level_kernelILj16EdEEviiiPT0_PKS1_S4_
; %bb.0:
	s_load_dwordx4 s[4:7], s[0:1], 0x10
	s_load_dwordx2 s[8:9], s[0:1], 0x20
	v_lshl_or_b32 v4, s3, 5, v0
	v_mov_b32_e32 v5, 0
	v_lshlrev_b32_e32 v6, 3, v0
	s_waitcnt lgkmcnt(0)
	v_lshl_add_u64 v[2:3], v[4:5], 3, s[4:5]
	v_or_b32_e32 v4, 16, v4
	global_load_dwordx2 v[8:9], v6, s[6:7]
	global_load_dwordx2 v[10:11], v6, s[6:7] offset:128
	global_load_dwordx2 v[12:13], v6, s[8:9]
	global_load_dwordx2 v[14:15], v6, s[8:9] offset:128
	v_lshl_add_u64 v[4:5], v[4:5], 3, s[4:5]
	global_load_dwordx2 v[16:17], v[2:3], off
	global_load_dwordx2 v[18:19], v[4:5], off
	v_or_b32_e32 v1, 0x200, v6
	v_cmp_gt_u32_e64 s[0:1], 8, v0
	s_waitcnt vmcnt(4)
	ds_write2_b64 v6, v[8:9], v[10:11] offset0:32 offset1:48
	s_waitcnt vmcnt(2)
	ds_write2_b64 v6, v[12:13], v[14:15] offset1:16
	s_waitcnt vmcnt(0)
	ds_write2_b64 v6, v[16:17], v[18:19] offset0:64 offset1:80
	s_waitcnt lgkmcnt(0)
	; wave barrier
	s_and_saveexec_b64 s[2:3], s[0:1]
	s_cbranch_execz .LBB99_2
; %bb.1:
	v_or_b32_e32 v7, 0x100, v6
	v_add_u32_e32 v7, v7, v6
	ds_read_b128 v[8:11], v7
	v_add_u32_e32 v42, v6, v6
	ds_read_b128 v[12:15], v42 offset:128
	ds_read_b128 v[16:19], v42
	ds_read_b128 v[20:23], v7 offset:128
	v_add_u32_e32 v43, v1, v6
	s_waitcnt lgkmcnt(2)
	v_fma_f64 v[32:33], -v[10:11], v[12:13], 1.0
	v_div_scale_f64 v[34:35], s[4:5], v[32:33], v[32:33], 1.0
	v_rcp_f64_e32 v[36:37], v[34:35]
	v_div_scale_f64 v[38:39], vcc, 1.0, v[32:33], 1.0
	v_fma_f64 v[24:25], -v[34:35], v[36:37], 1.0
	v_fmac_f64_e32 v[36:37], v[36:37], v[24:25]
	v_fma_f64 v[24:25], -v[34:35], v[36:37], 1.0
	v_fmac_f64_e32 v[36:37], v[36:37], v[24:25]
	ds_read_b128 v[24:27], v43 offset:128
	ds_read_b128 v[28:31], v43
	v_mul_f64 v[40:41], v[38:39], v[36:37]
	v_fma_f64 v[34:35], -v[34:35], v[40:41], v[38:39]
	v_div_fmas_f64 v[34:35], v[34:35], v[36:37], v[40:41]
	v_div_fixup_f64 v[36:37], v[34:35], v[32:33], 1.0
	s_waitcnt lgkmcnt(0)
	v_fma_f64 v[32:33], -v[12:13], v[30:31], v[24:25]
	v_fma_f64 v[24:25], -v[10:11], v[24:25], v[30:31]
	v_mul_f64 v[12:13], v[12:13], v[18:19]
	v_mul_f64 v[10:11], v[10:11], v[20:21]
	;; [unrolled: 1-line block ×4, first 2 shown]
	v_mul_f64 v[12:13], v[12:13], -v[36:37]
	v_mul_f64 v[18:19], v[36:37], v[18:19]
	v_mul_f64 v[10:11], v[10:11], -v[36:37]
	v_mul_f64 v[20:21], v[36:37], v[20:21]
	v_fma_f64 v[28:29], -v[30:31], v[16:17], v[28:29]
	v_fma_f64 v[34:35], -v[22:23], v[32:33], v[26:27]
	;; [unrolled: 1-line block ×3, first 2 shown]
	v_mul_f64 v[16:17], v[18:19], -v[16:17]
	v_fma_f64 v[14:15], -v[12:13], v[22:23], v[14:15]
	v_mul_f64 v[22:23], v[20:21], -v[22:23]
	ds_write_b128 v43, v[28:31]
	ds_write_b128 v43, v[32:35] offset:128
	ds_write_b128 v7, v[8:11]
	ds_write_b128 v42, v[16:19]
	ds_write_b128 v42, v[12:15] offset:128
	ds_write_b128 v7, v[20:23] offset:128
.LBB99_2:
	s_or_b64 exec, exec, s[2:3]
	v_cmp_gt_u32_e64 s[2:3], 4, v0
	v_lshlrev_b32_e32 v7, 5, v0
	s_waitcnt lgkmcnt(0)
	; wave barrier
	s_and_saveexec_b64 s[4:5], s[2:3]
	s_cbranch_execz .LBB99_4
; %bb.3:
	v_mad_u32_u24 v36, v0, 24, v6
	ds_read2_b64 v[8:11], v7 offset0:32 offset1:34
	ds_read2_b64 v[12:15], v36 offset0:17 offset1:19
	v_mad_u32_u24 v37, v0, 24, v1
	ds_read2_b64 v[16:19], v37 offset0:17 offset1:19
	ds_read2_b64 v[20:23], v37 offset1:2
	s_waitcnt lgkmcnt(2)
	v_fma_f64 v[24:25], -v[10:11], v[12:13], 1.0
	v_div_scale_f64 v[26:27], s[6:7], v[24:25], v[24:25], 1.0
	v_rcp_f64_e32 v[28:29], v[26:27]
	v_div_scale_f64 v[30:31], vcc, 1.0, v[24:25], 1.0
	v_fma_f64 v[32:33], -v[26:27], v[28:29], 1.0
	v_fmac_f64_e32 v[28:29], v[28:29], v[32:33]
	v_fma_f64 v[32:33], -v[26:27], v[28:29], 1.0
	v_fmac_f64_e32 v[28:29], v[28:29], v[32:33]
	v_mul_f64 v[32:33], v[30:31], v[28:29]
	v_fma_f64 v[26:27], -v[26:27], v[32:33], v[30:31]
	v_div_fmas_f64 v[26:27], v[26:27], v[28:29], v[32:33]
	v_div_fixup_f64 v[32:33], v[26:27], v[24:25], 1.0
	s_waitcnt lgkmcnt(0)
	v_fma_f64 v[28:29], -v[12:13], v[22:23], v[16:17]
	ds_read2_b64 v[24:27], v36 offset1:2
	v_mul_f64 v[34:35], v[32:33], v[28:29]
	ds_read2_b64 v[28:31], v7 offset0:49 offset1:51
	v_fma_f64 v[16:17], -v[10:11], v[16:17], v[22:23]
	v_mul_f64 v[16:17], v[16:17], v[32:33]
	s_waitcnt lgkmcnt(1)
	v_fma_f64 v[20:21], -v[16:17], v[24:25], v[20:21]
	ds_write2_b64 v37, v[20:21], v[16:17] offset1:2
	s_waitcnt lgkmcnt(1)
	v_mul_f64 v[10:11], v[10:11], v[28:29]
	v_fma_f64 v[16:17], -v[30:31], v[34:35], v[18:19]
	v_mul_f64 v[10:11], v[10:11], -v[32:33]
	ds_write2_b64 v37, v[34:35], v[16:17] offset0:17 offset1:19
	v_mul_f64 v[12:13], v[12:13], v[26:27]
	v_mul_f64 v[16:17], v[32:33], v[26:27]
	v_fma_f64 v[8:9], -v[10:11], v[24:25], v[8:9]
	v_mul_f64 v[12:13], v[12:13], -v[32:33]
	ds_write2_b64 v7, v[8:9], v[10:11] offset0:32 offset1:34
	v_mul_f64 v[8:9], v[16:17], -v[24:25]
	v_mul_f64 v[18:19], v[32:33], v[28:29]
	ds_write2_b64 v36, v[8:9], v[16:17] offset1:2
	v_fma_f64 v[8:9], -v[12:13], v[30:31], v[14:15]
	ds_write2_b64 v36, v[12:13], v[8:9] offset0:17 offset1:19
	v_mul_f64 v[8:9], v[18:19], -v[30:31]
	ds_write2_b64 v7, v[18:19], v[8:9] offset0:49 offset1:51
.LBB99_4:
	s_or_b64 exec, exec, s[4:5]
	v_cmp_gt_u32_e64 s[4:5], 2, v0
	v_lshlrev_b32_e32 v8, 6, v0
	s_waitcnt lgkmcnt(0)
	; wave barrier
	s_and_saveexec_b64 s[6:7], s[4:5]
	s_cbranch_execz .LBB99_6
; %bb.5:
	ds_read2_b64 v[10:13], v8 offset0:32 offset1:36
	ds_read2_b64 v[14:17], v8 offset0:19 offset1:23
	;; [unrolled: 1-line block ×4, first 2 shown]
	s_waitcnt lgkmcnt(2)
	v_fma_f64 v[26:27], -v[12:13], v[14:15], 1.0
	v_div_scale_f64 v[28:29], s[8:9], v[26:27], v[26:27], 1.0
	v_rcp_f64_e32 v[30:31], v[28:29]
	v_div_scale_f64 v[32:33], vcc, 1.0, v[26:27], 1.0
	v_fma_f64 v[34:35], -v[28:29], v[30:31], 1.0
	v_fmac_f64_e32 v[30:31], v[30:31], v[34:35]
	v_fma_f64 v[34:35], -v[28:29], v[30:31], 1.0
	v_fmac_f64_e32 v[30:31], v[30:31], v[34:35]
	v_mul_f64 v[34:35], v[32:33], v[30:31]
	v_fma_f64 v[28:29], -v[28:29], v[34:35], v[32:33]
	v_div_fmas_f64 v[28:29], v[28:29], v[30:31], v[34:35]
	v_div_fixup_f64 v[34:35], v[28:29], v[26:27], 1.0
	s_waitcnt lgkmcnt(0)
	v_fma_f64 v[30:31], -v[14:15], v[24:25], v[18:19]
	ds_read2_b64 v[26:29], v8 offset1:4
	v_mul_f64 v[36:37], v[34:35], v[30:31]
	ds_read2_b64 v[30:33], v8 offset0:51 offset1:55
	v_fma_f64 v[18:19], -v[12:13], v[18:19], v[24:25]
	v_mul_f64 v[18:19], v[18:19], v[34:35]
	s_waitcnt lgkmcnt(1)
	v_fma_f64 v[22:23], -v[18:19], v[26:27], v[22:23]
	ds_write2_b64 v8, v[22:23], v[18:19] offset0:64 offset1:68
	s_waitcnt lgkmcnt(1)
	v_mul_f64 v[12:13], v[12:13], v[30:31]
	v_fma_f64 v[18:19], -v[32:33], v[36:37], v[20:21]
	v_mul_f64 v[12:13], v[12:13], -v[34:35]
	ds_write2_b64 v8, v[36:37], v[18:19] offset0:83 offset1:87
	v_mul_f64 v[14:15], v[14:15], v[28:29]
	v_mul_f64 v[18:19], v[34:35], v[28:29]
	v_fma_f64 v[10:11], -v[12:13], v[26:27], v[10:11]
	v_mul_f64 v[14:15], v[14:15], -v[34:35]
	ds_write2_b64 v8, v[10:11], v[12:13] offset0:32 offset1:36
	v_mul_f64 v[10:11], v[18:19], -v[26:27]
	v_mul_f64 v[20:21], v[34:35], v[30:31]
	ds_write2_b64 v8, v[10:11], v[18:19] offset1:4
	v_fma_f64 v[10:11], -v[14:15], v[32:33], v[16:17]
	ds_write2_b64 v8, v[14:15], v[10:11] offset0:19 offset1:23
	v_mul_f64 v[10:11], v[20:21], -v[32:33]
	ds_write2_b64 v8, v[20:21], v[10:11] offset0:51 offset1:55
.LBB99_6:
	s_or_b64 exec, exec, s[6:7]
	v_cmp_eq_u32_e32 vcc, 0, v0
	s_waitcnt lgkmcnt(0)
	; wave barrier
	s_and_saveexec_b64 s[6:7], vcc
	s_cbranch_execz .LBB99_8
; %bb.7:
	v_mov_b32_e32 v9, 0
	ds_read2_b64 v[10:13], v9 offset0:23 offset1:40
	ds_read2_b64 v[14:17], v9 offset0:87 offset1:95
	;; [unrolled: 1-line block ×3, first 2 shown]
	s_waitcnt lgkmcnt(2)
	v_fma_f64 v[22:23], -v[12:13], v[10:11], 1.0
	v_div_scale_f64 v[24:25], s[8:9], v[22:23], v[22:23], 1.0
	v_rcp_f64_e32 v[26:27], v[24:25]
	v_div_scale_f64 v[28:29], vcc, 1.0, v[22:23], 1.0
	s_waitcnt lgkmcnt(0)
	v_fma_f64 v[30:31], -v[10:11], v[20:21], v[14:15]
	v_fma_f64 v[32:33], -v[24:25], v[26:27], 1.0
	v_fmac_f64_e32 v[26:27], v[26:27], v[32:33]
	v_fma_f64 v[32:33], -v[24:25], v[26:27], 1.0
	v_fmac_f64_e32 v[26:27], v[26:27], v[32:33]
	v_mul_f64 v[32:33], v[28:29], v[26:27]
	v_fma_f64 v[24:25], -v[24:25], v[32:33], v[28:29]
	v_div_fmas_f64 v[24:25], v[24:25], v[26:27], v[32:33]
	v_div_fixup_f64 v[34:35], v[24:25], v[22:23], 1.0
	ds_read2_b64 v[22:25], v9 offset0:63 offset1:64
	ds_read2_b64 v[26:29], v9 offset1:8
	v_mul_f64 v[36:37], v[34:35], v[30:31]
	ds_read2_b64 v[30:33], v9 offset0:31 offset1:32
	v_fma_f64 v[14:15], -v[12:13], v[14:15], v[20:21]
	v_mul_f64 v[12:13], v[12:13], v[18:19]
	s_waitcnt lgkmcnt(1)
	v_mul_f64 v[10:11], v[10:11], v[28:29]
	v_fma_f64 v[16:17], -v[22:23], v[36:37], v[16:17]
	v_mul_f64 v[10:11], v[10:11], -v[34:35]
	v_mul_f64 v[12:13], v[12:13], -v[34:35]
	v_mul_f64 v[14:15], v[14:15], v[34:35]
	ds_write2_b64 v9, v[36:37], v[16:17] offset0:87 offset1:95
	v_mul_f64 v[16:17], v[34:35], v[28:29]
	ds_write2_b64 v9, v[10:11], v[12:13] offset0:23 offset1:40
	v_mul_f64 v[18:19], v[34:35], v[18:19]
	s_waitcnt lgkmcnt(2)
	v_fma_f64 v[12:13], -v[12:13], v[26:27], v[32:33]
	v_fma_f64 v[10:11], -v[10:11], v[22:23], v[30:31]
	v_fma_f64 v[20:21], -v[14:15], v[26:27], v[24:25]
	ds_write2_b64 v9, v[18:19], v[14:15] offset0:55 offset1:72
	v_mul_f64 v[14:15], v[16:17], -v[26:27]
	ds_write2_b64 v9, v[10:11], v[12:13] offset0:31 offset1:32
	v_mul_f64 v[10:11], v[18:19], -v[22:23]
	ds_write2_b64 v9, v[14:15], v[16:17] offset1:8
	ds_write2_b64 v9, v[10:11], v[20:21] offset0:63 offset1:64
.LBB99_8:
	s_or_b64 exec, exec, s[6:7]
	s_waitcnt lgkmcnt(0)
	; wave barrier
	s_and_saveexec_b64 s[6:7], s[4:5]
	s_cbranch_execz .LBB99_10
; %bb.9:
	v_max_u32_e32 v9, 1, v6
	v_min_u32_e32 v6, 7, v6
	ds_read2_b64 v[10:13], v8 offset0:68 offset1:83
	ds_read2_b64 v[14:17], v8 offset0:36 offset1:51
	v_lshlrev_b32_e32 v9, 3, v9
	ds_read2_b64 v[18:21], v8 offset0:4 offset1:19
	v_lshlrev_b32_e32 v6, 3, v6
	ds_read_b64 v[22:23], v9 offset:632
	ds_read_b64 v[24:25], v6 offset:576
	s_waitcnt lgkmcnt(1)
	v_fma_f64 v[12:13], -v[16:17], v[22:23], v[12:13]
	s_waitcnt lgkmcnt(0)
	v_fma_f64 v[12:13], -v[20:21], v[24:25], v[12:13]
	ds_write_b64 v8, v[12:13] offset:664
	ds_read_b64 v[12:13], v9 offset:632
	s_waitcnt lgkmcnt(0)
	v_fma_f64 v[10:11], -v[14:15], v[12:13], v[10:11]
	ds_write_b64 v8, v[10:11] offset:544
	ds_read_b64 v[12:13], v6 offset:576
	s_waitcnt lgkmcnt(0)
	v_fma_f64 v[10:11], -v[18:19], v[12:13], v[10:11]
	ds_write_b64 v8, v[10:11] offset:544
.LBB99_10:
	s_or_b64 exec, exec, s[6:7]
	s_waitcnt lgkmcnt(0)
	; wave barrier
	s_and_saveexec_b64 s[4:5], s[2:3]
	s_cbranch_execz .LBB99_12
; %bb.11:
	v_lshlrev_b32_e32 v6, 2, v0
	v_max_u32_e32 v16, 1, v6
	v_min_u32_e32 v6, 11, v6
	ds_read2_b64 v[8:11], v7 offset0:66 offset1:81
	ds_read2_b64 v[12:15], v7 offset0:34 offset1:49
	v_lshlrev_b32_e32 v24, 3, v16
	ds_read2_b64 v[16:19], v7 offset0:2 offset1:17
	v_lshlrev_b32_e32 v6, 3, v6
	ds_read_b64 v[20:21], v24 offset:632
	ds_read_b64 v[22:23], v6 offset:544
	s_waitcnt lgkmcnt(1)
	v_fma_f64 v[10:11], -v[14:15], v[20:21], v[10:11]
	s_waitcnt lgkmcnt(0)
	v_fma_f64 v[10:11], -v[18:19], v[22:23], v[10:11]
	ds_write_b64 v7, v[10:11] offset:648
	ds_read_b64 v[10:11], v24 offset:632
	s_waitcnt lgkmcnt(0)
	v_fma_f64 v[8:9], -v[12:13], v[10:11], v[8:9]
	ds_write_b64 v7, v[8:9] offset:528
	ds_read_b64 v[10:11], v6 offset:544
	s_waitcnt lgkmcnt(0)
	v_fma_f64 v[8:9], -v[16:17], v[10:11], v[8:9]
	ds_write_b64 v7, v[8:9] offset:528
.LBB99_12:
	s_or_b64 exec, exec, s[4:5]
	s_waitcnt lgkmcnt(0)
	; wave barrier
	s_and_saveexec_b64 s[2:3], s[0:1]
	s_cbranch_execz .LBB99_14
; %bb.13:
	v_lshlrev_b32_e32 v6, 1, v0
	v_max_u32_e32 v14, 1, v6
	v_lshlrev_b32_e32 v0, 4, v0
	v_min_u32_e32 v18, 13, v6
	ds_read2_b64 v[6:9], v0 offset0:65 offset1:80
	ds_read2_b64 v[10:13], v0 offset0:33 offset1:48
	v_lshlrev_b32_e32 v22, 3, v14
	ds_read2_b64 v[14:17], v0 offset0:1 offset1:16
	v_lshlrev_b32_e32 v23, 3, v18
	ds_read_b64 v[18:19], v22 offset:632
	ds_read_b64 v[20:21], v23 offset:528
	s_waitcnt lgkmcnt(1)
	v_fma_f64 v[8:9], -v[12:13], v[18:19], v[8:9]
	s_waitcnt lgkmcnt(0)
	v_fma_f64 v[8:9], -v[16:17], v[20:21], v[8:9]
	ds_write_b64 v0, v[8:9] offset:640
	ds_read_b64 v[8:9], v22 offset:632
	s_waitcnt lgkmcnt(0)
	v_fma_f64 v[6:7], -v[10:11], v[8:9], v[6:7]
	ds_write_b64 v0, v[6:7] offset:520
	ds_read_b64 v[8:9], v23 offset:528
	s_waitcnt lgkmcnt(0)
	v_fma_f64 v[6:7], -v[14:15], v[8:9], v[6:7]
	ds_write_b64 v0, v[6:7] offset:520
.LBB99_14:
	s_or_b64 exec, exec, s[2:3]
	s_waitcnt lgkmcnt(0)
	; wave barrier
	ds_read2_b64 v[6:9], v1 offset1:16
	s_waitcnt lgkmcnt(0)
	global_store_dwordx2 v[2:3], v[6:7], off
	global_store_dwordx2 v[4:5], v[8:9], off
	s_endpgm
	.section	.rodata,"a",@progbits
	.p2align	6, 0x0
	.amdhsa_kernel _ZN9rocsparseL34gtsv_solve_spike_grid_level_kernelILj16EdEEviiiPT0_PKS1_S4_
		.amdhsa_group_segment_fixed_size 768
		.amdhsa_private_segment_fixed_size 0
		.amdhsa_kernarg_size 40
		.amdhsa_user_sgpr_count 2
		.amdhsa_user_sgpr_dispatch_ptr 0
		.amdhsa_user_sgpr_queue_ptr 0
		.amdhsa_user_sgpr_kernarg_segment_ptr 1
		.amdhsa_user_sgpr_dispatch_id 0
		.amdhsa_user_sgpr_kernarg_preload_length 0
		.amdhsa_user_sgpr_kernarg_preload_offset 0
		.amdhsa_user_sgpr_private_segment_size 0
		.amdhsa_uses_dynamic_stack 0
		.amdhsa_enable_private_segment 0
		.amdhsa_system_sgpr_workgroup_id_x 1
		.amdhsa_system_sgpr_workgroup_id_y 1
		.amdhsa_system_sgpr_workgroup_id_z 0
		.amdhsa_system_sgpr_workgroup_info 0
		.amdhsa_system_vgpr_workitem_id 0
		.amdhsa_next_free_vgpr 44
		.amdhsa_next_free_sgpr 10
		.amdhsa_accum_offset 44
		.amdhsa_reserve_vcc 1
		.amdhsa_float_round_mode_32 0
		.amdhsa_float_round_mode_16_64 0
		.amdhsa_float_denorm_mode_32 3
		.amdhsa_float_denorm_mode_16_64 3
		.amdhsa_dx10_clamp 1
		.amdhsa_ieee_mode 1
		.amdhsa_fp16_overflow 0
		.amdhsa_tg_split 0
		.amdhsa_exception_fp_ieee_invalid_op 0
		.amdhsa_exception_fp_denorm_src 0
		.amdhsa_exception_fp_ieee_div_zero 0
		.amdhsa_exception_fp_ieee_overflow 0
		.amdhsa_exception_fp_ieee_underflow 0
		.amdhsa_exception_fp_ieee_inexact 0
		.amdhsa_exception_int_div_zero 0
	.end_amdhsa_kernel
	.section	.text._ZN9rocsparseL34gtsv_solve_spike_grid_level_kernelILj16EdEEviiiPT0_PKS1_S4_,"axG",@progbits,_ZN9rocsparseL34gtsv_solve_spike_grid_level_kernelILj16EdEEviiiPT0_PKS1_S4_,comdat
.Lfunc_end99:
	.size	_ZN9rocsparseL34gtsv_solve_spike_grid_level_kernelILj16EdEEviiiPT0_PKS1_S4_, .Lfunc_end99-_ZN9rocsparseL34gtsv_solve_spike_grid_level_kernelILj16EdEEviiiPT0_PKS1_S4_
                                        ; -- End function
	.set _ZN9rocsparseL34gtsv_solve_spike_grid_level_kernelILj16EdEEviiiPT0_PKS1_S4_.num_vgpr, 44
	.set _ZN9rocsparseL34gtsv_solve_spike_grid_level_kernelILj16EdEEviiiPT0_PKS1_S4_.num_agpr, 0
	.set _ZN9rocsparseL34gtsv_solve_spike_grid_level_kernelILj16EdEEviiiPT0_PKS1_S4_.numbered_sgpr, 10
	.set _ZN9rocsparseL34gtsv_solve_spike_grid_level_kernelILj16EdEEviiiPT0_PKS1_S4_.num_named_barrier, 0
	.set _ZN9rocsparseL34gtsv_solve_spike_grid_level_kernelILj16EdEEviiiPT0_PKS1_S4_.private_seg_size, 0
	.set _ZN9rocsparseL34gtsv_solve_spike_grid_level_kernelILj16EdEEviiiPT0_PKS1_S4_.uses_vcc, 1
	.set _ZN9rocsparseL34gtsv_solve_spike_grid_level_kernelILj16EdEEviiiPT0_PKS1_S4_.uses_flat_scratch, 0
	.set _ZN9rocsparseL34gtsv_solve_spike_grid_level_kernelILj16EdEEviiiPT0_PKS1_S4_.has_dyn_sized_stack, 0
	.set _ZN9rocsparseL34gtsv_solve_spike_grid_level_kernelILj16EdEEviiiPT0_PKS1_S4_.has_recursion, 0
	.set _ZN9rocsparseL34gtsv_solve_spike_grid_level_kernelILj16EdEEviiiPT0_PKS1_S4_.has_indirect_call, 0
	.section	.AMDGPU.csdata,"",@progbits
; Kernel info:
; codeLenInByte = 2104
; TotalNumSgprs: 16
; NumVgprs: 44
; NumAgprs: 0
; TotalNumVgprs: 44
; ScratchSize: 0
; MemoryBound: 1
; FloatMode: 240
; IeeeMode: 1
; LDSByteSize: 768 bytes/workgroup (compile time only)
; SGPRBlocks: 1
; VGPRBlocks: 5
; NumSGPRsForWavesPerEU: 16
; NumVGPRsForWavesPerEU: 44
; AccumOffset: 44
; Occupancy: 8
; WaveLimiterHint : 1
; COMPUTE_PGM_RSRC2:SCRATCH_EN: 0
; COMPUTE_PGM_RSRC2:USER_SGPR: 2
; COMPUTE_PGM_RSRC2:TRAP_HANDLER: 0
; COMPUTE_PGM_RSRC2:TGID_X_EN: 1
; COMPUTE_PGM_RSRC2:TGID_Y_EN: 1
; COMPUTE_PGM_RSRC2:TGID_Z_EN: 0
; COMPUTE_PGM_RSRC2:TIDIG_COMP_CNT: 0
; COMPUTE_PGM_RSRC3_GFX90A:ACCUM_OFFSET: 10
; COMPUTE_PGM_RSRC3_GFX90A:TG_SPLIT: 0
	.section	.text._ZN9rocsparseL34gtsv_solve_spike_grid_level_kernelILj32EdEEviiiPT0_PKS1_S4_,"axG",@progbits,_ZN9rocsparseL34gtsv_solve_spike_grid_level_kernelILj32EdEEviiiPT0_PKS1_S4_,comdat
	.globl	_ZN9rocsparseL34gtsv_solve_spike_grid_level_kernelILj32EdEEviiiPT0_PKS1_S4_ ; -- Begin function _ZN9rocsparseL34gtsv_solve_spike_grid_level_kernelILj32EdEEviiiPT0_PKS1_S4_
	.p2align	8
	.type	_ZN9rocsparseL34gtsv_solve_spike_grid_level_kernelILj32EdEEviiiPT0_PKS1_S4_,@function
_ZN9rocsparseL34gtsv_solve_spike_grid_level_kernelILj32EdEEviiiPT0_PKS1_S4_: ; @_ZN9rocsparseL34gtsv_solve_spike_grid_level_kernelILj32EdEEviiiPT0_PKS1_S4_
; %bb.0:
	s_load_dwordx4 s[4:7], s[0:1], 0x10
	s_load_dwordx2 s[8:9], s[0:1], 0x20
	v_lshl_or_b32 v4, s3, 6, v0
	v_mov_b32_e32 v5, 0
	v_lshlrev_b32_e32 v6, 3, v0
	s_waitcnt lgkmcnt(0)
	v_lshl_add_u64 v[2:3], v[4:5], 3, s[4:5]
	v_or_b32_e32 v4, 32, v4
	global_load_dwordx2 v[8:9], v6, s[6:7]
	global_load_dwordx2 v[10:11], v6, s[6:7] offset:256
	global_load_dwordx2 v[12:13], v6, s[8:9]
	global_load_dwordx2 v[14:15], v6, s[8:9] offset:256
	v_lshl_add_u64 v[4:5], v[4:5], 3, s[4:5]
	global_load_dwordx2 v[16:17], v[2:3], off
	global_load_dwordx2 v[18:19], v[4:5], off
	v_or_b32_e32 v1, 0x400, v6
	v_cmp_gt_u32_e64 s[0:1], 16, v0
	s_waitcnt vmcnt(4)
	ds_write2_b64 v6, v[8:9], v[10:11] offset0:64 offset1:96
	s_waitcnt vmcnt(2)
	ds_write2_b64 v6, v[12:13], v[14:15] offset1:32
	s_waitcnt vmcnt(0)
	ds_write2_b64 v6, v[16:17], v[18:19] offset0:128 offset1:160
	s_waitcnt lgkmcnt(0)
	; wave barrier
	s_and_saveexec_b64 s[2:3], s[0:1]
	s_cbranch_execz .LBB100_2
; %bb.1:
	v_or_b32_e32 v7, 0x200, v6
	v_add_u32_e32 v7, v7, v6
	ds_read_b128 v[8:11], v7
	v_add_u32_e32 v42, v6, v6
	ds_read_b128 v[12:15], v42 offset:256
	ds_read_b128 v[16:19], v42
	ds_read_b128 v[20:23], v7 offset:256
	v_add_u32_e32 v43, v1, v6
	s_waitcnt lgkmcnt(2)
	v_fma_f64 v[32:33], -v[10:11], v[12:13], 1.0
	v_div_scale_f64 v[34:35], s[4:5], v[32:33], v[32:33], 1.0
	v_rcp_f64_e32 v[36:37], v[34:35]
	v_div_scale_f64 v[38:39], vcc, 1.0, v[32:33], 1.0
	v_fma_f64 v[24:25], -v[34:35], v[36:37], 1.0
	v_fmac_f64_e32 v[36:37], v[36:37], v[24:25]
	v_fma_f64 v[24:25], -v[34:35], v[36:37], 1.0
	v_fmac_f64_e32 v[36:37], v[36:37], v[24:25]
	ds_read_b128 v[24:27], v43 offset:256
	ds_read_b128 v[28:31], v43
	v_mul_f64 v[40:41], v[38:39], v[36:37]
	v_fma_f64 v[34:35], -v[34:35], v[40:41], v[38:39]
	v_div_fmas_f64 v[34:35], v[34:35], v[36:37], v[40:41]
	v_div_fixup_f64 v[36:37], v[34:35], v[32:33], 1.0
	s_waitcnt lgkmcnt(0)
	v_fma_f64 v[32:33], -v[12:13], v[30:31], v[24:25]
	v_fma_f64 v[24:25], -v[10:11], v[24:25], v[30:31]
	v_mul_f64 v[12:13], v[12:13], v[18:19]
	v_mul_f64 v[10:11], v[10:11], v[20:21]
	;; [unrolled: 1-line block ×4, first 2 shown]
	v_mul_f64 v[12:13], v[12:13], -v[36:37]
	v_mul_f64 v[18:19], v[36:37], v[18:19]
	v_mul_f64 v[10:11], v[10:11], -v[36:37]
	v_mul_f64 v[20:21], v[36:37], v[20:21]
	v_fma_f64 v[28:29], -v[30:31], v[16:17], v[28:29]
	v_fma_f64 v[34:35], -v[22:23], v[32:33], v[26:27]
	;; [unrolled: 1-line block ×3, first 2 shown]
	v_mul_f64 v[16:17], v[18:19], -v[16:17]
	v_fma_f64 v[14:15], -v[12:13], v[22:23], v[14:15]
	v_mul_f64 v[22:23], v[20:21], -v[22:23]
	ds_write_b128 v43, v[28:31]
	ds_write_b128 v43, v[32:35] offset:256
	ds_write_b128 v7, v[8:11]
	ds_write_b128 v42, v[16:19]
	ds_write_b128 v42, v[12:15] offset:256
	ds_write_b128 v7, v[20:23] offset:256
.LBB100_2:
	s_or_b64 exec, exec, s[2:3]
	v_cmp_gt_u32_e64 s[2:3], 8, v0
	v_lshlrev_b32_e32 v7, 5, v0
	s_waitcnt lgkmcnt(0)
	; wave barrier
	s_and_saveexec_b64 s[4:5], s[2:3]
	s_cbranch_execz .LBB100_4
; %bb.3:
	v_mad_u32_u24 v36, v0, 24, v6
	ds_read2_b64 v[8:11], v7 offset0:64 offset1:66
	ds_read2_b64 v[12:15], v36 offset0:33 offset1:35
	v_mad_u32_u24 v37, v0, 24, v1
	ds_read2_b64 v[16:19], v37 offset0:33 offset1:35
	ds_read2_b64 v[20:23], v37 offset1:2
	s_waitcnt lgkmcnt(2)
	v_fma_f64 v[24:25], -v[10:11], v[12:13], 1.0
	v_div_scale_f64 v[26:27], s[6:7], v[24:25], v[24:25], 1.0
	v_rcp_f64_e32 v[28:29], v[26:27]
	v_div_scale_f64 v[30:31], vcc, 1.0, v[24:25], 1.0
	v_fma_f64 v[32:33], -v[26:27], v[28:29], 1.0
	v_fmac_f64_e32 v[28:29], v[28:29], v[32:33]
	v_fma_f64 v[32:33], -v[26:27], v[28:29], 1.0
	v_fmac_f64_e32 v[28:29], v[28:29], v[32:33]
	v_mul_f64 v[32:33], v[30:31], v[28:29]
	v_fma_f64 v[26:27], -v[26:27], v[32:33], v[30:31]
	v_div_fmas_f64 v[26:27], v[26:27], v[28:29], v[32:33]
	v_div_fixup_f64 v[32:33], v[26:27], v[24:25], 1.0
	s_waitcnt lgkmcnt(0)
	v_fma_f64 v[28:29], -v[12:13], v[22:23], v[16:17]
	ds_read2_b64 v[24:27], v36 offset1:2
	v_mul_f64 v[34:35], v[32:33], v[28:29]
	ds_read2_b64 v[28:31], v7 offset0:97 offset1:99
	v_fma_f64 v[16:17], -v[10:11], v[16:17], v[22:23]
	v_mul_f64 v[16:17], v[16:17], v[32:33]
	s_waitcnt lgkmcnt(1)
	v_fma_f64 v[20:21], -v[16:17], v[24:25], v[20:21]
	ds_write2_b64 v37, v[20:21], v[16:17] offset1:2
	s_waitcnt lgkmcnt(1)
	v_mul_f64 v[10:11], v[10:11], v[28:29]
	v_fma_f64 v[16:17], -v[30:31], v[34:35], v[18:19]
	v_mul_f64 v[10:11], v[10:11], -v[32:33]
	ds_write2_b64 v37, v[34:35], v[16:17] offset0:33 offset1:35
	v_mul_f64 v[12:13], v[12:13], v[26:27]
	v_mul_f64 v[16:17], v[32:33], v[26:27]
	v_fma_f64 v[8:9], -v[10:11], v[24:25], v[8:9]
	v_mul_f64 v[12:13], v[12:13], -v[32:33]
	ds_write2_b64 v7, v[8:9], v[10:11] offset0:64 offset1:66
	v_mul_f64 v[8:9], v[16:17], -v[24:25]
	v_mul_f64 v[18:19], v[32:33], v[28:29]
	ds_write2_b64 v36, v[8:9], v[16:17] offset1:2
	v_fma_f64 v[8:9], -v[12:13], v[30:31], v[14:15]
	ds_write2_b64 v36, v[12:13], v[8:9] offset0:33 offset1:35
	v_mul_f64 v[8:9], v[18:19], -v[30:31]
	ds_write2_b64 v7, v[18:19], v[8:9] offset0:97 offset1:99
.LBB100_4:
	s_or_b64 exec, exec, s[4:5]
	v_cmp_gt_u32_e64 s[4:5], 4, v0
	v_lshlrev_b32_e32 v8, 6, v0
	s_waitcnt lgkmcnt(0)
	; wave barrier
	s_and_saveexec_b64 s[6:7], s[4:5]
	s_cbranch_execz .LBB100_6
; %bb.5:
	ds_read2_b64 v[10:13], v8 offset0:64 offset1:68
	ds_read2_b64 v[14:17], v8 offset0:35 offset1:39
	ds_read2_b64 v[18:21], v8 offset0:163 offset1:167
	ds_read2_b64 v[22:25], v8 offset0:128 offset1:132
	s_waitcnt lgkmcnt(2)
	v_fma_f64 v[26:27], -v[12:13], v[14:15], 1.0
	v_div_scale_f64 v[28:29], s[8:9], v[26:27], v[26:27], 1.0
	v_rcp_f64_e32 v[30:31], v[28:29]
	v_div_scale_f64 v[32:33], vcc, 1.0, v[26:27], 1.0
	v_fma_f64 v[34:35], -v[28:29], v[30:31], 1.0
	v_fmac_f64_e32 v[30:31], v[30:31], v[34:35]
	v_fma_f64 v[34:35], -v[28:29], v[30:31], 1.0
	v_fmac_f64_e32 v[30:31], v[30:31], v[34:35]
	v_mul_f64 v[34:35], v[32:33], v[30:31]
	v_fma_f64 v[28:29], -v[28:29], v[34:35], v[32:33]
	v_div_fmas_f64 v[28:29], v[28:29], v[30:31], v[34:35]
	v_div_fixup_f64 v[34:35], v[28:29], v[26:27], 1.0
	s_waitcnt lgkmcnt(0)
	v_fma_f64 v[30:31], -v[14:15], v[24:25], v[18:19]
	ds_read2_b64 v[26:29], v8 offset1:4
	v_mul_f64 v[36:37], v[34:35], v[30:31]
	ds_read2_b64 v[30:33], v8 offset0:99 offset1:103
	v_fma_f64 v[18:19], -v[12:13], v[18:19], v[24:25]
	v_mul_f64 v[18:19], v[18:19], v[34:35]
	s_waitcnt lgkmcnt(1)
	v_fma_f64 v[22:23], -v[18:19], v[26:27], v[22:23]
	ds_write2_b64 v8, v[22:23], v[18:19] offset0:128 offset1:132
	s_waitcnt lgkmcnt(1)
	v_mul_f64 v[12:13], v[12:13], v[30:31]
	v_fma_f64 v[18:19], -v[32:33], v[36:37], v[20:21]
	v_mul_f64 v[12:13], v[12:13], -v[34:35]
	ds_write2_b64 v8, v[36:37], v[18:19] offset0:163 offset1:167
	v_mul_f64 v[14:15], v[14:15], v[28:29]
	v_mul_f64 v[18:19], v[34:35], v[28:29]
	v_fma_f64 v[10:11], -v[12:13], v[26:27], v[10:11]
	v_mul_f64 v[14:15], v[14:15], -v[34:35]
	ds_write2_b64 v8, v[10:11], v[12:13] offset0:64 offset1:68
	v_mul_f64 v[10:11], v[18:19], -v[26:27]
	v_mul_f64 v[20:21], v[34:35], v[30:31]
	ds_write2_b64 v8, v[10:11], v[18:19] offset1:4
	v_fma_f64 v[10:11], -v[14:15], v[32:33], v[16:17]
	ds_write2_b64 v8, v[14:15], v[10:11] offset0:35 offset1:39
	v_mul_f64 v[10:11], v[20:21], -v[32:33]
	ds_write2_b64 v8, v[20:21], v[10:11] offset0:99 offset1:103
.LBB100_6:
	s_or_b64 exec, exec, s[6:7]
	v_cmp_gt_u32_e64 s[6:7], 2, v0
	v_lshlrev_b32_e32 v9, 7, v0
	s_waitcnt lgkmcnt(0)
	; wave barrier
	s_and_saveexec_b64 s[8:9], s[6:7]
	s_cbranch_execz .LBB100_8
; %bb.7:
	ds_read2_b64 v[10:13], v9 offset0:64 offset1:72
	ds_read2_b64 v[14:17], v9 offset0:39 offset1:47
	;; [unrolled: 1-line block ×4, first 2 shown]
	s_waitcnt lgkmcnt(2)
	v_fma_f64 v[26:27], -v[12:13], v[14:15], 1.0
	v_div_scale_f64 v[28:29], s[10:11], v[26:27], v[26:27], 1.0
	v_rcp_f64_e32 v[30:31], v[28:29]
	v_div_scale_f64 v[32:33], vcc, 1.0, v[26:27], 1.0
	v_fma_f64 v[34:35], -v[28:29], v[30:31], 1.0
	v_fmac_f64_e32 v[30:31], v[30:31], v[34:35]
	v_fma_f64 v[34:35], -v[28:29], v[30:31], 1.0
	v_fmac_f64_e32 v[30:31], v[30:31], v[34:35]
	v_mul_f64 v[34:35], v[32:33], v[30:31]
	v_fma_f64 v[28:29], -v[28:29], v[34:35], v[32:33]
	v_div_fmas_f64 v[28:29], v[28:29], v[30:31], v[34:35]
	v_div_fixup_f64 v[34:35], v[28:29], v[26:27], 1.0
	s_waitcnt lgkmcnt(0)
	v_fma_f64 v[30:31], -v[14:15], v[24:25], v[18:19]
	ds_read2_b64 v[26:29], v9 offset1:8
	v_mul_f64 v[36:37], v[34:35], v[30:31]
	ds_read2_b64 v[30:33], v9 offset0:103 offset1:111
	v_fma_f64 v[18:19], -v[12:13], v[18:19], v[24:25]
	v_mul_f64 v[18:19], v[18:19], v[34:35]
	s_waitcnt lgkmcnt(1)
	v_fma_f64 v[22:23], -v[18:19], v[26:27], v[22:23]
	ds_write2_b64 v9, v[22:23], v[18:19] offset0:128 offset1:136
	s_waitcnt lgkmcnt(1)
	v_mul_f64 v[12:13], v[12:13], v[30:31]
	v_fma_f64 v[18:19], -v[32:33], v[36:37], v[20:21]
	v_mul_f64 v[12:13], v[12:13], -v[34:35]
	ds_write2_b64 v9, v[36:37], v[18:19] offset0:167 offset1:175
	v_mul_f64 v[14:15], v[14:15], v[28:29]
	v_mul_f64 v[18:19], v[34:35], v[28:29]
	v_fma_f64 v[10:11], -v[12:13], v[26:27], v[10:11]
	v_mul_f64 v[14:15], v[14:15], -v[34:35]
	ds_write2_b64 v9, v[10:11], v[12:13] offset0:64 offset1:72
	v_mul_f64 v[10:11], v[18:19], -v[26:27]
	v_mul_f64 v[20:21], v[34:35], v[30:31]
	ds_write2_b64 v9, v[10:11], v[18:19] offset1:8
	v_fma_f64 v[10:11], -v[14:15], v[32:33], v[16:17]
	ds_write2_b64 v9, v[14:15], v[10:11] offset0:39 offset1:47
	v_mul_f64 v[10:11], v[20:21], -v[32:33]
	ds_write2_b64 v9, v[20:21], v[10:11] offset0:103 offset1:111
.LBB100_8:
	s_or_b64 exec, exec, s[8:9]
	v_cmp_eq_u32_e32 vcc, 0, v0
	s_waitcnt lgkmcnt(0)
	; wave barrier
	s_and_saveexec_b64 s[8:9], vcc
	s_cbranch_execz .LBB100_10
; %bb.9:
	v_mov_b32_e32 v38, 0
	ds_read2_b64 v[10:13], v38 offset0:47 offset1:80
	ds_read2_b64 v[14:17], v38 offset0:175 offset1:191
	;; [unrolled: 1-line block ×3, first 2 shown]
	s_waitcnt lgkmcnt(2)
	v_fma_f64 v[22:23], -v[12:13], v[10:11], 1.0
	v_div_scale_f64 v[24:25], s[10:11], v[22:23], v[22:23], 1.0
	v_rcp_f64_e32 v[26:27], v[24:25]
	v_div_scale_f64 v[28:29], vcc, 1.0, v[22:23], 1.0
	s_waitcnt lgkmcnt(0)
	v_fma_f64 v[30:31], -v[10:11], v[20:21], v[14:15]
	v_fma_f64 v[32:33], -v[24:25], v[26:27], 1.0
	v_fmac_f64_e32 v[26:27], v[26:27], v[32:33]
	v_fma_f64 v[32:33], -v[24:25], v[26:27], 1.0
	v_fmac_f64_e32 v[26:27], v[26:27], v[32:33]
	v_mul_f64 v[32:33], v[28:29], v[26:27]
	v_fma_f64 v[24:25], -v[24:25], v[32:33], v[28:29]
	v_div_fmas_f64 v[24:25], v[24:25], v[26:27], v[32:33]
	v_div_fixup_f64 v[34:35], v[24:25], v[22:23], 1.0
	ds_read2_b64 v[22:25], v38 offset0:127 offset1:128
	ds_read2_b64 v[26:29], v38 offset1:16
	v_mul_f64 v[36:37], v[34:35], v[30:31]
	ds_read2_b64 v[30:33], v38 offset0:63 offset1:64
	v_fma_f64 v[14:15], -v[12:13], v[14:15], v[20:21]
	v_mul_f64 v[12:13], v[12:13], v[18:19]
	s_waitcnt lgkmcnt(1)
	v_mul_f64 v[10:11], v[10:11], v[28:29]
	v_fma_f64 v[16:17], -v[22:23], v[36:37], v[16:17]
	v_mul_f64 v[10:11], v[10:11], -v[34:35]
	v_mul_f64 v[12:13], v[12:13], -v[34:35]
	v_mul_f64 v[14:15], v[14:15], v[34:35]
	ds_write2_b64 v38, v[36:37], v[16:17] offset0:175 offset1:191
	v_mul_f64 v[16:17], v[34:35], v[28:29]
	ds_write2_b64 v38, v[10:11], v[12:13] offset0:47 offset1:80
	v_mul_f64 v[18:19], v[34:35], v[18:19]
	s_waitcnt lgkmcnt(2)
	v_fma_f64 v[12:13], -v[12:13], v[26:27], v[32:33]
	v_fma_f64 v[10:11], -v[10:11], v[22:23], v[30:31]
	;; [unrolled: 1-line block ×3, first 2 shown]
	ds_write2_b64 v38, v[18:19], v[14:15] offset0:111 offset1:144
	v_mul_f64 v[14:15], v[16:17], -v[26:27]
	ds_write2_b64 v38, v[10:11], v[12:13] offset0:63 offset1:64
	v_mul_f64 v[10:11], v[18:19], -v[22:23]
	ds_write2_b64 v38, v[14:15], v[16:17] offset1:16
	ds_write2_b64 v38, v[10:11], v[20:21] offset0:127 offset1:128
.LBB100_10:
	s_or_b64 exec, exec, s[8:9]
	v_lshlrev_b32_e32 v10, 4, v0
	s_waitcnt lgkmcnt(0)
	; wave barrier
	s_and_saveexec_b64 s[8:9], s[6:7]
	s_cbranch_execz .LBB100_12
; %bb.11:
	v_max_u32_e32 v11, 1, v10
	v_min_u32_e32 v24, 15, v10
	ds_read2_b64 v[12:15], v9 offset0:136 offset1:167
	ds_read2_b64 v[16:19], v9 offset0:72 offset1:103
	v_lshlrev_b32_e32 v11, 3, v11
	ds_read2_b64 v[20:23], v9 offset0:8 offset1:39
	v_lshlrev_b32_e32 v28, 3, v24
	ds_read_b64 v[24:25], v11 offset:1272
	ds_read_b64 v[26:27], v28 offset:1152
	s_waitcnt lgkmcnt(1)
	v_fma_f64 v[14:15], -v[18:19], v[24:25], v[14:15]
	s_waitcnt lgkmcnt(0)
	v_fma_f64 v[14:15], -v[22:23], v[26:27], v[14:15]
	ds_write_b64 v9, v[14:15] offset:1336
	ds_read_b64 v[14:15], v11 offset:1272
	s_waitcnt lgkmcnt(0)
	v_fma_f64 v[12:13], -v[16:17], v[14:15], v[12:13]
	ds_write_b64 v9, v[12:13] offset:1088
	ds_read_b64 v[14:15], v28 offset:1152
	s_waitcnt lgkmcnt(0)
	v_fma_f64 v[12:13], -v[20:21], v[14:15], v[12:13]
	ds_write_b64 v9, v[12:13] offset:1088
.LBB100_12:
	s_or_b64 exec, exec, s[8:9]
	s_waitcnt lgkmcnt(0)
	; wave barrier
	s_and_saveexec_b64 s[6:7], s[4:5]
	s_cbranch_execz .LBB100_14
; %bb.13:
	v_max_u32_e32 v9, 1, v6
	v_min_u32_e32 v6, 23, v6
	ds_read2_b64 v[12:15], v8 offset0:132 offset1:163
	ds_read2_b64 v[16:19], v8 offset0:68 offset1:99
	v_lshlrev_b32_e32 v9, 3, v9
	ds_read2_b64 v[20:23], v8 offset0:4 offset1:35
	v_lshlrev_b32_e32 v6, 3, v6
	ds_read_b64 v[24:25], v9 offset:1272
	ds_read_b64 v[26:27], v6 offset:1088
	s_waitcnt lgkmcnt(1)
	v_fma_f64 v[14:15], -v[18:19], v[24:25], v[14:15]
	s_waitcnt lgkmcnt(0)
	v_fma_f64 v[14:15], -v[22:23], v[26:27], v[14:15]
	ds_write_b64 v8, v[14:15] offset:1304
	ds_read_b64 v[14:15], v9 offset:1272
	s_waitcnt lgkmcnt(0)
	v_fma_f64 v[12:13], -v[16:17], v[14:15], v[12:13]
	ds_write_b64 v8, v[12:13] offset:1056
	ds_read_b64 v[14:15], v6 offset:1088
	s_waitcnt lgkmcnt(0)
	v_fma_f64 v[12:13], -v[20:21], v[14:15], v[12:13]
	ds_write_b64 v8, v[12:13] offset:1056
.LBB100_14:
	s_or_b64 exec, exec, s[6:7]
	s_waitcnt lgkmcnt(0)
	; wave barrier
	s_and_saveexec_b64 s[4:5], s[2:3]
	s_cbranch_execz .LBB100_16
; %bb.15:
	v_lshlrev_b32_e32 v6, 2, v0
	v_max_u32_e32 v8, 1, v6
	v_min_u32_e32 v6, 27, v6
	ds_read2_b64 v[12:15], v7 offset0:130 offset1:161
	ds_read2_b64 v[16:19], v7 offset0:66 offset1:97
	v_lshlrev_b32_e32 v11, 3, v8
	ds_read2_b64 v[20:23], v7 offset0:2 offset1:33
	v_lshlrev_b32_e32 v6, 3, v6
	ds_read_b64 v[8:9], v11 offset:1272
	ds_read_b64 v[24:25], v6 offset:1056
	s_waitcnt lgkmcnt(1)
	v_fma_f64 v[8:9], -v[18:19], v[8:9], v[14:15]
	s_waitcnt lgkmcnt(0)
	v_fma_f64 v[8:9], -v[22:23], v[24:25], v[8:9]
	ds_write_b64 v7, v[8:9] offset:1288
	ds_read_b64 v[8:9], v11 offset:1272
	s_waitcnt lgkmcnt(0)
	v_fma_f64 v[8:9], -v[16:17], v[8:9], v[12:13]
	ds_write_b64 v7, v[8:9] offset:1040
	ds_read_b64 v[12:13], v6 offset:1056
	s_waitcnt lgkmcnt(0)
	v_fma_f64 v[8:9], -v[20:21], v[12:13], v[8:9]
	ds_write_b64 v7, v[8:9] offset:1040
.LBB100_16:
	s_or_b64 exec, exec, s[4:5]
	s_waitcnt lgkmcnt(0)
	; wave barrier
	s_and_saveexec_b64 s[2:3], s[0:1]
	s_cbranch_execz .LBB100_18
; %bb.17:
	v_lshlrev_b32_e32 v0, 1, v0
	v_max_u32_e32 v11, 1, v0
	v_min_u32_e32 v0, 29, v0
	ds_read2_b64 v[6:9], v10 offset0:129 offset1:160
	ds_read2_b64 v[12:15], v10 offset0:65 offset1:96
	v_lshlrev_b32_e32 v11, 3, v11
	ds_read2_b64 v[16:19], v10 offset0:1 offset1:32
	v_lshlrev_b32_e32 v0, 3, v0
	ds_read_b64 v[20:21], v11 offset:1272
	ds_read_b64 v[22:23], v0 offset:1040
	s_waitcnt lgkmcnt(1)
	v_fma_f64 v[8:9], -v[14:15], v[20:21], v[8:9]
	s_waitcnt lgkmcnt(0)
	v_fma_f64 v[8:9], -v[18:19], v[22:23], v[8:9]
	ds_write_b64 v10, v[8:9] offset:1280
	ds_read_b64 v[8:9], v11 offset:1272
	s_waitcnt lgkmcnt(0)
	v_fma_f64 v[6:7], -v[12:13], v[8:9], v[6:7]
	ds_write_b64 v10, v[6:7] offset:1032
	ds_read_b64 v[8:9], v0 offset:1040
	s_waitcnt lgkmcnt(0)
	v_fma_f64 v[6:7], -v[16:17], v[8:9], v[6:7]
	ds_write_b64 v10, v[6:7] offset:1032
.LBB100_18:
	s_or_b64 exec, exec, s[2:3]
	s_waitcnt lgkmcnt(0)
	; wave barrier
	ds_read2_b64 v[6:9], v1 offset1:32
	s_waitcnt lgkmcnt(0)
	global_store_dwordx2 v[2:3], v[6:7], off
	global_store_dwordx2 v[4:5], v[8:9], off
	s_endpgm
	.section	.rodata,"a",@progbits
	.p2align	6, 0x0
	.amdhsa_kernel _ZN9rocsparseL34gtsv_solve_spike_grid_level_kernelILj32EdEEviiiPT0_PKS1_S4_
		.amdhsa_group_segment_fixed_size 1536
		.amdhsa_private_segment_fixed_size 0
		.amdhsa_kernarg_size 40
		.amdhsa_user_sgpr_count 2
		.amdhsa_user_sgpr_dispatch_ptr 0
		.amdhsa_user_sgpr_queue_ptr 0
		.amdhsa_user_sgpr_kernarg_segment_ptr 1
		.amdhsa_user_sgpr_dispatch_id 0
		.amdhsa_user_sgpr_kernarg_preload_length 0
		.amdhsa_user_sgpr_kernarg_preload_offset 0
		.amdhsa_user_sgpr_private_segment_size 0
		.amdhsa_uses_dynamic_stack 0
		.amdhsa_enable_private_segment 0
		.amdhsa_system_sgpr_workgroup_id_x 1
		.amdhsa_system_sgpr_workgroup_id_y 1
		.amdhsa_system_sgpr_workgroup_id_z 0
		.amdhsa_system_sgpr_workgroup_info 0
		.amdhsa_system_vgpr_workitem_id 0
		.amdhsa_next_free_vgpr 44
		.amdhsa_next_free_sgpr 12
		.amdhsa_accum_offset 44
		.amdhsa_reserve_vcc 1
		.amdhsa_float_round_mode_32 0
		.amdhsa_float_round_mode_16_64 0
		.amdhsa_float_denorm_mode_32 3
		.amdhsa_float_denorm_mode_16_64 3
		.amdhsa_dx10_clamp 1
		.amdhsa_ieee_mode 1
		.amdhsa_fp16_overflow 0
		.amdhsa_tg_split 0
		.amdhsa_exception_fp_ieee_invalid_op 0
		.amdhsa_exception_fp_denorm_src 0
		.amdhsa_exception_fp_ieee_div_zero 0
		.amdhsa_exception_fp_ieee_overflow 0
		.amdhsa_exception_fp_ieee_underflow 0
		.amdhsa_exception_fp_ieee_inexact 0
		.amdhsa_exception_int_div_zero 0
	.end_amdhsa_kernel
	.section	.text._ZN9rocsparseL34gtsv_solve_spike_grid_level_kernelILj32EdEEviiiPT0_PKS1_S4_,"axG",@progbits,_ZN9rocsparseL34gtsv_solve_spike_grid_level_kernelILj32EdEEviiiPT0_PKS1_S4_,comdat
.Lfunc_end100:
	.size	_ZN9rocsparseL34gtsv_solve_spike_grid_level_kernelILj32EdEEviiiPT0_PKS1_S4_, .Lfunc_end100-_ZN9rocsparseL34gtsv_solve_spike_grid_level_kernelILj32EdEEviiiPT0_PKS1_S4_
                                        ; -- End function
	.set _ZN9rocsparseL34gtsv_solve_spike_grid_level_kernelILj32EdEEviiiPT0_PKS1_S4_.num_vgpr, 44
	.set _ZN9rocsparseL34gtsv_solve_spike_grid_level_kernelILj32EdEEviiiPT0_PKS1_S4_.num_agpr, 0
	.set _ZN9rocsparseL34gtsv_solve_spike_grid_level_kernelILj32EdEEviiiPT0_PKS1_S4_.numbered_sgpr, 12
	.set _ZN9rocsparseL34gtsv_solve_spike_grid_level_kernelILj32EdEEviiiPT0_PKS1_S4_.num_named_barrier, 0
	.set _ZN9rocsparseL34gtsv_solve_spike_grid_level_kernelILj32EdEEviiiPT0_PKS1_S4_.private_seg_size, 0
	.set _ZN9rocsparseL34gtsv_solve_spike_grid_level_kernelILj32EdEEviiiPT0_PKS1_S4_.uses_vcc, 1
	.set _ZN9rocsparseL34gtsv_solve_spike_grid_level_kernelILj32EdEEviiiPT0_PKS1_S4_.uses_flat_scratch, 0
	.set _ZN9rocsparseL34gtsv_solve_spike_grid_level_kernelILj32EdEEviiiPT0_PKS1_S4_.has_dyn_sized_stack, 0
	.set _ZN9rocsparseL34gtsv_solve_spike_grid_level_kernelILj32EdEEviiiPT0_PKS1_S4_.has_recursion, 0
	.set _ZN9rocsparseL34gtsv_solve_spike_grid_level_kernelILj32EdEEviiiPT0_PKS1_S4_.has_indirect_call, 0
	.section	.AMDGPU.csdata,"",@progbits
; Kernel info:
; codeLenInByte = 2616
; TotalNumSgprs: 18
; NumVgprs: 44
; NumAgprs: 0
; TotalNumVgprs: 44
; ScratchSize: 0
; MemoryBound: 1
; FloatMode: 240
; IeeeMode: 1
; LDSByteSize: 1536 bytes/workgroup (compile time only)
; SGPRBlocks: 2
; VGPRBlocks: 5
; NumSGPRsForWavesPerEU: 18
; NumVGPRsForWavesPerEU: 44
; AccumOffset: 44
; Occupancy: 8
; WaveLimiterHint : 1
; COMPUTE_PGM_RSRC2:SCRATCH_EN: 0
; COMPUTE_PGM_RSRC2:USER_SGPR: 2
; COMPUTE_PGM_RSRC2:TRAP_HANDLER: 0
; COMPUTE_PGM_RSRC2:TGID_X_EN: 1
; COMPUTE_PGM_RSRC2:TGID_Y_EN: 1
; COMPUTE_PGM_RSRC2:TGID_Z_EN: 0
; COMPUTE_PGM_RSRC2:TIDIG_COMP_CNT: 0
; COMPUTE_PGM_RSRC3_GFX90A:ACCUM_OFFSET: 10
; COMPUTE_PGM_RSRC3_GFX90A:TG_SPLIT: 0
	.section	.text._ZN9rocsparseL34gtsv_solve_spike_grid_level_kernelILj64EdEEviiiPT0_PKS1_S4_,"axG",@progbits,_ZN9rocsparseL34gtsv_solve_spike_grid_level_kernelILj64EdEEviiiPT0_PKS1_S4_,comdat
	.globl	_ZN9rocsparseL34gtsv_solve_spike_grid_level_kernelILj64EdEEviiiPT0_PKS1_S4_ ; -- Begin function _ZN9rocsparseL34gtsv_solve_spike_grid_level_kernelILj64EdEEviiiPT0_PKS1_S4_
	.p2align	8
	.type	_ZN9rocsparseL34gtsv_solve_spike_grid_level_kernelILj64EdEEviiiPT0_PKS1_S4_,@function
_ZN9rocsparseL34gtsv_solve_spike_grid_level_kernelILj64EdEEviiiPT0_PKS1_S4_: ; @_ZN9rocsparseL34gtsv_solve_spike_grid_level_kernelILj64EdEEviiiPT0_PKS1_S4_
; %bb.0:
	s_load_dwordx4 s[4:7], s[0:1], 0x10
	s_load_dwordx2 s[8:9], s[0:1], 0x20
	v_lshl_or_b32 v4, s3, 7, v0
	v_mov_b32_e32 v5, 0
	v_lshlrev_b32_e32 v6, 3, v0
	s_waitcnt lgkmcnt(0)
	v_lshl_add_u64 v[2:3], v[4:5], 3, s[4:5]
	v_or_b32_e32 v4, 64, v4
	global_load_dwordx2 v[8:9], v6, s[6:7]
	global_load_dwordx2 v[10:11], v6, s[6:7] offset:512
	global_load_dwordx2 v[12:13], v6, s[8:9]
	global_load_dwordx2 v[14:15], v6, s[8:9] offset:512
	v_lshl_add_u64 v[4:5], v[4:5], 3, s[4:5]
	global_load_dwordx2 v[16:17], v[2:3], off
	global_load_dwordx2 v[18:19], v[4:5], off
	v_or_b32_e32 v1, 0x800, v6
	v_cmp_gt_u32_e64 s[0:1], 32, v0
	s_waitcnt vmcnt(4)
	ds_write2st64_b64 v6, v[8:9], v[10:11] offset0:2 offset1:3
	s_waitcnt vmcnt(2)
	ds_write2st64_b64 v6, v[12:13], v[14:15] offset1:1
	s_waitcnt vmcnt(0)
	ds_write2st64_b64 v6, v[16:17], v[18:19] offset0:4 offset1:5
	s_waitcnt lgkmcnt(0)
	; wave barrier
	s_and_saveexec_b64 s[2:3], s[0:1]
	s_cbranch_execz .LBB101_2
; %bb.1:
	v_or_b32_e32 v7, 0x400, v6
	v_add_u32_e32 v7, v7, v6
	ds_read_b128 v[8:11], v7
	v_add_u32_e32 v42, v6, v6
	ds_read_b128 v[12:15], v42 offset:512
	ds_read_b128 v[16:19], v42
	ds_read_b128 v[20:23], v7 offset:512
	v_add_u32_e32 v43, v1, v6
	s_waitcnt lgkmcnt(2)
	v_fma_f64 v[32:33], -v[10:11], v[12:13], 1.0
	v_div_scale_f64 v[34:35], s[4:5], v[32:33], v[32:33], 1.0
	v_rcp_f64_e32 v[36:37], v[34:35]
	v_div_scale_f64 v[38:39], vcc, 1.0, v[32:33], 1.0
	v_fma_f64 v[24:25], -v[34:35], v[36:37], 1.0
	v_fmac_f64_e32 v[36:37], v[36:37], v[24:25]
	v_fma_f64 v[24:25], -v[34:35], v[36:37], 1.0
	v_fmac_f64_e32 v[36:37], v[36:37], v[24:25]
	ds_read_b128 v[24:27], v43 offset:512
	ds_read_b128 v[28:31], v43
	v_mul_f64 v[40:41], v[38:39], v[36:37]
	v_fma_f64 v[34:35], -v[34:35], v[40:41], v[38:39]
	v_div_fmas_f64 v[34:35], v[34:35], v[36:37], v[40:41]
	v_div_fixup_f64 v[36:37], v[34:35], v[32:33], 1.0
	s_waitcnt lgkmcnt(0)
	v_fma_f64 v[32:33], -v[12:13], v[30:31], v[24:25]
	v_fma_f64 v[24:25], -v[10:11], v[24:25], v[30:31]
	v_mul_f64 v[12:13], v[12:13], v[18:19]
	v_mul_f64 v[10:11], v[10:11], v[20:21]
	;; [unrolled: 1-line block ×4, first 2 shown]
	v_mul_f64 v[12:13], v[12:13], -v[36:37]
	v_mul_f64 v[18:19], v[36:37], v[18:19]
	v_mul_f64 v[10:11], v[10:11], -v[36:37]
	v_mul_f64 v[20:21], v[36:37], v[20:21]
	v_fma_f64 v[28:29], -v[30:31], v[16:17], v[28:29]
	v_fma_f64 v[34:35], -v[22:23], v[32:33], v[26:27]
	;; [unrolled: 1-line block ×3, first 2 shown]
	v_mul_f64 v[16:17], v[18:19], -v[16:17]
	v_fma_f64 v[14:15], -v[12:13], v[22:23], v[14:15]
	v_mul_f64 v[22:23], v[20:21], -v[22:23]
	ds_write_b128 v43, v[28:31]
	ds_write_b128 v43, v[32:35] offset:512
	ds_write_b128 v7, v[8:11]
	ds_write_b128 v42, v[16:19]
	ds_write_b128 v42, v[12:15] offset:512
	ds_write_b128 v7, v[20:23] offset:512
.LBB101_2:
	s_or_b64 exec, exec, s[2:3]
	v_cmp_gt_u32_e64 s[2:3], 16, v0
	v_lshlrev_b32_e32 v7, 5, v0
	s_waitcnt lgkmcnt(0)
	; wave barrier
	s_and_saveexec_b64 s[4:5], s[2:3]
	s_cbranch_execz .LBB101_4
; %bb.3:
	v_mad_u32_u24 v36, v0, 24, v6
	ds_read2_b64 v[8:11], v7 offset0:128 offset1:130
	ds_read2_b64 v[12:15], v36 offset0:65 offset1:67
	v_mad_u32_u24 v37, v0, 24, v1
	ds_read2_b64 v[16:19], v37 offset0:65 offset1:67
	ds_read2_b64 v[20:23], v37 offset1:2
	s_waitcnt lgkmcnt(2)
	v_fma_f64 v[24:25], -v[10:11], v[12:13], 1.0
	v_div_scale_f64 v[26:27], s[6:7], v[24:25], v[24:25], 1.0
	v_rcp_f64_e32 v[28:29], v[26:27]
	v_div_scale_f64 v[30:31], vcc, 1.0, v[24:25], 1.0
	v_fma_f64 v[32:33], -v[26:27], v[28:29], 1.0
	v_fmac_f64_e32 v[28:29], v[28:29], v[32:33]
	v_fma_f64 v[32:33], -v[26:27], v[28:29], 1.0
	v_fmac_f64_e32 v[28:29], v[28:29], v[32:33]
	v_mul_f64 v[32:33], v[30:31], v[28:29]
	v_fma_f64 v[26:27], -v[26:27], v[32:33], v[30:31]
	v_div_fmas_f64 v[26:27], v[26:27], v[28:29], v[32:33]
	v_div_fixup_f64 v[32:33], v[26:27], v[24:25], 1.0
	s_waitcnt lgkmcnt(0)
	v_fma_f64 v[28:29], -v[12:13], v[22:23], v[16:17]
	ds_read2_b64 v[24:27], v36 offset1:2
	v_mul_f64 v[34:35], v[32:33], v[28:29]
	ds_read2_b64 v[28:31], v7 offset0:193 offset1:195
	v_fma_f64 v[16:17], -v[10:11], v[16:17], v[22:23]
	v_mul_f64 v[16:17], v[16:17], v[32:33]
	s_waitcnt lgkmcnt(1)
	v_fma_f64 v[20:21], -v[16:17], v[24:25], v[20:21]
	ds_write2_b64 v37, v[20:21], v[16:17] offset1:2
	s_waitcnt lgkmcnt(1)
	v_mul_f64 v[10:11], v[10:11], v[28:29]
	v_fma_f64 v[16:17], -v[30:31], v[34:35], v[18:19]
	v_mul_f64 v[10:11], v[10:11], -v[32:33]
	ds_write2_b64 v37, v[34:35], v[16:17] offset0:65 offset1:67
	v_mul_f64 v[12:13], v[12:13], v[26:27]
	v_mul_f64 v[16:17], v[32:33], v[26:27]
	v_fma_f64 v[8:9], -v[10:11], v[24:25], v[8:9]
	v_mul_f64 v[12:13], v[12:13], -v[32:33]
	ds_write2_b64 v7, v[8:9], v[10:11] offset0:128 offset1:130
	v_mul_f64 v[8:9], v[16:17], -v[24:25]
	v_mul_f64 v[18:19], v[32:33], v[28:29]
	ds_write2_b64 v36, v[8:9], v[16:17] offset1:2
	v_fma_f64 v[8:9], -v[12:13], v[30:31], v[14:15]
	ds_write2_b64 v36, v[12:13], v[8:9] offset0:65 offset1:67
	v_mul_f64 v[8:9], v[18:19], -v[30:31]
	ds_write2_b64 v7, v[18:19], v[8:9] offset0:193 offset1:195
.LBB101_4:
	s_or_b64 exec, exec, s[4:5]
	v_cmp_gt_u32_e64 s[4:5], 8, v0
	v_lshlrev_b32_e32 v8, 6, v0
	s_waitcnt lgkmcnt(0)
	; wave barrier
	s_and_saveexec_b64 s[6:7], s[4:5]
	s_cbranch_execz .LBB101_6
; %bb.5:
	ds_read2_b64 v[10:13], v8 offset0:128 offset1:132
	ds_read2_b64 v[14:17], v8 offset0:67 offset1:71
	v_add_u32_e32 v9, 0x800, v8
	ds_read2_b64 v[18:21], v9 offset0:67 offset1:71
	ds_read2_b64 v[22:25], v9 offset1:4
	s_waitcnt lgkmcnt(2)
	v_fma_f64 v[26:27], -v[12:13], v[14:15], 1.0
	v_div_scale_f64 v[28:29], s[8:9], v[26:27], v[26:27], 1.0
	v_rcp_f64_e32 v[30:31], v[28:29]
	v_div_scale_f64 v[32:33], vcc, 1.0, v[26:27], 1.0
	v_fma_f64 v[34:35], -v[28:29], v[30:31], 1.0
	v_fmac_f64_e32 v[30:31], v[30:31], v[34:35]
	v_fma_f64 v[34:35], -v[28:29], v[30:31], 1.0
	v_fmac_f64_e32 v[30:31], v[30:31], v[34:35]
	v_mul_f64 v[34:35], v[32:33], v[30:31]
	v_fma_f64 v[28:29], -v[28:29], v[34:35], v[32:33]
	v_div_fmas_f64 v[28:29], v[28:29], v[30:31], v[34:35]
	v_div_fixup_f64 v[34:35], v[28:29], v[26:27], 1.0
	s_waitcnt lgkmcnt(0)
	v_fma_f64 v[30:31], -v[14:15], v[24:25], v[18:19]
	ds_read2_b64 v[26:29], v8 offset1:4
	v_mul_f64 v[36:37], v[34:35], v[30:31]
	ds_read2_b64 v[30:33], v8 offset0:195 offset1:199
	v_fma_f64 v[18:19], -v[12:13], v[18:19], v[24:25]
	v_mul_f64 v[18:19], v[18:19], v[34:35]
	s_waitcnt lgkmcnt(1)
	v_fma_f64 v[22:23], -v[18:19], v[26:27], v[22:23]
	ds_write2_b64 v9, v[22:23], v[18:19] offset1:4
	s_waitcnt lgkmcnt(1)
	v_mul_f64 v[12:13], v[12:13], v[30:31]
	v_fma_f64 v[18:19], -v[32:33], v[36:37], v[20:21]
	v_mul_f64 v[12:13], v[12:13], -v[34:35]
	ds_write2_b64 v9, v[36:37], v[18:19] offset0:67 offset1:71
	v_mul_f64 v[14:15], v[14:15], v[28:29]
	v_mul_f64 v[18:19], v[34:35], v[28:29]
	v_fma_f64 v[10:11], -v[12:13], v[26:27], v[10:11]
	v_mul_f64 v[14:15], v[14:15], -v[34:35]
	ds_write2_b64 v8, v[10:11], v[12:13] offset0:128 offset1:132
	v_mul_f64 v[10:11], v[18:19], -v[26:27]
	v_mul_f64 v[20:21], v[34:35], v[30:31]
	ds_write2_b64 v8, v[10:11], v[18:19] offset1:4
	v_fma_f64 v[10:11], -v[14:15], v[32:33], v[16:17]
	ds_write2_b64 v8, v[14:15], v[10:11] offset0:67 offset1:71
	v_mul_f64 v[10:11], v[20:21], -v[32:33]
	ds_write2_b64 v8, v[20:21], v[10:11] offset0:195 offset1:199
.LBB101_6:
	s_or_b64 exec, exec, s[6:7]
	v_cmp_gt_u32_e64 s[6:7], 4, v0
	v_lshlrev_b32_e32 v9, 7, v0
	s_waitcnt lgkmcnt(0)
	; wave barrier
	s_and_saveexec_b64 s[8:9], s[6:7]
	s_cbranch_execz .LBB101_8
; %bb.7:
	ds_read2_b64 v[10:13], v9 offset0:128 offset1:136
	ds_read2_b64 v[14:17], v9 offset0:71 offset1:79
	v_add_u32_e32 v38, 0x800, v9
	ds_read2_b64 v[18:21], v38 offset0:71 offset1:79
	ds_read2_b64 v[22:25], v38 offset1:8
	s_waitcnt lgkmcnt(2)
	v_fma_f64 v[26:27], -v[12:13], v[14:15], 1.0
	v_div_scale_f64 v[28:29], s[10:11], v[26:27], v[26:27], 1.0
	v_rcp_f64_e32 v[30:31], v[28:29]
	v_div_scale_f64 v[32:33], vcc, 1.0, v[26:27], 1.0
	v_fma_f64 v[34:35], -v[28:29], v[30:31], 1.0
	v_fmac_f64_e32 v[30:31], v[30:31], v[34:35]
	v_fma_f64 v[34:35], -v[28:29], v[30:31], 1.0
	v_fmac_f64_e32 v[30:31], v[30:31], v[34:35]
	v_mul_f64 v[34:35], v[32:33], v[30:31]
	v_fma_f64 v[28:29], -v[28:29], v[34:35], v[32:33]
	v_div_fmas_f64 v[28:29], v[28:29], v[30:31], v[34:35]
	v_div_fixup_f64 v[34:35], v[28:29], v[26:27], 1.0
	s_waitcnt lgkmcnt(0)
	v_fma_f64 v[30:31], -v[14:15], v[24:25], v[18:19]
	ds_read2_b64 v[26:29], v9 offset1:8
	v_mul_f64 v[36:37], v[34:35], v[30:31]
	ds_read2_b64 v[30:33], v9 offset0:199 offset1:207
	v_fma_f64 v[18:19], -v[12:13], v[18:19], v[24:25]
	v_mul_f64 v[18:19], v[18:19], v[34:35]
	s_waitcnt lgkmcnt(1)
	v_fma_f64 v[22:23], -v[18:19], v[26:27], v[22:23]
	ds_write2_b64 v38, v[22:23], v[18:19] offset1:8
	s_waitcnt lgkmcnt(1)
	v_mul_f64 v[12:13], v[12:13], v[30:31]
	v_fma_f64 v[18:19], -v[32:33], v[36:37], v[20:21]
	v_mul_f64 v[12:13], v[12:13], -v[34:35]
	ds_write2_b64 v38, v[36:37], v[18:19] offset0:71 offset1:79
	v_mul_f64 v[14:15], v[14:15], v[28:29]
	v_mul_f64 v[18:19], v[34:35], v[28:29]
	v_fma_f64 v[10:11], -v[12:13], v[26:27], v[10:11]
	v_mul_f64 v[14:15], v[14:15], -v[34:35]
	ds_write2_b64 v9, v[10:11], v[12:13] offset0:128 offset1:136
	v_mul_f64 v[10:11], v[18:19], -v[26:27]
	v_mul_f64 v[20:21], v[34:35], v[30:31]
	ds_write2_b64 v9, v[10:11], v[18:19] offset1:8
	v_fma_f64 v[10:11], -v[14:15], v[32:33], v[16:17]
	ds_write2_b64 v9, v[14:15], v[10:11] offset0:71 offset1:79
	v_mul_f64 v[10:11], v[20:21], -v[32:33]
	ds_write2_b64 v9, v[20:21], v[10:11] offset0:199 offset1:207
.LBB101_8:
	;; [unrolled: 54-line block ×3, first 2 shown]
	s_or_b64 exec, exec, s[10:11]
	v_cmp_eq_u32_e32 vcc, 0, v0
	s_waitcnt lgkmcnt(0)
	; wave barrier
	s_and_saveexec_b64 s[10:11], vcc
	s_cbranch_execz .LBB101_12
; %bb.11:
	v_mov_b32_e32 v11, 0
	ds_read2_b64 v[12:15], v11 offset0:95 offset1:160
	s_movk_i32 s12, 0x800
	v_add_u32_e64 v40, s12, 0
	s_movk_i32 s14, 0x400
	v_add_u32_e64 v41, s14, 0
	s_waitcnt lgkmcnt(0)
	v_fma_f64 v[24:25], -v[14:15], v[12:13], 1.0
	v_div_scale_f64 v[26:27], s[12:13], v[24:25], v[24:25], 1.0
	v_rcp_f64_e32 v[28:29], v[26:27]
	ds_read2_b64 v[16:19], v40 offset0:95 offset1:127
	v_div_scale_f64 v[30:31], vcc, 1.0, v[24:25], 1.0
	v_fma_f64 v[20:21], -v[26:27], v[28:29], 1.0
	v_fmac_f64_e32 v[28:29], v[28:29], v[20:21]
	v_fma_f64 v[20:21], -v[26:27], v[28:29], 1.0
	v_fmac_f64_e32 v[28:29], v[28:29], v[20:21]
	ds_read2_b64 v[20:23], v41 offset0:95 offset1:160
	v_mul_f64 v[32:33], v[30:31], v[28:29]
	v_fma_f64 v[26:27], -v[26:27], v[32:33], v[30:31]
	v_div_fmas_f64 v[26:27], v[26:27], v[28:29], v[32:33]
	v_mov_b32_e32 v42, 0x7f8
	v_div_fixup_f64 v[36:37], v[26:27], v[24:25], 1.0
	ds_read2_b64 v[24:27], v42 offset1:1
	ds_read2_b64 v[28:31], v11 offset1:32
	s_waitcnt lgkmcnt(2)
	v_fma_f64 v[32:33], -v[12:13], v[22:23], v[16:17]
	v_mul_f64 v[38:39], v[36:37], v[32:33]
	ds_read2_b64 v[32:35], v11 offset0:127 offset1:128
	v_fma_f64 v[16:17], -v[14:15], v[16:17], v[22:23]
	s_waitcnt lgkmcnt(1)
	v_mul_f64 v[12:13], v[12:13], v[30:31]
	v_mul_f64 v[14:15], v[14:15], v[20:21]
	v_fma_f64 v[18:19], -v[24:25], v[38:39], v[18:19]
	v_mul_f64 v[12:13], v[12:13], -v[36:37]
	v_mul_f64 v[14:15], v[14:15], -v[36:37]
	v_mul_f64 v[16:17], v[16:17], v[36:37]
	ds_write2_b64 v40, v[38:39], v[18:19] offset0:95 offset1:127
	v_mul_f64 v[18:19], v[36:37], v[30:31]
	ds_write2_b64 v11, v[12:13], v[14:15] offset0:95 offset1:160
	v_mul_f64 v[20:21], v[36:37], v[20:21]
	s_waitcnt lgkmcnt(2)
	v_fma_f64 v[14:15], -v[14:15], v[28:29], v[34:35]
	v_fma_f64 v[12:13], -v[12:13], v[24:25], v[32:33]
	;; [unrolled: 1-line block ×3, first 2 shown]
	ds_write2_b64 v41, v[20:21], v[16:17] offset0:95 offset1:160
	v_mul_f64 v[16:17], v[18:19], -v[28:29]
	ds_write2_b64 v11, v[12:13], v[14:15] offset0:127 offset1:128
	v_mul_f64 v[12:13], v[20:21], -v[24:25]
	ds_write2_b64 v11, v[16:17], v[18:19] offset1:32
	ds_write2_b64 v42, v[12:13], v[22:23] offset1:1
.LBB101_12:
	s_or_b64 exec, exec, s[10:11]
	s_waitcnt lgkmcnt(0)
	; wave barrier
	s_and_saveexec_b64 s[10:11], s[8:9]
	s_cbranch_execz .LBB101_14
; %bb.13:
	v_max_u32_e32 v11, 1, v7
	v_add_u32_e32 v12, 0x800, v10
	v_min_u32_e32 v24, 31, v7
	ds_read2_b64 v[12:15], v12 offset0:16 offset1:79
	ds_read2_b64 v[16:19], v10 offset0:144 offset1:207
	v_lshlrev_b32_e32 v11, 3, v11
	ds_read2_b64 v[20:23], v10 offset0:16 offset1:79
	v_lshlrev_b32_e32 v28, 3, v24
	ds_read_b64 v[24:25], v11 offset:2552
	ds_read_b64 v[26:27], v28 offset:2304
	s_waitcnt lgkmcnt(1)
	v_fma_f64 v[14:15], -v[18:19], v[24:25], v[14:15]
	s_waitcnt lgkmcnt(0)
	v_fma_f64 v[14:15], -v[22:23], v[26:27], v[14:15]
	ds_write_b64 v10, v[14:15] offset:2680
	ds_read_b64 v[14:15], v11 offset:2552
	s_waitcnt lgkmcnt(0)
	v_fma_f64 v[12:13], -v[16:17], v[14:15], v[12:13]
	ds_write_b64 v10, v[12:13] offset:2176
	ds_read_b64 v[14:15], v28 offset:2304
	s_waitcnt lgkmcnt(0)
	v_fma_f64 v[12:13], -v[20:21], v[14:15], v[12:13]
	ds_write_b64 v10, v[12:13] offset:2176
.LBB101_14:
	s_or_b64 exec, exec, s[10:11]
	v_lshlrev_b32_e32 v10, 4, v0
	s_waitcnt lgkmcnt(0)
	; wave barrier
	s_and_saveexec_b64 s[8:9], s[6:7]
	s_cbranch_execz .LBB101_16
; %bb.15:
	v_max_u32_e32 v11, 1, v10
	v_add_u32_e32 v12, 0x800, v9
	v_min_u32_e32 v24, 47, v10
	ds_read2_b64 v[12:15], v12 offset0:8 offset1:71
	ds_read2_b64 v[16:19], v9 offset0:136 offset1:199
	v_lshlrev_b32_e32 v11, 3, v11
	ds_read2_b64 v[20:23], v9 offset0:8 offset1:71
	v_lshlrev_b32_e32 v28, 3, v24
	ds_read_b64 v[24:25], v11 offset:2552
	ds_read_b64 v[26:27], v28 offset:2176
	s_waitcnt lgkmcnt(1)
	v_fma_f64 v[14:15], -v[18:19], v[24:25], v[14:15]
	s_waitcnt lgkmcnt(0)
	v_fma_f64 v[14:15], -v[22:23], v[26:27], v[14:15]
	ds_write_b64 v9, v[14:15] offset:2616
	ds_read_b64 v[14:15], v11 offset:2552
	s_waitcnt lgkmcnt(0)
	v_fma_f64 v[12:13], -v[16:17], v[14:15], v[12:13]
	ds_write_b64 v9, v[12:13] offset:2112
	ds_read_b64 v[14:15], v28 offset:2176
	s_waitcnt lgkmcnt(0)
	v_fma_f64 v[12:13], -v[20:21], v[14:15], v[12:13]
	ds_write_b64 v9, v[12:13] offset:2112
.LBB101_16:
	s_or_b64 exec, exec, s[8:9]
	s_waitcnt lgkmcnt(0)
	; wave barrier
	s_and_saveexec_b64 s[6:7], s[4:5]
	s_cbranch_execz .LBB101_18
; %bb.17:
	v_max_u32_e32 v9, 1, v6
	v_add_u32_e32 v11, 0x800, v8
	v_min_u32_e32 v6, 55, v6
	ds_read2_b64 v[12:15], v11 offset0:4 offset1:67
	ds_read2_b64 v[16:19], v8 offset0:132 offset1:195
	v_lshlrev_b32_e32 v9, 3, v9
	ds_read2_b64 v[20:23], v8 offset0:4 offset1:67
	v_lshlrev_b32_e32 v6, 3, v6
	ds_read_b64 v[24:25], v9 offset:2552
	ds_read_b64 v[26:27], v6 offset:2112
	s_waitcnt lgkmcnt(1)
	v_fma_f64 v[14:15], -v[18:19], v[24:25], v[14:15]
	s_waitcnt lgkmcnt(0)
	v_fma_f64 v[14:15], -v[22:23], v[26:27], v[14:15]
	ds_write_b64 v8, v[14:15] offset:2584
	ds_read_b64 v[14:15], v9 offset:2552
	s_waitcnt lgkmcnt(0)
	v_fma_f64 v[12:13], -v[16:17], v[14:15], v[12:13]
	ds_write_b64 v8, v[12:13] offset:2080
	ds_read_b64 v[14:15], v6 offset:2112
	s_waitcnt lgkmcnt(0)
	v_fma_f64 v[12:13], -v[20:21], v[14:15], v[12:13]
	ds_write_b64 v8, v[12:13] offset:2080
.LBB101_18:
	s_or_b64 exec, exec, s[6:7]
	s_waitcnt lgkmcnt(0)
	; wave barrier
	s_and_saveexec_b64 s[4:5], s[2:3]
	s_cbranch_execz .LBB101_20
; %bb.19:
	v_lshlrev_b32_e32 v6, 2, v0
	v_max_u32_e32 v8, 1, v6
	v_add_u32_e32 v9, 0x800, v7
	v_min_u32_e32 v6, 59, v6
	ds_read2_b64 v[12:15], v9 offset0:2 offset1:65
	ds_read2_b64 v[16:19], v7 offset0:130 offset1:193
	v_lshlrev_b32_e32 v11, 3, v8
	ds_read2_b64 v[20:23], v7 offset0:2 offset1:65
	v_lshlrev_b32_e32 v6, 3, v6
	ds_read_b64 v[8:9], v11 offset:2552
	ds_read_b64 v[24:25], v6 offset:2080
	s_waitcnt lgkmcnt(1)
	v_fma_f64 v[8:9], -v[18:19], v[8:9], v[14:15]
	s_waitcnt lgkmcnt(0)
	v_fma_f64 v[8:9], -v[22:23], v[24:25], v[8:9]
	ds_write_b64 v7, v[8:9] offset:2568
	ds_read_b64 v[8:9], v11 offset:2552
	s_waitcnt lgkmcnt(0)
	v_fma_f64 v[8:9], -v[16:17], v[8:9], v[12:13]
	ds_write_b64 v7, v[8:9] offset:2064
	ds_read_b64 v[12:13], v6 offset:2080
	s_waitcnt lgkmcnt(0)
	v_fma_f64 v[8:9], -v[20:21], v[12:13], v[8:9]
	ds_write_b64 v7, v[8:9] offset:2064
.LBB101_20:
	s_or_b64 exec, exec, s[4:5]
	s_waitcnt lgkmcnt(0)
	; wave barrier
	s_and_saveexec_b64 s[2:3], s[0:1]
	s_cbranch_execz .LBB101_22
; %bb.21:
	v_lshlrev_b32_e32 v0, 1, v0
	v_max_u32_e32 v11, 1, v0
	v_add_u32_e32 v6, 0x800, v10
	v_min_u32_e32 v0, 61, v0
	ds_read2_b64 v[6:9], v6 offset0:1 offset1:64
	ds_read2_b64 v[12:15], v10 offset0:129 offset1:192
	v_lshlrev_b32_e32 v11, 3, v11
	ds_read2_b64 v[16:19], v10 offset0:1 offset1:64
	v_lshlrev_b32_e32 v0, 3, v0
	ds_read_b64 v[20:21], v11 offset:2552
	ds_read_b64 v[22:23], v0 offset:2064
	s_waitcnt lgkmcnt(1)
	v_fma_f64 v[8:9], -v[14:15], v[20:21], v[8:9]
	s_waitcnt lgkmcnt(0)
	v_fma_f64 v[8:9], -v[18:19], v[22:23], v[8:9]
	ds_write_b64 v10, v[8:9] offset:2560
	ds_read_b64 v[8:9], v11 offset:2552
	s_waitcnt lgkmcnt(0)
	v_fma_f64 v[6:7], -v[12:13], v[8:9], v[6:7]
	ds_write_b64 v10, v[6:7] offset:2056
	ds_read_b64 v[8:9], v0 offset:2064
	s_waitcnt lgkmcnt(0)
	v_fma_f64 v[6:7], -v[16:17], v[8:9], v[6:7]
	ds_write_b64 v10, v[6:7] offset:2056
.LBB101_22:
	s_or_b64 exec, exec, s[2:3]
	s_waitcnt lgkmcnt(0)
	; wave barrier
	ds_read2st64_b64 v[6:9], v1 offset1:1
	s_waitcnt lgkmcnt(0)
	global_store_dwordx2 v[2:3], v[6:7], off
	global_store_dwordx2 v[4:5], v[8:9], off
	s_endpgm
	.section	.rodata,"a",@progbits
	.p2align	6, 0x0
	.amdhsa_kernel _ZN9rocsparseL34gtsv_solve_spike_grid_level_kernelILj64EdEEviiiPT0_PKS1_S4_
		.amdhsa_group_segment_fixed_size 3072
		.amdhsa_private_segment_fixed_size 0
		.amdhsa_kernarg_size 40
		.amdhsa_user_sgpr_count 2
		.amdhsa_user_sgpr_dispatch_ptr 0
		.amdhsa_user_sgpr_queue_ptr 0
		.amdhsa_user_sgpr_kernarg_segment_ptr 1
		.amdhsa_user_sgpr_dispatch_id 0
		.amdhsa_user_sgpr_kernarg_preload_length 0
		.amdhsa_user_sgpr_kernarg_preload_offset 0
		.amdhsa_user_sgpr_private_segment_size 0
		.amdhsa_uses_dynamic_stack 0
		.amdhsa_enable_private_segment 0
		.amdhsa_system_sgpr_workgroup_id_x 1
		.amdhsa_system_sgpr_workgroup_id_y 1
		.amdhsa_system_sgpr_workgroup_id_z 0
		.amdhsa_system_sgpr_workgroup_info 0
		.amdhsa_system_vgpr_workitem_id 0
		.amdhsa_next_free_vgpr 44
		.amdhsa_next_free_sgpr 15
		.amdhsa_accum_offset 44
		.amdhsa_reserve_vcc 1
		.amdhsa_float_round_mode_32 0
		.amdhsa_float_round_mode_16_64 0
		.amdhsa_float_denorm_mode_32 3
		.amdhsa_float_denorm_mode_16_64 3
		.amdhsa_dx10_clamp 1
		.amdhsa_ieee_mode 1
		.amdhsa_fp16_overflow 0
		.amdhsa_tg_split 0
		.amdhsa_exception_fp_ieee_invalid_op 0
		.amdhsa_exception_fp_denorm_src 0
		.amdhsa_exception_fp_ieee_div_zero 0
		.amdhsa_exception_fp_ieee_overflow 0
		.amdhsa_exception_fp_ieee_underflow 0
		.amdhsa_exception_fp_ieee_inexact 0
		.amdhsa_exception_int_div_zero 0
	.end_amdhsa_kernel
	.section	.text._ZN9rocsparseL34gtsv_solve_spike_grid_level_kernelILj64EdEEviiiPT0_PKS1_S4_,"axG",@progbits,_ZN9rocsparseL34gtsv_solve_spike_grid_level_kernelILj64EdEEviiiPT0_PKS1_S4_,comdat
.Lfunc_end101:
	.size	_ZN9rocsparseL34gtsv_solve_spike_grid_level_kernelILj64EdEEviiiPT0_PKS1_S4_, .Lfunc_end101-_ZN9rocsparseL34gtsv_solve_spike_grid_level_kernelILj64EdEEviiiPT0_PKS1_S4_
                                        ; -- End function
	.set _ZN9rocsparseL34gtsv_solve_spike_grid_level_kernelILj64EdEEviiiPT0_PKS1_S4_.num_vgpr, 44
	.set _ZN9rocsparseL34gtsv_solve_spike_grid_level_kernelILj64EdEEviiiPT0_PKS1_S4_.num_agpr, 0
	.set _ZN9rocsparseL34gtsv_solve_spike_grid_level_kernelILj64EdEEviiiPT0_PKS1_S4_.numbered_sgpr, 15
	.set _ZN9rocsparseL34gtsv_solve_spike_grid_level_kernelILj64EdEEviiiPT0_PKS1_S4_.num_named_barrier, 0
	.set _ZN9rocsparseL34gtsv_solve_spike_grid_level_kernelILj64EdEEviiiPT0_PKS1_S4_.private_seg_size, 0
	.set _ZN9rocsparseL34gtsv_solve_spike_grid_level_kernelILj64EdEEviiiPT0_PKS1_S4_.uses_vcc, 1
	.set _ZN9rocsparseL34gtsv_solve_spike_grid_level_kernelILj64EdEEviiiPT0_PKS1_S4_.uses_flat_scratch, 0
	.set _ZN9rocsparseL34gtsv_solve_spike_grid_level_kernelILj64EdEEviiiPT0_PKS1_S4_.has_dyn_sized_stack, 0
	.set _ZN9rocsparseL34gtsv_solve_spike_grid_level_kernelILj64EdEEviiiPT0_PKS1_S4_.has_recursion, 0
	.set _ZN9rocsparseL34gtsv_solve_spike_grid_level_kernelILj64EdEEviiiPT0_PKS1_S4_.has_indirect_call, 0
	.section	.AMDGPU.csdata,"",@progbits
; Kernel info:
; codeLenInByte = 3224
; TotalNumSgprs: 21
; NumVgprs: 44
; NumAgprs: 0
; TotalNumVgprs: 44
; ScratchSize: 0
; MemoryBound: 1
; FloatMode: 240
; IeeeMode: 1
; LDSByteSize: 3072 bytes/workgroup (compile time only)
; SGPRBlocks: 2
; VGPRBlocks: 5
; NumSGPRsForWavesPerEU: 21
; NumVGPRsForWavesPerEU: 44
; AccumOffset: 44
; Occupancy: 8
; WaveLimiterHint : 1
; COMPUTE_PGM_RSRC2:SCRATCH_EN: 0
; COMPUTE_PGM_RSRC2:USER_SGPR: 2
; COMPUTE_PGM_RSRC2:TRAP_HANDLER: 0
; COMPUTE_PGM_RSRC2:TGID_X_EN: 1
; COMPUTE_PGM_RSRC2:TGID_Y_EN: 1
; COMPUTE_PGM_RSRC2:TGID_Z_EN: 0
; COMPUTE_PGM_RSRC2:TIDIG_COMP_CNT: 0
; COMPUTE_PGM_RSRC3_GFX90A:ACCUM_OFFSET: 10
; COMPUTE_PGM_RSRC3_GFX90A:TG_SPLIT: 0
	.section	.text._ZN9rocsparseL34gtsv_solve_spike_grid_level_kernelILj128EdEEviiiPT0_PKS1_S4_,"axG",@progbits,_ZN9rocsparseL34gtsv_solve_spike_grid_level_kernelILj128EdEEviiiPT0_PKS1_S4_,comdat
	.globl	_ZN9rocsparseL34gtsv_solve_spike_grid_level_kernelILj128EdEEviiiPT0_PKS1_S4_ ; -- Begin function _ZN9rocsparseL34gtsv_solve_spike_grid_level_kernelILj128EdEEviiiPT0_PKS1_S4_
	.p2align	8
	.type	_ZN9rocsparseL34gtsv_solve_spike_grid_level_kernelILj128EdEEviiiPT0_PKS1_S4_,@function
_ZN9rocsparseL34gtsv_solve_spike_grid_level_kernelILj128EdEEviiiPT0_PKS1_S4_: ; @_ZN9rocsparseL34gtsv_solve_spike_grid_level_kernelILj128EdEEviiiPT0_PKS1_S4_
; %bb.0:
	s_load_dwordx4 s[4:7], s[0:1], 0x10
	s_load_dwordx2 s[8:9], s[0:1], 0x20
	v_lshl_or_b32 v4, s3, 8, v0
	v_mov_b32_e32 v5, 0
	v_lshlrev_b32_e32 v6, 3, v0
	s_waitcnt lgkmcnt(0)
	v_lshl_add_u64 v[2:3], v[4:5], 3, s[4:5]
	v_or_b32_e32 v4, 0x80, v4
	global_load_dwordx2 v[8:9], v6, s[6:7]
	global_load_dwordx2 v[10:11], v6, s[6:7] offset:1024
	global_load_dwordx2 v[12:13], v6, s[8:9]
	global_load_dwordx2 v[14:15], v6, s[8:9] offset:1024
	v_lshl_add_u64 v[4:5], v[4:5], 3, s[4:5]
	global_load_dwordx2 v[16:17], v[2:3], off
	global_load_dwordx2 v[18:19], v[4:5], off
	v_or_b32_e32 v1, 0x1000, v6
	v_cmp_gt_u32_e64 s[0:1], 64, v0
	s_waitcnt vmcnt(4)
	ds_write2st64_b64 v6, v[8:9], v[10:11] offset0:4 offset1:6
	s_waitcnt vmcnt(2)
	ds_write2st64_b64 v6, v[12:13], v[14:15] offset1:2
	s_waitcnt vmcnt(0)
	ds_write2st64_b64 v6, v[16:17], v[18:19] offset0:8 offset1:10
	s_waitcnt lgkmcnt(0)
	s_barrier
	s_and_saveexec_b64 s[2:3], s[0:1]
	s_cbranch_execz .LBB102_2
; %bb.1:
	v_or_b32_e32 v7, 0x800, v6
	v_add_u32_e32 v7, v7, v6
	ds_read_b128 v[8:11], v7
	v_add_u32_e32 v42, v6, v6
	ds_read_b128 v[12:15], v42 offset:1024
	ds_read_b128 v[16:19], v42
	ds_read_b128 v[20:23], v7 offset:1024
	v_add_u32_e32 v43, v1, v6
	s_waitcnt lgkmcnt(2)
	v_fma_f64 v[32:33], -v[10:11], v[12:13], 1.0
	v_div_scale_f64 v[34:35], s[4:5], v[32:33], v[32:33], 1.0
	v_rcp_f64_e32 v[36:37], v[34:35]
	v_div_scale_f64 v[38:39], vcc, 1.0, v[32:33], 1.0
	v_fma_f64 v[24:25], -v[34:35], v[36:37], 1.0
	v_fmac_f64_e32 v[36:37], v[36:37], v[24:25]
	v_fma_f64 v[24:25], -v[34:35], v[36:37], 1.0
	v_fmac_f64_e32 v[36:37], v[36:37], v[24:25]
	ds_read_b128 v[24:27], v43 offset:1024
	ds_read_b128 v[28:31], v43
	v_mul_f64 v[40:41], v[38:39], v[36:37]
	v_fma_f64 v[34:35], -v[34:35], v[40:41], v[38:39]
	v_div_fmas_f64 v[34:35], v[34:35], v[36:37], v[40:41]
	v_div_fixup_f64 v[36:37], v[34:35], v[32:33], 1.0
	s_waitcnt lgkmcnt(0)
	v_fma_f64 v[32:33], -v[12:13], v[30:31], v[24:25]
	v_fma_f64 v[24:25], -v[10:11], v[24:25], v[30:31]
	v_mul_f64 v[12:13], v[12:13], v[18:19]
	v_mul_f64 v[10:11], v[10:11], v[20:21]
	;; [unrolled: 1-line block ×4, first 2 shown]
	v_mul_f64 v[12:13], v[12:13], -v[36:37]
	v_mul_f64 v[18:19], v[36:37], v[18:19]
	v_mul_f64 v[10:11], v[10:11], -v[36:37]
	v_mul_f64 v[20:21], v[36:37], v[20:21]
	v_fma_f64 v[28:29], -v[30:31], v[16:17], v[28:29]
	v_fma_f64 v[34:35], -v[22:23], v[32:33], v[26:27]
	v_fma_f64 v[8:9], -v[10:11], v[16:17], v[8:9]
	v_mul_f64 v[16:17], v[18:19], -v[16:17]
	v_fma_f64 v[14:15], -v[12:13], v[22:23], v[14:15]
	v_mul_f64 v[22:23], v[20:21], -v[22:23]
	ds_write_b128 v43, v[28:31]
	ds_write_b128 v43, v[32:35] offset:1024
	ds_write_b128 v7, v[8:11]
	ds_write_b128 v42, v[16:19]
	ds_write_b128 v42, v[12:15] offset:1024
	ds_write_b128 v7, v[20:23] offset:1024
.LBB102_2:
	s_or_b64 exec, exec, s[2:3]
	v_cmp_gt_u32_e64 s[2:3], 32, v0
	v_lshlrev_b32_e32 v7, 5, v0
	s_waitcnt lgkmcnt(0)
	s_barrier
	s_and_saveexec_b64 s[4:5], s[2:3]
	s_cbranch_execz .LBB102_4
; %bb.3:
	v_add_u32_e32 v36, 0x800, v7
	v_mad_u32_u24 v37, v0, 24, v6
	ds_read2_b64 v[8:11], v36 offset1:2
	ds_read2_b64 v[12:15], v37 offset0:129 offset1:131
	v_mad_u32_u24 v38, v0, 24, v1
	ds_read2_b64 v[16:19], v38 offset0:129 offset1:131
	s_waitcnt lgkmcnt(1)
	v_fma_f64 v[24:25], -v[10:11], v[12:13], 1.0
	v_div_scale_f64 v[26:27], s[6:7], v[24:25], v[24:25], 1.0
	v_rcp_f64_e32 v[28:29], v[26:27]
	v_div_scale_f64 v[30:31], vcc, 1.0, v[24:25], 1.0
	v_fma_f64 v[20:21], -v[26:27], v[28:29], 1.0
	v_fmac_f64_e32 v[28:29], v[28:29], v[20:21]
	v_fma_f64 v[20:21], -v[26:27], v[28:29], 1.0
	v_fmac_f64_e32 v[28:29], v[28:29], v[20:21]
	ds_read2_b64 v[20:23], v38 offset1:2
	v_mul_f64 v[32:33], v[30:31], v[28:29]
	v_fma_f64 v[26:27], -v[26:27], v[32:33], v[30:31]
	v_div_fmas_f64 v[26:27], v[26:27], v[28:29], v[32:33]
	v_div_fixup_f64 v[32:33], v[26:27], v[24:25], 1.0
	s_waitcnt lgkmcnt(0)
	v_fma_f64 v[28:29], -v[12:13], v[22:23], v[16:17]
	ds_read2_b64 v[24:27], v37 offset1:2
	v_mul_f64 v[34:35], v[32:33], v[28:29]
	ds_read2_b64 v[28:31], v36 offset0:129 offset1:131
	v_fma_f64 v[16:17], -v[10:11], v[16:17], v[22:23]
	v_mul_f64 v[16:17], v[16:17], v[32:33]
	s_waitcnt lgkmcnt(1)
	v_fma_f64 v[20:21], -v[16:17], v[24:25], v[20:21]
	ds_write2_b64 v38, v[20:21], v[16:17] offset1:2
	s_waitcnt lgkmcnt(1)
	v_mul_f64 v[10:11], v[10:11], v[28:29]
	v_fma_f64 v[16:17], -v[30:31], v[34:35], v[18:19]
	v_mul_f64 v[10:11], v[10:11], -v[32:33]
	ds_write2_b64 v38, v[34:35], v[16:17] offset0:129 offset1:131
	v_mul_f64 v[12:13], v[12:13], v[26:27]
	v_mul_f64 v[16:17], v[32:33], v[26:27]
	v_fma_f64 v[8:9], -v[10:11], v[24:25], v[8:9]
	v_mul_f64 v[12:13], v[12:13], -v[32:33]
	ds_write2_b64 v36, v[8:9], v[10:11] offset1:2
	v_mul_f64 v[8:9], v[16:17], -v[24:25]
	v_mul_f64 v[18:19], v[32:33], v[28:29]
	ds_write2_b64 v37, v[8:9], v[16:17] offset1:2
	v_fma_f64 v[8:9], -v[12:13], v[30:31], v[14:15]
	ds_write2_b64 v37, v[12:13], v[8:9] offset0:129 offset1:131
	v_mul_f64 v[8:9], v[18:19], -v[30:31]
	ds_write2_b64 v36, v[18:19], v[8:9] offset0:129 offset1:131
.LBB102_4:
	s_or_b64 exec, exec, s[4:5]
	v_cmp_gt_u32_e64 s[4:5], 16, v0
	v_lshlrev_b32_e32 v8, 6, v0
	s_waitcnt lgkmcnt(0)
	s_barrier
	s_and_saveexec_b64 s[6:7], s[4:5]
	s_cbranch_execz .LBB102_6
; %bb.5:
	v_add_u32_e32 v9, 0x800, v8
	ds_read2_b64 v[10:13], v8 offset0:131 offset1:135
	ds_read2_b64 v[14:17], v9 offset1:4
	v_add_u32_e32 v38, 0x1000, v8
	ds_read2_b64 v[18:21], v38 offset0:131 offset1:135
	ds_read2_b64 v[22:25], v38 offset1:4
	s_waitcnt lgkmcnt(2)
	v_fma_f64 v[26:27], -v[16:17], v[10:11], 1.0
	v_div_scale_f64 v[28:29], s[8:9], v[26:27], v[26:27], 1.0
	v_rcp_f64_e32 v[30:31], v[28:29]
	v_div_scale_f64 v[32:33], vcc, 1.0, v[26:27], 1.0
	v_fma_f64 v[34:35], -v[28:29], v[30:31], 1.0
	v_fmac_f64_e32 v[30:31], v[30:31], v[34:35]
	v_fma_f64 v[34:35], -v[28:29], v[30:31], 1.0
	v_fmac_f64_e32 v[30:31], v[30:31], v[34:35]
	v_mul_f64 v[34:35], v[32:33], v[30:31]
	v_fma_f64 v[28:29], -v[28:29], v[34:35], v[32:33]
	v_div_fmas_f64 v[28:29], v[28:29], v[30:31], v[34:35]
	v_div_fixup_f64 v[34:35], v[28:29], v[26:27], 1.0
	s_waitcnt lgkmcnt(0)
	v_fma_f64 v[30:31], -v[10:11], v[24:25], v[18:19]
	ds_read2_b64 v[26:29], v8 offset1:4
	v_mul_f64 v[36:37], v[34:35], v[30:31]
	ds_read2_b64 v[30:33], v9 offset0:131 offset1:135
	v_fma_f64 v[18:19], -v[16:17], v[18:19], v[24:25]
	v_mul_f64 v[18:19], v[18:19], v[34:35]
	s_waitcnt lgkmcnt(1)
	v_fma_f64 v[22:23], -v[18:19], v[26:27], v[22:23]
	v_mul_f64 v[10:11], v[10:11], v[28:29]
	s_waitcnt lgkmcnt(0)
	v_mul_f64 v[16:17], v[16:17], v[30:31]
	ds_write2_b64 v38, v[22:23], v[18:19] offset1:4
	v_fma_f64 v[18:19], -v[32:33], v[36:37], v[20:21]
	v_mul_f64 v[10:11], v[10:11], -v[34:35]
	v_mul_f64 v[16:17], v[16:17], -v[34:35]
	ds_write2_b64 v38, v[36:37], v[18:19] offset0:131 offset1:135
	v_mul_f64 v[18:19], v[34:35], v[28:29]
	v_mul_f64 v[20:21], v[34:35], v[30:31]
	v_fma_f64 v[14:15], -v[16:17], v[26:27], v[14:15]
	v_fma_f64 v[12:13], -v[10:11], v[32:33], v[12:13]
	ds_write2_b64 v9, v[14:15], v[16:17] offset1:4
	v_mul_f64 v[14:15], v[18:19], -v[26:27]
	ds_write2_b64 v8, v[10:11], v[12:13] offset0:131 offset1:135
	v_mul_f64 v[10:11], v[20:21], -v[32:33]
	ds_write2_b64 v8, v[14:15], v[18:19] offset1:4
	ds_write2_b64 v9, v[20:21], v[10:11] offset0:131 offset1:135
.LBB102_6:
	s_or_b64 exec, exec, s[6:7]
	v_cmp_gt_u32_e64 s[6:7], 8, v0
	v_lshlrev_b32_e32 v9, 7, v0
	s_waitcnt lgkmcnt(0)
	s_barrier
	s_and_saveexec_b64 s[8:9], s[6:7]
	s_cbranch_execz .LBB102_8
; %bb.7:
	v_add_u32_e32 v38, 0x800, v9
	ds_read2_b64 v[10:13], v9 offset0:135 offset1:143
	ds_read2_b64 v[14:17], v38 offset1:8
	v_add_u32_e32 v39, 0x1000, v9
	ds_read2_b64 v[18:21], v39 offset0:135 offset1:143
	ds_read2_b64 v[22:25], v39 offset1:8
	s_waitcnt lgkmcnt(2)
	v_fma_f64 v[26:27], -v[16:17], v[10:11], 1.0
	v_div_scale_f64 v[28:29], s[10:11], v[26:27], v[26:27], 1.0
	v_rcp_f64_e32 v[30:31], v[28:29]
	v_div_scale_f64 v[32:33], vcc, 1.0, v[26:27], 1.0
	v_fma_f64 v[34:35], -v[28:29], v[30:31], 1.0
	v_fmac_f64_e32 v[30:31], v[30:31], v[34:35]
	v_fma_f64 v[34:35], -v[28:29], v[30:31], 1.0
	v_fmac_f64_e32 v[30:31], v[30:31], v[34:35]
	v_mul_f64 v[34:35], v[32:33], v[30:31]
	v_fma_f64 v[28:29], -v[28:29], v[34:35], v[32:33]
	v_div_fmas_f64 v[28:29], v[28:29], v[30:31], v[34:35]
	v_div_fixup_f64 v[34:35], v[28:29], v[26:27], 1.0
	s_waitcnt lgkmcnt(0)
	v_fma_f64 v[30:31], -v[10:11], v[24:25], v[18:19]
	ds_read2_b64 v[26:29], v9 offset1:8
	v_mul_f64 v[36:37], v[34:35], v[30:31]
	ds_read2_b64 v[30:33], v38 offset0:135 offset1:143
	v_fma_f64 v[18:19], -v[16:17], v[18:19], v[24:25]
	v_mul_f64 v[18:19], v[18:19], v[34:35]
	s_waitcnt lgkmcnt(1)
	v_fma_f64 v[22:23], -v[18:19], v[26:27], v[22:23]
	v_mul_f64 v[10:11], v[10:11], v[28:29]
	s_waitcnt lgkmcnt(0)
	v_mul_f64 v[16:17], v[16:17], v[30:31]
	ds_write2_b64 v39, v[22:23], v[18:19] offset1:8
	v_fma_f64 v[18:19], -v[32:33], v[36:37], v[20:21]
	v_mul_f64 v[10:11], v[10:11], -v[34:35]
	v_mul_f64 v[16:17], v[16:17], -v[34:35]
	ds_write2_b64 v39, v[36:37], v[18:19] offset0:135 offset1:143
	v_mul_f64 v[18:19], v[34:35], v[28:29]
	v_mul_f64 v[20:21], v[34:35], v[30:31]
	v_fma_f64 v[14:15], -v[16:17], v[26:27], v[14:15]
	v_fma_f64 v[12:13], -v[10:11], v[32:33], v[12:13]
	ds_write2_b64 v38, v[14:15], v[16:17] offset1:8
	v_mul_f64 v[14:15], v[18:19], -v[26:27]
	ds_write2_b64 v9, v[10:11], v[12:13] offset0:135 offset1:143
	v_mul_f64 v[10:11], v[20:21], -v[32:33]
	ds_write2_b64 v9, v[14:15], v[18:19] offset1:8
	ds_write2_b64 v38, v[20:21], v[10:11] offset0:135 offset1:143
.LBB102_8:
	;; [unrolled: 55-line block ×4, first 2 shown]
	s_or_b64 exec, exec, s[12:13]
	v_cmp_eq_u32_e32 vcc, 0, v0
	s_waitcnt lgkmcnt(0)
	s_barrier
	s_and_saveexec_b64 s[12:13], vcc
	s_cbranch_execz .LBB102_14
; %bb.13:
	s_movk_i32 s14, 0x400
	v_add_u32_e64 v40, s14, 0
	ds_read2_b64 v[12:15], v40 offset0:63 offset1:192
	s_movk_i32 s14, 0x1f8
	v_add_u32_e64 v42, s14, 0
	ds_read2st64_b64 v[16:19], v42 offset0:10 offset1:11
	v_mov_b32_e32 v44, 0xff8
	s_waitcnt lgkmcnt(1)
	v_fma_f64 v[24:25], -v[14:15], v[12:13], 1.0
	v_div_scale_f64 v[26:27], s[14:15], v[24:25], v[24:25], 1.0
	v_rcp_f64_e32 v[28:29], v[26:27]
	s_movk_i32 s14, 0xc00
	v_add_u32_e64 v43, s14, 0
	v_div_scale_f64 v[30:31], vcc, 1.0, v[24:25], 1.0
	v_fma_f64 v[20:21], -v[26:27], v[28:29], 1.0
	v_fmac_f64_e32 v[28:29], v[28:29], v[20:21]
	v_fma_f64 v[20:21], -v[26:27], v[28:29], 1.0
	v_fmac_f64_e32 v[28:29], v[28:29], v[20:21]
	ds_read2_b64 v[20:23], v43 offset0:63 offset1:192
	v_mul_f64 v[32:33], v[30:31], v[28:29]
	v_fma_f64 v[26:27], -v[26:27], v[32:33], v[30:31]
	v_div_fmas_f64 v[26:27], v[26:27], v[28:29], v[32:33]
	v_div_fixup_f64 v[36:37], v[26:27], v[24:25], 1.0
	s_waitcnt lgkmcnt(0)
	v_fma_f64 v[24:25], -v[12:13], v[22:23], v[16:17]
	v_mov_b32_e32 v41, 0
	v_mul_f64 v[38:39], v[36:37], v[24:25]
	ds_read2_b64 v[24:27], v44 offset1:1
	ds_read2st64_b64 v[28:31], v41 offset1:1
	v_mov_b32_e32 v45, 0x7f8
	ds_read2_b64 v[32:35], v45 offset1:1
	v_fma_f64 v[16:17], -v[14:15], v[16:17], v[22:23]
	v_mul_f64 v[14:15], v[14:15], v[20:21]
	s_waitcnt lgkmcnt(1)
	v_mul_f64 v[12:13], v[12:13], v[30:31]
	v_fma_f64 v[18:19], -v[24:25], v[38:39], v[18:19]
	v_mul_f64 v[12:13], v[12:13], -v[36:37]
	v_mul_f64 v[14:15], v[14:15], -v[36:37]
	v_mul_f64 v[16:17], v[16:17], v[36:37]
	ds_write2st64_b64 v42, v[38:39], v[18:19] offset0:10 offset1:11
	v_mul_f64 v[18:19], v[36:37], v[30:31]
	ds_write2_b64 v40, v[12:13], v[14:15] offset0:63 offset1:192
	v_mul_f64 v[20:21], v[36:37], v[20:21]
	s_waitcnt lgkmcnt(2)
	v_fma_f64 v[14:15], -v[14:15], v[28:29], v[34:35]
	v_fma_f64 v[12:13], -v[12:13], v[24:25], v[32:33]
	;; [unrolled: 1-line block ×3, first 2 shown]
	ds_write2_b64 v43, v[20:21], v[16:17] offset0:63 offset1:192
	v_mul_f64 v[16:17], v[18:19], -v[28:29]
	ds_write2_b64 v45, v[12:13], v[14:15] offset1:1
	v_mul_f64 v[12:13], v[20:21], -v[24:25]
	ds_write2st64_b64 v41, v[16:17], v[18:19] offset1:1
	ds_write2_b64 v44, v[12:13], v[22:23] offset1:1
.LBB102_14:
	s_or_b64 exec, exec, s[12:13]
	s_waitcnt lgkmcnt(0)
	s_barrier
	s_and_saveexec_b64 s[12:13], s[10:11]
	s_cbranch_execz .LBB102_16
; %bb.15:
	v_max_u32_e32 v20, 1, v8
	v_add_u32_e32 v12, 0x1000, v11
	v_add_u32_e32 v16, 0x800, v11
	v_min_u32_e32 v24, 63, v8
	ds_read2_b64 v[12:15], v12 offset0:32 offset1:159
	ds_read2_b64 v[16:19], v16 offset0:32 offset1:159
	v_lshlrev_b32_e32 v28, 3, v20
	ds_read2_b64 v[20:23], v11 offset0:32 offset1:159
	v_lshlrev_b32_e32 v29, 3, v24
	ds_read_b64 v[24:25], v28 offset:5112
	ds_read_b64 v[26:27], v29 offset:4608
	s_waitcnt lgkmcnt(1)
	v_fma_f64 v[14:15], -v[18:19], v[24:25], v[14:15]
	s_waitcnt lgkmcnt(0)
	v_fma_f64 v[14:15], -v[22:23], v[26:27], v[14:15]
	ds_write_b64 v11, v[14:15] offset:5368
	ds_read_b64 v[14:15], v28 offset:5112
	s_waitcnt lgkmcnt(0)
	v_fma_f64 v[12:13], -v[16:17], v[14:15], v[12:13]
	ds_write_b64 v11, v[12:13] offset:4352
	ds_read_b64 v[14:15], v29 offset:4608
	s_waitcnt lgkmcnt(0)
	v_fma_f64 v[12:13], -v[20:21], v[14:15], v[12:13]
	ds_write_b64 v11, v[12:13] offset:4352
.LBB102_16:
	s_or_b64 exec, exec, s[12:13]
	s_waitcnt lgkmcnt(0)
	s_barrier
	s_and_saveexec_b64 s[10:11], s[8:9]
	s_cbranch_execz .LBB102_18
; %bb.17:
	v_max_u32_e32 v11, 1, v7
	v_add_u32_e32 v12, 0x1000, v10
	v_add_u32_e32 v16, 0x800, v10
	v_min_u32_e32 v24, 0x5f, v7
	ds_read2_b64 v[12:15], v12 offset0:16 offset1:143
	ds_read2_b64 v[16:19], v16 offset0:16 offset1:143
	v_lshlrev_b32_e32 v11, 3, v11
	ds_read2_b64 v[20:23], v10 offset0:16 offset1:143
	v_lshlrev_b32_e32 v28, 3, v24
	ds_read_b64 v[24:25], v11 offset:5112
	ds_read_b64 v[26:27], v28 offset:4352
	s_waitcnt lgkmcnt(1)
	v_fma_f64 v[14:15], -v[18:19], v[24:25], v[14:15]
	s_waitcnt lgkmcnt(0)
	v_fma_f64 v[14:15], -v[22:23], v[26:27], v[14:15]
	ds_write_b64 v10, v[14:15] offset:5240
	ds_read_b64 v[14:15], v11 offset:5112
	s_waitcnt lgkmcnt(0)
	v_fma_f64 v[12:13], -v[16:17], v[14:15], v[12:13]
	ds_write_b64 v10, v[12:13] offset:4224
	ds_read_b64 v[14:15], v28 offset:4352
	s_waitcnt lgkmcnt(0)
	v_fma_f64 v[12:13], -v[20:21], v[14:15], v[12:13]
	ds_write_b64 v10, v[12:13] offset:4224
.LBB102_18:
	s_or_b64 exec, exec, s[10:11]
	v_lshlrev_b32_e32 v10, 4, v0
	s_waitcnt lgkmcnt(0)
	s_barrier
	s_and_saveexec_b64 s[8:9], s[6:7]
	s_cbranch_execz .LBB102_20
; %bb.19:
	v_max_u32_e32 v11, 1, v10
	v_add_u32_e32 v12, 0x1000, v9
	v_add_u32_e32 v16, 0x800, v9
	v_min_u32_e32 v24, 0x6f, v10
	ds_read2_b64 v[12:15], v12 offset0:8 offset1:135
	ds_read2_b64 v[16:19], v16 offset0:8 offset1:135
	v_lshlrev_b32_e32 v11, 3, v11
	ds_read2_b64 v[20:23], v9 offset0:8 offset1:135
	v_lshlrev_b32_e32 v28, 3, v24
	ds_read_b64 v[24:25], v11 offset:5112
	ds_read_b64 v[26:27], v28 offset:4224
	s_waitcnt lgkmcnt(1)
	v_fma_f64 v[14:15], -v[18:19], v[24:25], v[14:15]
	s_waitcnt lgkmcnt(0)
	v_fma_f64 v[14:15], -v[22:23], v[26:27], v[14:15]
	ds_write_b64 v9, v[14:15] offset:5176
	ds_read_b64 v[14:15], v11 offset:5112
	s_waitcnt lgkmcnt(0)
	v_fma_f64 v[12:13], -v[16:17], v[14:15], v[12:13]
	ds_write_b64 v9, v[12:13] offset:4160
	ds_read_b64 v[14:15], v28 offset:4224
	s_waitcnt lgkmcnt(0)
	v_fma_f64 v[12:13], -v[20:21], v[14:15], v[12:13]
	ds_write_b64 v9, v[12:13] offset:4160
.LBB102_20:
	s_or_b64 exec, exec, s[8:9]
	s_waitcnt lgkmcnt(0)
	s_barrier
	s_and_saveexec_b64 s[6:7], s[4:5]
	s_cbranch_execz .LBB102_22
; %bb.21:
	v_add_u32_e32 v11, 0x1000, v8
	v_max_u32_e32 v9, 1, v6
	ds_read2_b64 v[12:15], v11 offset0:4 offset1:131
	v_add_u32_e32 v11, 0x800, v8
	v_min_u32_e32 v6, 0x77, v6
	ds_read2_b64 v[16:19], v11 offset0:4 offset1:131
	v_lshlrev_b32_e32 v9, 3, v9
	ds_read2_b64 v[20:23], v8 offset0:4 offset1:131
	v_lshlrev_b32_e32 v6, 3, v6
	ds_read_b64 v[24:25], v9 offset:5112
	ds_read_b64 v[26:27], v6 offset:4160
	s_waitcnt lgkmcnt(1)
	v_fma_f64 v[14:15], -v[18:19], v[24:25], v[14:15]
	s_waitcnt lgkmcnt(0)
	v_fma_f64 v[14:15], -v[22:23], v[26:27], v[14:15]
	ds_write_b64 v8, v[14:15] offset:5144
	ds_read_b64 v[14:15], v9 offset:5112
	s_waitcnt lgkmcnt(0)
	v_fma_f64 v[12:13], -v[16:17], v[14:15], v[12:13]
	ds_write_b64 v8, v[12:13] offset:4128
	ds_read_b64 v[14:15], v6 offset:4160
	s_waitcnt lgkmcnt(0)
	v_fma_f64 v[12:13], -v[20:21], v[14:15], v[12:13]
	ds_write_b64 v8, v[12:13] offset:4128
.LBB102_22:
	s_or_b64 exec, exec, s[6:7]
	s_waitcnt lgkmcnt(0)
	s_barrier
	s_and_saveexec_b64 s[4:5], s[2:3]
	s_cbranch_execz .LBB102_24
; %bb.23:
	v_lshlrev_b32_e32 v6, 2, v0
	v_add_u32_e32 v9, 0x1000, v7
	v_max_u32_e32 v8, 1, v6
	ds_read2_b64 v[12:15], v9 offset0:2 offset1:129
	v_add_u32_e32 v9, 0x800, v7
	v_min_u32_e32 v6, 0x7b, v6
	ds_read2_b64 v[16:19], v9 offset0:2 offset1:129
	v_lshlrev_b32_e32 v11, 3, v8
	ds_read2_b64 v[20:23], v7 offset0:2 offset1:129
	v_lshlrev_b32_e32 v6, 3, v6
	ds_read_b64 v[8:9], v11 offset:5112
	ds_read_b64 v[24:25], v6 offset:4128
	s_waitcnt lgkmcnt(1)
	v_fma_f64 v[8:9], -v[18:19], v[8:9], v[14:15]
	s_waitcnt lgkmcnt(0)
	v_fma_f64 v[8:9], -v[22:23], v[24:25], v[8:9]
	ds_write_b64 v7, v[8:9] offset:5128
	ds_read_b64 v[8:9], v11 offset:5112
	s_waitcnt lgkmcnt(0)
	v_fma_f64 v[8:9], -v[16:17], v[8:9], v[12:13]
	ds_write_b64 v7, v[8:9] offset:4112
	ds_read_b64 v[12:13], v6 offset:4128
	s_waitcnt lgkmcnt(0)
	v_fma_f64 v[8:9], -v[20:21], v[12:13], v[8:9]
	ds_write_b64 v7, v[8:9] offset:4112
.LBB102_24:
	s_or_b64 exec, exec, s[4:5]
	s_waitcnt lgkmcnt(0)
	s_barrier
	s_and_saveexec_b64 s[2:3], s[0:1]
	s_cbranch_execz .LBB102_26
; %bb.25:
	v_lshlrev_b32_e32 v0, 1, v0
	v_max_u32_e32 v11, 1, v0
	v_add_u32_e32 v6, 0x1000, v10
	v_add_u32_e32 v12, 0x800, v10
	v_min_u32_e32 v0, 0x7d, v0
	ds_read2_b64 v[6:9], v6 offset0:1 offset1:128
	ds_read2_b64 v[12:15], v12 offset0:1 offset1:128
	v_lshlrev_b32_e32 v11, 3, v11
	ds_read2_b64 v[16:19], v10 offset0:1 offset1:128
	v_lshlrev_b32_e32 v0, 3, v0
	ds_read_b64 v[20:21], v11 offset:5112
	ds_read_b64 v[22:23], v0 offset:4112
	s_waitcnt lgkmcnt(1)
	v_fma_f64 v[8:9], -v[14:15], v[20:21], v[8:9]
	s_waitcnt lgkmcnt(0)
	v_fma_f64 v[8:9], -v[18:19], v[22:23], v[8:9]
	ds_write_b64 v10, v[8:9] offset:5120
	ds_read_b64 v[8:9], v11 offset:5112
	s_waitcnt lgkmcnt(0)
	v_fma_f64 v[6:7], -v[12:13], v[8:9], v[6:7]
	ds_write_b64 v10, v[6:7] offset:4104
	ds_read_b64 v[8:9], v0 offset:4112
	s_waitcnt lgkmcnt(0)
	v_fma_f64 v[6:7], -v[16:17], v[8:9], v[6:7]
	ds_write_b64 v10, v[6:7] offset:4104
.LBB102_26:
	s_or_b64 exec, exec, s[2:3]
	s_waitcnt lgkmcnt(0)
	s_barrier
	ds_read2st64_b64 v[6:9], v1 offset1:2
	s_waitcnt lgkmcnt(0)
	global_store_dwordx2 v[2:3], v[6:7], off
	global_store_dwordx2 v[4:5], v[8:9], off
	s_endpgm
	.section	.rodata,"a",@progbits
	.p2align	6, 0x0
	.amdhsa_kernel _ZN9rocsparseL34gtsv_solve_spike_grid_level_kernelILj128EdEEviiiPT0_PKS1_S4_
		.amdhsa_group_segment_fixed_size 6144
		.amdhsa_private_segment_fixed_size 0
		.amdhsa_kernarg_size 40
		.amdhsa_user_sgpr_count 2
		.amdhsa_user_sgpr_dispatch_ptr 0
		.amdhsa_user_sgpr_queue_ptr 0
		.amdhsa_user_sgpr_kernarg_segment_ptr 1
		.amdhsa_user_sgpr_dispatch_id 0
		.amdhsa_user_sgpr_kernarg_preload_length 0
		.amdhsa_user_sgpr_kernarg_preload_offset 0
		.amdhsa_user_sgpr_private_segment_size 0
		.amdhsa_uses_dynamic_stack 0
		.amdhsa_enable_private_segment 0
		.amdhsa_system_sgpr_workgroup_id_x 1
		.amdhsa_system_sgpr_workgroup_id_y 1
		.amdhsa_system_sgpr_workgroup_id_z 0
		.amdhsa_system_sgpr_workgroup_info 0
		.amdhsa_system_vgpr_workitem_id 0
		.amdhsa_next_free_vgpr 46
		.amdhsa_next_free_sgpr 16
		.amdhsa_accum_offset 48
		.amdhsa_reserve_vcc 1
		.amdhsa_float_round_mode_32 0
		.amdhsa_float_round_mode_16_64 0
		.amdhsa_float_denorm_mode_32 3
		.amdhsa_float_denorm_mode_16_64 3
		.amdhsa_dx10_clamp 1
		.amdhsa_ieee_mode 1
		.amdhsa_fp16_overflow 0
		.amdhsa_tg_split 0
		.amdhsa_exception_fp_ieee_invalid_op 0
		.amdhsa_exception_fp_denorm_src 0
		.amdhsa_exception_fp_ieee_div_zero 0
		.amdhsa_exception_fp_ieee_overflow 0
		.amdhsa_exception_fp_ieee_underflow 0
		.amdhsa_exception_fp_ieee_inexact 0
		.amdhsa_exception_int_div_zero 0
	.end_amdhsa_kernel
	.section	.text._ZN9rocsparseL34gtsv_solve_spike_grid_level_kernelILj128EdEEviiiPT0_PKS1_S4_,"axG",@progbits,_ZN9rocsparseL34gtsv_solve_spike_grid_level_kernelILj128EdEEviiiPT0_PKS1_S4_,comdat
.Lfunc_end102:
	.size	_ZN9rocsparseL34gtsv_solve_spike_grid_level_kernelILj128EdEEviiiPT0_PKS1_S4_, .Lfunc_end102-_ZN9rocsparseL34gtsv_solve_spike_grid_level_kernelILj128EdEEviiiPT0_PKS1_S4_
                                        ; -- End function
	.set _ZN9rocsparseL34gtsv_solve_spike_grid_level_kernelILj128EdEEviiiPT0_PKS1_S4_.num_vgpr, 46
	.set _ZN9rocsparseL34gtsv_solve_spike_grid_level_kernelILj128EdEEviiiPT0_PKS1_S4_.num_agpr, 0
	.set _ZN9rocsparseL34gtsv_solve_spike_grid_level_kernelILj128EdEEviiiPT0_PKS1_S4_.numbered_sgpr, 16
	.set _ZN9rocsparseL34gtsv_solve_spike_grid_level_kernelILj128EdEEviiiPT0_PKS1_S4_.num_named_barrier, 0
	.set _ZN9rocsparseL34gtsv_solve_spike_grid_level_kernelILj128EdEEviiiPT0_PKS1_S4_.private_seg_size, 0
	.set _ZN9rocsparseL34gtsv_solve_spike_grid_level_kernelILj128EdEEviiiPT0_PKS1_S4_.uses_vcc, 1
	.set _ZN9rocsparseL34gtsv_solve_spike_grid_level_kernelILj128EdEEviiiPT0_PKS1_S4_.uses_flat_scratch, 0
	.set _ZN9rocsparseL34gtsv_solve_spike_grid_level_kernelILj128EdEEviiiPT0_PKS1_S4_.has_dyn_sized_stack, 0
	.set _ZN9rocsparseL34gtsv_solve_spike_grid_level_kernelILj128EdEEviiiPT0_PKS1_S4_.has_recursion, 0
	.set _ZN9rocsparseL34gtsv_solve_spike_grid_level_kernelILj128EdEEviiiPT0_PKS1_S4_.has_indirect_call, 0
	.section	.AMDGPU.csdata,"",@progbits
; Kernel info:
; codeLenInByte = 3940
; TotalNumSgprs: 22
; NumVgprs: 46
; NumAgprs: 0
; TotalNumVgprs: 46
; ScratchSize: 0
; MemoryBound: 1
; FloatMode: 240
; IeeeMode: 1
; LDSByteSize: 6144 bytes/workgroup (compile time only)
; SGPRBlocks: 2
; VGPRBlocks: 5
; NumSGPRsForWavesPerEU: 22
; NumVGPRsForWavesPerEU: 46
; AccumOffset: 48
; Occupancy: 8
; WaveLimiterHint : 1
; COMPUTE_PGM_RSRC2:SCRATCH_EN: 0
; COMPUTE_PGM_RSRC2:USER_SGPR: 2
; COMPUTE_PGM_RSRC2:TRAP_HANDLER: 0
; COMPUTE_PGM_RSRC2:TGID_X_EN: 1
; COMPUTE_PGM_RSRC2:TGID_Y_EN: 1
; COMPUTE_PGM_RSRC2:TGID_Z_EN: 0
; COMPUTE_PGM_RSRC2:TIDIG_COMP_CNT: 0
; COMPUTE_PGM_RSRC3_GFX90A:ACCUM_OFFSET: 11
; COMPUTE_PGM_RSRC3_GFX90A:TG_SPLIT: 0
	.section	.text._ZN9rocsparseL34gtsv_solve_spike_grid_level_kernelILj256EdEEviiiPT0_PKS1_S4_,"axG",@progbits,_ZN9rocsparseL34gtsv_solve_spike_grid_level_kernelILj256EdEEviiiPT0_PKS1_S4_,comdat
	.globl	_ZN9rocsparseL34gtsv_solve_spike_grid_level_kernelILj256EdEEviiiPT0_PKS1_S4_ ; -- Begin function _ZN9rocsparseL34gtsv_solve_spike_grid_level_kernelILj256EdEEviiiPT0_PKS1_S4_
	.p2align	8
	.type	_ZN9rocsparseL34gtsv_solve_spike_grid_level_kernelILj256EdEEviiiPT0_PKS1_S4_,@function
_ZN9rocsparseL34gtsv_solve_spike_grid_level_kernelILj256EdEEviiiPT0_PKS1_S4_: ; @_ZN9rocsparseL34gtsv_solve_spike_grid_level_kernelILj256EdEEviiiPT0_PKS1_S4_
; %bb.0:
	s_load_dwordx4 s[4:7], s[0:1], 0x10
	s_load_dwordx2 s[8:9], s[0:1], 0x20
	v_lshl_or_b32 v4, s3, 9, v0
	v_mov_b32_e32 v5, 0
	v_lshlrev_b32_e32 v6, 3, v0
	s_waitcnt lgkmcnt(0)
	v_lshl_add_u64 v[2:3], v[4:5], 3, s[4:5]
	v_or_b32_e32 v4, 0x100, v4
	global_load_dwordx2 v[8:9], v6, s[6:7]
	global_load_dwordx2 v[10:11], v6, s[6:7] offset:2048
	global_load_dwordx2 v[12:13], v6, s[8:9]
	global_load_dwordx2 v[14:15], v6, s[8:9] offset:2048
	v_lshl_add_u64 v[4:5], v[4:5], 3, s[4:5]
	global_load_dwordx2 v[16:17], v[2:3], off
	global_load_dwordx2 v[18:19], v[4:5], off
	s_movk_i32 s0, 0x80
	v_or_b32_e32 v1, 0x2000, v6
	v_cmp_gt_u32_e64 s[0:1], s0, v0
	s_waitcnt vmcnt(4)
	ds_write2st64_b64 v6, v[8:9], v[10:11] offset0:8 offset1:12
	s_waitcnt vmcnt(2)
	ds_write2st64_b64 v6, v[12:13], v[14:15] offset1:4
	s_waitcnt vmcnt(0)
	ds_write2st64_b64 v6, v[16:17], v[18:19] offset0:16 offset1:20
	s_waitcnt lgkmcnt(0)
	s_barrier
	s_and_saveexec_b64 s[2:3], s[0:1]
	s_cbranch_execz .LBB103_2
; %bb.1:
	v_or_b32_e32 v7, 0x1000, v6
	v_add_u32_e32 v7, v7, v6
	ds_read_b128 v[8:11], v7
	v_add_u32_e32 v42, v6, v6
	ds_read_b128 v[12:15], v42 offset:2048
	ds_read_b128 v[16:19], v42
	ds_read_b128 v[20:23], v7 offset:2048
	v_add_u32_e32 v43, v1, v6
	s_waitcnt lgkmcnt(2)
	v_fma_f64 v[32:33], -v[10:11], v[12:13], 1.0
	v_div_scale_f64 v[34:35], s[4:5], v[32:33], v[32:33], 1.0
	v_rcp_f64_e32 v[36:37], v[34:35]
	v_div_scale_f64 v[38:39], vcc, 1.0, v[32:33], 1.0
	v_fma_f64 v[24:25], -v[34:35], v[36:37], 1.0
	v_fmac_f64_e32 v[36:37], v[36:37], v[24:25]
	v_fma_f64 v[24:25], -v[34:35], v[36:37], 1.0
	v_fmac_f64_e32 v[36:37], v[36:37], v[24:25]
	ds_read_b128 v[24:27], v43 offset:2048
	ds_read_b128 v[28:31], v43
	v_mul_f64 v[40:41], v[38:39], v[36:37]
	v_fma_f64 v[34:35], -v[34:35], v[40:41], v[38:39]
	v_div_fmas_f64 v[34:35], v[34:35], v[36:37], v[40:41]
	v_div_fixup_f64 v[36:37], v[34:35], v[32:33], 1.0
	s_waitcnt lgkmcnt(0)
	v_fma_f64 v[32:33], -v[12:13], v[30:31], v[24:25]
	v_fma_f64 v[24:25], -v[10:11], v[24:25], v[30:31]
	v_mul_f64 v[12:13], v[12:13], v[18:19]
	v_mul_f64 v[10:11], v[10:11], v[20:21]
	;; [unrolled: 1-line block ×4, first 2 shown]
	v_mul_f64 v[12:13], v[12:13], -v[36:37]
	v_mul_f64 v[18:19], v[36:37], v[18:19]
	v_mul_f64 v[10:11], v[10:11], -v[36:37]
	v_mul_f64 v[20:21], v[36:37], v[20:21]
	v_fma_f64 v[28:29], -v[30:31], v[16:17], v[28:29]
	v_fma_f64 v[34:35], -v[22:23], v[32:33], v[26:27]
	;; [unrolled: 1-line block ×3, first 2 shown]
	v_mul_f64 v[16:17], v[18:19], -v[16:17]
	v_fma_f64 v[14:15], -v[12:13], v[22:23], v[14:15]
	v_mul_f64 v[22:23], v[20:21], -v[22:23]
	ds_write_b128 v43, v[28:31]
	ds_write_b128 v43, v[32:35] offset:2048
	ds_write_b128 v7, v[8:11]
	ds_write_b128 v42, v[16:19]
	ds_write_b128 v42, v[12:15] offset:2048
	ds_write_b128 v7, v[20:23] offset:2048
.LBB103_2:
	s_or_b64 exec, exec, s[2:3]
	v_cmp_gt_u32_e64 s[2:3], 64, v0
	v_lshlrev_b32_e32 v7, 5, v0
	s_waitcnt lgkmcnt(0)
	s_barrier
	s_and_saveexec_b64 s[4:5], s[2:3]
	s_cbranch_execz .LBB103_4
; %bb.3:
	v_mad_u32_u24 v37, v0, 24, v6
	v_add_u32_e32 v36, 0x1000, v7
	v_add_u32_e32 v38, 0x800, v37
	ds_read2_b64 v[8:11], v36 offset1:2
	ds_read2_b64 v[12:15], v38 offset0:1 offset1:3
	v_mad_u32_u24 v39, v0, 24, v1
	v_add_u32_e32 v40, 0x800, v39
	v_add_u32_e32 v41, 0x1800, v7
	s_waitcnt lgkmcnt(0)
	v_fma_f64 v[24:25], -v[10:11], v[12:13], 1.0
	v_div_scale_f64 v[26:27], s[6:7], v[24:25], v[24:25], 1.0
	v_rcp_f64_e32 v[28:29], v[26:27]
	v_div_scale_f64 v[30:31], vcc, 1.0, v[24:25], 1.0
	v_fma_f64 v[16:17], -v[26:27], v[28:29], 1.0
	v_fmac_f64_e32 v[28:29], v[28:29], v[16:17]
	v_fma_f64 v[16:17], -v[26:27], v[28:29], 1.0
	v_fmac_f64_e32 v[28:29], v[28:29], v[16:17]
	ds_read2_b64 v[16:19], v40 offset0:1 offset1:3
	ds_read2_b64 v[20:23], v39 offset1:2
	v_mul_f64 v[32:33], v[30:31], v[28:29]
	v_fma_f64 v[26:27], -v[26:27], v[32:33], v[30:31]
	v_div_fmas_f64 v[26:27], v[26:27], v[28:29], v[32:33]
	v_div_fixup_f64 v[32:33], v[26:27], v[24:25], 1.0
	s_waitcnt lgkmcnt(0)
	v_fma_f64 v[24:25], -v[12:13], v[22:23], v[16:17]
	v_mul_f64 v[34:35], v[32:33], v[24:25]
	ds_read2_b64 v[24:27], v37 offset1:2
	ds_read2_b64 v[28:31], v41 offset0:1 offset1:3
	v_fma_f64 v[16:17], -v[10:11], v[16:17], v[22:23]
	v_mul_f64 v[16:17], v[16:17], v[32:33]
	s_waitcnt lgkmcnt(1)
	v_fma_f64 v[20:21], -v[16:17], v[24:25], v[20:21]
	s_waitcnt lgkmcnt(0)
	v_mul_f64 v[10:11], v[10:11], v[28:29]
	ds_write2_b64 v39, v[20:21], v[16:17] offset1:2
	v_fma_f64 v[16:17], -v[30:31], v[34:35], v[18:19]
	v_mul_f64 v[10:11], v[10:11], -v[32:33]
	ds_write2_b64 v40, v[34:35], v[16:17] offset0:1 offset1:3
	v_mul_f64 v[12:13], v[12:13], v[26:27]
	v_mul_f64 v[16:17], v[32:33], v[26:27]
	v_fma_f64 v[8:9], -v[10:11], v[24:25], v[8:9]
	v_mul_f64 v[12:13], v[12:13], -v[32:33]
	ds_write2_b64 v36, v[8:9], v[10:11] offset1:2
	v_mul_f64 v[8:9], v[16:17], -v[24:25]
	v_mul_f64 v[18:19], v[32:33], v[28:29]
	ds_write2_b64 v37, v[8:9], v[16:17] offset1:2
	v_fma_f64 v[8:9], -v[12:13], v[30:31], v[14:15]
	ds_write2_b64 v38, v[12:13], v[8:9] offset0:1 offset1:3
	v_mul_f64 v[8:9], v[18:19], -v[30:31]
	ds_write2_b64 v41, v[18:19], v[8:9] offset0:1 offset1:3
.LBB103_4:
	s_or_b64 exec, exec, s[4:5]
	v_cmp_gt_u32_e64 s[4:5], 32, v0
	v_lshlrev_b32_e32 v8, 6, v0
	s_waitcnt lgkmcnt(0)
	s_barrier
	s_and_saveexec_b64 s[6:7], s[4:5]
	s_cbranch_execz .LBB103_6
; %bb.5:
	v_add_u32_e32 v9, 0x1000, v8
	v_add_u32_e32 v38, 0x800, v8
	ds_read2_b64 v[10:13], v9 offset1:4
	ds_read2_b64 v[14:17], v38 offset0:3 offset1:7
	v_add_u32_e32 v39, 0x2800, v8
	v_add_u32_e32 v40, 0x2000, v8
	ds_read2_b64 v[18:21], v39 offset0:3 offset1:7
	v_add_u32_e32 v41, 0x1800, v8
	s_waitcnt lgkmcnt(1)
	v_fma_f64 v[26:27], -v[12:13], v[14:15], 1.0
	v_div_scale_f64 v[28:29], s[8:9], v[26:27], v[26:27], 1.0
	v_rcp_f64_e32 v[30:31], v[28:29]
	v_div_scale_f64 v[32:33], vcc, 1.0, v[26:27], 1.0
	v_fma_f64 v[22:23], -v[28:29], v[30:31], 1.0
	v_fmac_f64_e32 v[30:31], v[30:31], v[22:23]
	v_fma_f64 v[22:23], -v[28:29], v[30:31], 1.0
	v_fmac_f64_e32 v[30:31], v[30:31], v[22:23]
	ds_read2_b64 v[22:25], v40 offset1:4
	v_mul_f64 v[34:35], v[32:33], v[30:31]
	v_fma_f64 v[28:29], -v[28:29], v[34:35], v[32:33]
	v_div_fmas_f64 v[28:29], v[28:29], v[30:31], v[34:35]
	v_div_fixup_f64 v[34:35], v[28:29], v[26:27], 1.0
	s_waitcnt lgkmcnt(0)
	v_fma_f64 v[26:27], -v[14:15], v[24:25], v[18:19]
	v_mul_f64 v[36:37], v[34:35], v[26:27]
	ds_read2_b64 v[26:29], v8 offset1:4
	ds_read2_b64 v[30:33], v41 offset0:3 offset1:7
	v_fma_f64 v[18:19], -v[12:13], v[18:19], v[24:25]
	v_mul_f64 v[18:19], v[18:19], v[34:35]
	s_waitcnt lgkmcnt(1)
	v_fma_f64 v[22:23], -v[18:19], v[26:27], v[22:23]
	s_waitcnt lgkmcnt(0)
	v_mul_f64 v[12:13], v[12:13], v[30:31]
	ds_write2_b64 v40, v[22:23], v[18:19] offset1:4
	v_fma_f64 v[18:19], -v[32:33], v[36:37], v[20:21]
	v_mul_f64 v[12:13], v[12:13], -v[34:35]
	ds_write2_b64 v39, v[36:37], v[18:19] offset0:3 offset1:7
	v_mul_f64 v[14:15], v[14:15], v[28:29]
	v_mul_f64 v[18:19], v[34:35], v[28:29]
	v_fma_f64 v[10:11], -v[12:13], v[26:27], v[10:11]
	v_mul_f64 v[14:15], v[14:15], -v[34:35]
	ds_write2_b64 v9, v[10:11], v[12:13] offset1:4
	v_mul_f64 v[10:11], v[18:19], -v[26:27]
	v_mul_f64 v[20:21], v[34:35], v[30:31]
	ds_write2_b64 v8, v[10:11], v[18:19] offset1:4
	v_fma_f64 v[10:11], -v[14:15], v[32:33], v[16:17]
	ds_write2_b64 v38, v[14:15], v[10:11] offset0:3 offset1:7
	v_mul_f64 v[10:11], v[20:21], -v[32:33]
	ds_write2_b64 v41, v[20:21], v[10:11] offset0:3 offset1:7
.LBB103_6:
	s_or_b64 exec, exec, s[6:7]
	v_cmp_gt_u32_e64 s[6:7], 16, v0
	v_lshlrev_b32_e32 v9, 7, v0
	s_waitcnt lgkmcnt(0)
	s_barrier
	s_and_saveexec_b64 s[8:9], s[6:7]
	s_cbranch_execz .LBB103_8
; %bb.7:
	v_add_u32_e32 v38, 0x1000, v9
	v_add_u32_e32 v39, 0x800, v9
	ds_read2_b64 v[10:13], v38 offset1:8
	ds_read2_b64 v[14:17], v39 offset0:7 offset1:15
	v_add_u32_e32 v40, 0x2800, v9
	v_add_u32_e32 v41, 0x2000, v9
	ds_read2_b64 v[18:21], v40 offset0:7 offset1:15
	v_add_u32_e32 v42, 0x1800, v9
	s_waitcnt lgkmcnt(1)
	v_fma_f64 v[26:27], -v[12:13], v[14:15], 1.0
	v_div_scale_f64 v[28:29], s[10:11], v[26:27], v[26:27], 1.0
	v_rcp_f64_e32 v[30:31], v[28:29]
	v_div_scale_f64 v[32:33], vcc, 1.0, v[26:27], 1.0
	v_fma_f64 v[22:23], -v[28:29], v[30:31], 1.0
	v_fmac_f64_e32 v[30:31], v[30:31], v[22:23]
	v_fma_f64 v[22:23], -v[28:29], v[30:31], 1.0
	v_fmac_f64_e32 v[30:31], v[30:31], v[22:23]
	ds_read2_b64 v[22:25], v41 offset1:8
	v_mul_f64 v[34:35], v[32:33], v[30:31]
	v_fma_f64 v[28:29], -v[28:29], v[34:35], v[32:33]
	v_div_fmas_f64 v[28:29], v[28:29], v[30:31], v[34:35]
	v_div_fixup_f64 v[34:35], v[28:29], v[26:27], 1.0
	s_waitcnt lgkmcnt(0)
	v_fma_f64 v[26:27], -v[14:15], v[24:25], v[18:19]
	v_mul_f64 v[36:37], v[34:35], v[26:27]
	ds_read2_b64 v[26:29], v9 offset1:8
	ds_read2_b64 v[30:33], v42 offset0:7 offset1:15
	v_fma_f64 v[18:19], -v[12:13], v[18:19], v[24:25]
	v_mul_f64 v[18:19], v[18:19], v[34:35]
	s_waitcnt lgkmcnt(1)
	v_fma_f64 v[22:23], -v[18:19], v[26:27], v[22:23]
	s_waitcnt lgkmcnt(0)
	v_mul_f64 v[12:13], v[12:13], v[30:31]
	ds_write2_b64 v41, v[22:23], v[18:19] offset1:8
	v_fma_f64 v[18:19], -v[32:33], v[36:37], v[20:21]
	v_mul_f64 v[12:13], v[12:13], -v[34:35]
	ds_write2_b64 v40, v[36:37], v[18:19] offset0:7 offset1:15
	v_mul_f64 v[14:15], v[14:15], v[28:29]
	v_mul_f64 v[18:19], v[34:35], v[28:29]
	v_fma_f64 v[10:11], -v[12:13], v[26:27], v[10:11]
	v_mul_f64 v[14:15], v[14:15], -v[34:35]
	ds_write2_b64 v38, v[10:11], v[12:13] offset1:8
	v_mul_f64 v[10:11], v[18:19], -v[26:27]
	v_mul_f64 v[20:21], v[34:35], v[30:31]
	ds_write2_b64 v9, v[10:11], v[18:19] offset1:8
	v_fma_f64 v[10:11], -v[14:15], v[32:33], v[16:17]
	ds_write2_b64 v39, v[14:15], v[10:11] offset0:7 offset1:15
	v_mul_f64 v[10:11], v[20:21], -v[32:33]
	ds_write2_b64 v42, v[20:21], v[10:11] offset0:7 offset1:15
.LBB103_8:
	;; [unrolled: 58-line block ×4, first 2 shown]
	s_or_b64 exec, exec, s[12:13]
	v_cmp_gt_u32_e64 s[12:13], 2, v0
	v_lshlrev_b32_e32 v12, 10, v0
	s_waitcnt lgkmcnt(0)
	s_barrier
	s_and_saveexec_b64 s[14:15], s[12:13]
	s_cbranch_execz .LBB103_14
; %bb.13:
	v_add_u32_e32 v13, 0x1f8, v12
	ds_read2st64_b64 v[14:17], v13 offset0:4 offset1:5
	ds_read2st64_b64 v[18:21], v12 offset0:8 offset1:9
	ds_read2st64_b64 v[22:25], v12 offset1:1
	ds_read2st64_b64 v[26:29], v13 offset0:12 offset1:13
	ds_read2st64_b64 v[30:33], v13 offset0:20 offset1:21
	s_waitcnt lgkmcnt(3)
	v_fma_f64 v[38:39], -v[20:21], v[14:15], 1.0
	v_div_scale_f64 v[40:41], s[16:17], v[38:39], v[38:39], 1.0
	v_rcp_f64_e32 v[42:43], v[40:41]
	v_div_scale_f64 v[44:45], vcc, 1.0, v[38:39], 1.0
	v_fma_f64 v[34:35], -v[40:41], v[42:43], 1.0
	v_fmac_f64_e32 v[42:43], v[42:43], v[34:35]
	v_fma_f64 v[34:35], -v[40:41], v[42:43], 1.0
	v_fmac_f64_e32 v[42:43], v[42:43], v[34:35]
	ds_read2st64_b64 v[34:37], v12 offset0:16 offset1:17
	v_mul_f64 v[46:47], v[44:45], v[42:43]
	v_fma_f64 v[40:41], -v[40:41], v[46:47], v[44:45]
	v_div_fmas_f64 v[40:41], v[40:41], v[42:43], v[46:47]
	v_div_fixup_f64 v[38:39], v[40:41], v[38:39], 1.0
	s_waitcnt lgkmcnt(0)
	v_fma_f64 v[40:41], -v[14:15], v[36:37], v[30:31]
	v_fma_f64 v[30:31], -v[20:21], v[30:31], v[36:37]
	v_mul_f64 v[14:15], v[14:15], v[24:25]
	v_mul_f64 v[20:21], v[20:21], v[26:27]
	;; [unrolled: 1-line block ×3, first 2 shown]
	v_mul_f64 v[14:15], v[14:15], -v[38:39]
	v_mul_f64 v[20:21], v[20:21], -v[38:39]
	v_mul_f64 v[40:41], v[38:39], v[40:41]
	v_fma_f64 v[34:35], -v[30:31], v[22:23], v[34:35]
	v_mul_f64 v[24:25], v[38:39], v[24:25]
	v_mul_f64 v[26:27], v[38:39], v[26:27]
	v_fma_f64 v[18:19], -v[20:21], v[22:23], v[18:19]
	v_fma_f64 v[16:17], -v[14:15], v[28:29], v[16:17]
	ds_write2st64_b64 v12, v[34:35], v[30:31] offset0:16 offset1:17
	v_fma_f64 v[30:31], -v[28:29], v[40:41], v[32:33]
	ds_write2st64_b64 v12, v[18:19], v[20:21] offset0:8 offset1:9
	v_mul_f64 v[18:19], v[24:25], -v[22:23]
	ds_write2st64_b64 v13, v[14:15], v[16:17] offset0:4 offset1:5
	v_mul_f64 v[14:15], v[26:27], -v[28:29]
	ds_write2st64_b64 v13, v[40:41], v[30:31] offset0:20 offset1:21
	ds_write2st64_b64 v12, v[18:19], v[24:25] offset1:1
	ds_write2st64_b64 v13, v[26:27], v[14:15] offset0:12 offset1:13
.LBB103_14:
	s_or_b64 exec, exec, s[14:15]
	v_cmp_eq_u32_e32 vcc, 0, v0
	s_waitcnt lgkmcnt(0)
	s_barrier
	s_and_saveexec_b64 s[14:15], vcc
	s_cbranch_execz .LBB103_16
; %bb.15:
	s_movk_i32 s16, 0x1400
	v_add_u32_e64 v40, s16, 0
	v_mov_b32_e32 v13, 0
	ds_read2_b64 v[14:17], v40 offset1:255
	ds_read_b64 v[30:31], v13 offset:3064
	ds_read_b64 v[32:33], v13 offset:12280
	v_mov_b32_e32 v42, 0x1ff8
	s_waitcnt lgkmcnt(1)
	v_fma_f64 v[22:23], -v[14:15], v[30:31], 1.0
	v_div_scale_f64 v[24:25], s[16:17], v[22:23], v[22:23], 1.0
	v_rcp_f64_e32 v[26:27], v[24:25]
	s_movk_i32 s16, 0x2400
	v_add_u32_e64 v41, s16, 0
	v_div_scale_f64 v[28:29], vcc, 1.0, v[22:23], 1.0
	v_fma_f64 v[18:19], -v[24:25], v[26:27], 1.0
	v_fmac_f64_e32 v[26:27], v[26:27], v[18:19]
	v_fma_f64 v[18:19], -v[24:25], v[26:27], 1.0
	v_fmac_f64_e32 v[26:27], v[26:27], v[18:19]
	ds_read2_b64 v[18:21], v41 offset1:255
	v_mul_f64 v[34:35], v[28:29], v[26:27]
	v_fma_f64 v[24:25], -v[24:25], v[34:35], v[28:29]
	v_div_fmas_f64 v[24:25], v[24:25], v[26:27], v[34:35]
	v_div_fixup_f64 v[34:35], v[24:25], v[22:23], 1.0
	s_waitcnt lgkmcnt(0)
	v_fma_f64 v[22:23], -v[30:31], v[18:19], v[20:21]
	v_fma_f64 v[26:27], -v[14:15], v[20:21], v[18:19]
	v_mul_f64 v[36:37], v[34:35], v[22:23]
	v_mul_f64 v[38:39], v[26:27], v[34:35]
	ds_read2_b64 v[18:21], v42 offset1:1
	ds_read2st64_b64 v[22:25], v13 offset1:2
	ds_write2_b64 v41, v[38:39], v[36:37] offset1:255
	v_mov_b32_e32 v41, 0xff8
	ds_read2_b64 v[26:29], v41 offset1:1
	v_mul_f64 v[14:15], v[14:15], v[16:17]
	s_waitcnt lgkmcnt(2)
	v_mul_f64 v[30:31], v[30:31], v[24:25]
	v_mul_f64 v[24:25], v[34:35], v[24:25]
	v_mul_f64 v[14:15], v[14:15], -v[34:35]
	v_mul_f64 v[16:17], v[34:35], v[16:17]
	v_fma_f64 v[20:21], -v[38:39], v[22:23], v[20:21]
	v_mul_f64 v[30:31], v[30:31], -v[34:35]
	ds_write2_b64 v40, v[14:15], v[16:17] offset1:255
	s_waitcnt lgkmcnt(1)
	v_fma_f64 v[14:15], -v[14:15], v[22:23], v[28:29]
	v_mul_f64 v[22:23], v[24:25], -v[22:23]
	ds_write2st64_b64 v13, v[22:23], v[24:25] offset1:2
	v_fma_f64 v[22:23], -v[30:31], v[18:19], v[26:27]
	v_fma_f64 v[32:33], -v[18:19], v[36:37], v[32:33]
	ds_write2_b64 v41, v[22:23], v[14:15] offset1:1
	v_mul_f64 v[14:15], v[16:17], -v[18:19]
	ds_write_b64 v13, v[32:33] offset:12280
	ds_write_b64 v13, v[30:31] offset:3064
	ds_write2_b64 v42, v[14:15], v[20:21] offset1:1
.LBB103_16:
	s_or_b64 exec, exec, s[14:15]
	s_waitcnt lgkmcnt(0)
	s_barrier
	s_and_saveexec_b64 s[14:15], s[12:13]
	s_cbranch_execz .LBB103_18
; %bb.17:
	v_max_u32_e32 v13, 1, v9
	v_add_u32_e32 v14, 0x2200, v12
	v_add_u32_e32 v18, 0x1200, v12
	v_min_u32_e32 v26, 0x7f, v9
	ds_read2_b64 v[14:17], v14 offset1:255
	ds_read2_b64 v[18:21], v18 offset1:255
	v_lshlrev_b32_e32 v13, 3, v13
	v_add_u32_e32 v22, 0x200, v12
	ds_read2_b64 v[22:25], v22 offset1:255
	v_lshlrev_b32_e32 v30, 3, v26
	ds_read_b64 v[26:27], v13 offset:10232
	ds_read_b64 v[28:29], v30 offset:9216
	s_waitcnt lgkmcnt(1)
	v_fma_f64 v[16:17], -v[20:21], v[26:27], v[16:17]
	s_waitcnt lgkmcnt(0)
	v_fma_f64 v[16:17], -v[24:25], v[28:29], v[16:17]
	ds_write_b64 v12, v[16:17] offset:10744
	ds_read_b64 v[16:17], v13 offset:10232
	s_waitcnt lgkmcnt(0)
	v_fma_f64 v[14:15], -v[18:19], v[16:17], v[14:15]
	ds_write_b64 v12, v[14:15] offset:8704
	ds_read_b64 v[16:17], v30 offset:9216
	s_waitcnt lgkmcnt(0)
	v_fma_f64 v[14:15], -v[22:23], v[16:17], v[14:15]
	ds_write_b64 v12, v[14:15] offset:8704
.LBB103_18:
	s_or_b64 exec, exec, s[14:15]
	s_waitcnt lgkmcnt(0)
	s_barrier
	s_and_saveexec_b64 s[12:13], s[10:11]
	s_cbranch_execz .LBB103_20
; %bb.19:
	v_max_u32_e32 v20, 1, v8
	v_add_u32_e32 v12, 0x2100, v11
	v_add_u32_e32 v16, 0x1100, v11
	v_min_u32_e32 v24, 0xbf, v8
	ds_read2_b64 v[12:15], v12 offset1:255
	ds_read2_b64 v[16:19], v16 offset1:255
	v_lshlrev_b32_e32 v28, 3, v20
	v_add_u32_e32 v20, 0x100, v11
	ds_read2_b64 v[20:23], v20 offset1:255
	v_lshlrev_b32_e32 v29, 3, v24
	ds_read_b64 v[24:25], v28 offset:10232
	ds_read_b64 v[26:27], v29 offset:8704
	s_waitcnt lgkmcnt(1)
	v_fma_f64 v[14:15], -v[18:19], v[24:25], v[14:15]
	s_waitcnt lgkmcnt(0)
	v_fma_f64 v[14:15], -v[22:23], v[26:27], v[14:15]
	ds_write_b64 v11, v[14:15] offset:10488
	ds_read_b64 v[14:15], v28 offset:10232
	s_waitcnt lgkmcnt(0)
	v_fma_f64 v[12:13], -v[16:17], v[14:15], v[12:13]
	ds_write_b64 v11, v[12:13] offset:8448
	ds_read_b64 v[14:15], v29 offset:8704
	s_waitcnt lgkmcnt(0)
	v_fma_f64 v[12:13], -v[20:21], v[14:15], v[12:13]
	ds_write_b64 v11, v[12:13] offset:8448
.LBB103_20:
	;; [unrolled: 32-line block ×3, first 2 shown]
	s_or_b64 exec, exec, s[10:11]
	v_lshlrev_b32_e32 v10, 4, v0
	s_waitcnt lgkmcnt(0)
	s_barrier
	s_and_saveexec_b64 s[8:9], s[6:7]
	s_cbranch_execz .LBB103_24
; %bb.23:
	v_max_u32_e32 v11, 1, v10
	v_add_u32_e32 v12, 0x2040, v9
	v_add_u32_e32 v16, 0x1040, v9
	v_min_u32_e32 v24, 0xef, v10
	ds_read2_b64 v[12:15], v12 offset1:255
	ds_read2_b64 v[16:19], v16 offset1:255
	v_lshlrev_b32_e32 v11, 3, v11
	v_add_u32_e32 v20, 64, v9
	ds_read2_b64 v[20:23], v20 offset1:255
	v_lshlrev_b32_e32 v28, 3, v24
	ds_read_b64 v[24:25], v11 offset:10232
	ds_read_b64 v[26:27], v28 offset:8320
	s_waitcnt lgkmcnt(1)
	v_fma_f64 v[14:15], -v[18:19], v[24:25], v[14:15]
	s_waitcnt lgkmcnt(0)
	v_fma_f64 v[14:15], -v[22:23], v[26:27], v[14:15]
	ds_write_b64 v9, v[14:15] offset:10296
	ds_read_b64 v[14:15], v11 offset:10232
	s_waitcnt lgkmcnt(0)
	v_fma_f64 v[12:13], -v[16:17], v[14:15], v[12:13]
	ds_write_b64 v9, v[12:13] offset:8256
	ds_read_b64 v[14:15], v28 offset:8320
	s_waitcnt lgkmcnt(0)
	v_fma_f64 v[12:13], -v[20:21], v[14:15], v[12:13]
	ds_write_b64 v9, v[12:13] offset:8256
.LBB103_24:
	s_or_b64 exec, exec, s[8:9]
	s_waitcnt lgkmcnt(0)
	s_barrier
	s_and_saveexec_b64 s[6:7], s[4:5]
	s_cbranch_execz .LBB103_26
; %bb.25:
	v_add_u32_e32 v11, 0x2020, v8
	v_max_u32_e32 v9, 1, v6
	ds_read2_b64 v[12:15], v11 offset1:255
	v_add_u32_e32 v11, 0x1020, v8
	v_min_u32_e32 v6, 0xf7, v6
	ds_read2_b64 v[16:19], v11 offset1:255
	v_lshlrev_b32_e32 v9, 3, v9
	v_add_u32_e32 v11, 32, v8
	ds_read2_b64 v[20:23], v11 offset1:255
	v_lshlrev_b32_e32 v6, 3, v6
	ds_read_b64 v[24:25], v9 offset:10232
	ds_read_b64 v[26:27], v6 offset:8256
	s_waitcnt lgkmcnt(1)
	v_fma_f64 v[14:15], -v[18:19], v[24:25], v[14:15]
	s_waitcnt lgkmcnt(0)
	v_fma_f64 v[14:15], -v[22:23], v[26:27], v[14:15]
	ds_write_b64 v8, v[14:15] offset:10264
	ds_read_b64 v[14:15], v9 offset:10232
	s_waitcnt lgkmcnt(0)
	v_fma_f64 v[12:13], -v[16:17], v[14:15], v[12:13]
	ds_write_b64 v8, v[12:13] offset:8224
	ds_read_b64 v[14:15], v6 offset:8256
	s_waitcnt lgkmcnt(0)
	v_fma_f64 v[12:13], -v[20:21], v[14:15], v[12:13]
	ds_write_b64 v8, v[12:13] offset:8224
.LBB103_26:
	s_or_b64 exec, exec, s[6:7]
	s_waitcnt lgkmcnt(0)
	s_barrier
	s_and_saveexec_b64 s[4:5], s[2:3]
	s_cbranch_execz .LBB103_28
; %bb.27:
	v_lshlrev_b32_e32 v6, 2, v0
	v_add_u32_e32 v9, 0x2010, v7
	v_max_u32_e32 v8, 1, v6
	ds_read2_b64 v[12:15], v9 offset1:255
	v_add_u32_e32 v9, 0x1010, v7
	v_min_u32_e32 v6, 0xfb, v6
	ds_read2_b64 v[16:19], v9 offset1:255
	v_lshlrev_b32_e32 v11, 3, v8
	v_add_u32_e32 v8, 16, v7
	ds_read2_b64 v[20:23], v8 offset1:255
	v_lshlrev_b32_e32 v6, 3, v6
	ds_read_b64 v[8:9], v11 offset:10232
	ds_read_b64 v[24:25], v6 offset:8224
	s_waitcnt lgkmcnt(1)
	v_fma_f64 v[8:9], -v[18:19], v[8:9], v[14:15]
	s_waitcnt lgkmcnt(0)
	v_fma_f64 v[8:9], -v[22:23], v[24:25], v[8:9]
	ds_write_b64 v7, v[8:9] offset:10248
	ds_read_b64 v[8:9], v11 offset:10232
	s_waitcnt lgkmcnt(0)
	v_fma_f64 v[8:9], -v[16:17], v[8:9], v[12:13]
	ds_write_b64 v7, v[8:9] offset:8208
	ds_read_b64 v[12:13], v6 offset:8224
	s_waitcnt lgkmcnt(0)
	v_fma_f64 v[8:9], -v[20:21], v[12:13], v[8:9]
	ds_write_b64 v7, v[8:9] offset:8208
.LBB103_28:
	s_or_b64 exec, exec, s[4:5]
	s_waitcnt lgkmcnt(0)
	s_barrier
	s_and_saveexec_b64 s[2:3], s[0:1]
	s_cbranch_execz .LBB103_30
; %bb.29:
	v_lshlrev_b32_e32 v0, 1, v0
	v_max_u32_e32 v11, 1, v0
	v_add_u32_e32 v6, 0x2008, v10
	v_add_u32_e32 v12, 0x1008, v10
	v_min_u32_e32 v0, 0xfd, v0
	ds_read2_b64 v[6:9], v6 offset1:255
	ds_read2_b64 v[12:15], v12 offset1:255
	v_lshlrev_b32_e32 v11, 3, v11
	v_add_u32_e32 v16, 8, v10
	ds_read2_b64 v[16:19], v16 offset1:255
	v_lshlrev_b32_e32 v0, 3, v0
	ds_read_b64 v[20:21], v11 offset:10232
	ds_read_b64 v[22:23], v0 offset:8208
	s_waitcnt lgkmcnt(1)
	v_fma_f64 v[8:9], -v[14:15], v[20:21], v[8:9]
	s_waitcnt lgkmcnt(0)
	v_fma_f64 v[8:9], -v[18:19], v[22:23], v[8:9]
	ds_write_b64 v10, v[8:9] offset:10240
	ds_read_b64 v[8:9], v11 offset:10232
	s_waitcnt lgkmcnt(0)
	v_fma_f64 v[6:7], -v[12:13], v[8:9], v[6:7]
	ds_write_b64 v10, v[6:7] offset:8200
	ds_read_b64 v[8:9], v0 offset:8208
	s_waitcnt lgkmcnt(0)
	v_fma_f64 v[6:7], -v[16:17], v[8:9], v[6:7]
	ds_write_b64 v10, v[6:7] offset:8200
.LBB103_30:
	s_or_b64 exec, exec, s[2:3]
	s_waitcnt lgkmcnt(0)
	s_barrier
	ds_read2st64_b64 v[6:9], v1 offset1:4
	s_waitcnt lgkmcnt(0)
	global_store_dwordx2 v[2:3], v[6:7], off
	global_store_dwordx2 v[4:5], v[8:9], off
	s_endpgm
	.section	.rodata,"a",@progbits
	.p2align	6, 0x0
	.amdhsa_kernel _ZN9rocsparseL34gtsv_solve_spike_grid_level_kernelILj256EdEEviiiPT0_PKS1_S4_
		.amdhsa_group_segment_fixed_size 12288
		.amdhsa_private_segment_fixed_size 0
		.amdhsa_kernarg_size 40
		.amdhsa_user_sgpr_count 2
		.amdhsa_user_sgpr_dispatch_ptr 0
		.amdhsa_user_sgpr_queue_ptr 0
		.amdhsa_user_sgpr_kernarg_segment_ptr 1
		.amdhsa_user_sgpr_dispatch_id 0
		.amdhsa_user_sgpr_kernarg_preload_length 0
		.amdhsa_user_sgpr_kernarg_preload_offset 0
		.amdhsa_user_sgpr_private_segment_size 0
		.amdhsa_uses_dynamic_stack 0
		.amdhsa_enable_private_segment 0
		.amdhsa_system_sgpr_workgroup_id_x 1
		.amdhsa_system_sgpr_workgroup_id_y 1
		.amdhsa_system_sgpr_workgroup_id_z 0
		.amdhsa_system_sgpr_workgroup_info 0
		.amdhsa_system_vgpr_workitem_id 0
		.amdhsa_next_free_vgpr 48
		.amdhsa_next_free_sgpr 18
		.amdhsa_accum_offset 48
		.amdhsa_reserve_vcc 1
		.amdhsa_float_round_mode_32 0
		.amdhsa_float_round_mode_16_64 0
		.amdhsa_float_denorm_mode_32 3
		.amdhsa_float_denorm_mode_16_64 3
		.amdhsa_dx10_clamp 1
		.amdhsa_ieee_mode 1
		.amdhsa_fp16_overflow 0
		.amdhsa_tg_split 0
		.amdhsa_exception_fp_ieee_invalid_op 0
		.amdhsa_exception_fp_denorm_src 0
		.amdhsa_exception_fp_ieee_div_zero 0
		.amdhsa_exception_fp_ieee_overflow 0
		.amdhsa_exception_fp_ieee_underflow 0
		.amdhsa_exception_fp_ieee_inexact 0
		.amdhsa_exception_int_div_zero 0
	.end_amdhsa_kernel
	.section	.text._ZN9rocsparseL34gtsv_solve_spike_grid_level_kernelILj256EdEEviiiPT0_PKS1_S4_,"axG",@progbits,_ZN9rocsparseL34gtsv_solve_spike_grid_level_kernelILj256EdEEviiiPT0_PKS1_S4_,comdat
.Lfunc_end103:
	.size	_ZN9rocsparseL34gtsv_solve_spike_grid_level_kernelILj256EdEEviiiPT0_PKS1_S4_, .Lfunc_end103-_ZN9rocsparseL34gtsv_solve_spike_grid_level_kernelILj256EdEEviiiPT0_PKS1_S4_
                                        ; -- End function
	.set _ZN9rocsparseL34gtsv_solve_spike_grid_level_kernelILj256EdEEviiiPT0_PKS1_S4_.num_vgpr, 48
	.set _ZN9rocsparseL34gtsv_solve_spike_grid_level_kernelILj256EdEEviiiPT0_PKS1_S4_.num_agpr, 0
	.set _ZN9rocsparseL34gtsv_solve_spike_grid_level_kernelILj256EdEEviiiPT0_PKS1_S4_.numbered_sgpr, 18
	.set _ZN9rocsparseL34gtsv_solve_spike_grid_level_kernelILj256EdEEviiiPT0_PKS1_S4_.num_named_barrier, 0
	.set _ZN9rocsparseL34gtsv_solve_spike_grid_level_kernelILj256EdEEviiiPT0_PKS1_S4_.private_seg_size, 0
	.set _ZN9rocsparseL34gtsv_solve_spike_grid_level_kernelILj256EdEEviiiPT0_PKS1_S4_.uses_vcc, 1
	.set _ZN9rocsparseL34gtsv_solve_spike_grid_level_kernelILj256EdEEviiiPT0_PKS1_S4_.uses_flat_scratch, 0
	.set _ZN9rocsparseL34gtsv_solve_spike_grid_level_kernelILj256EdEEviiiPT0_PKS1_S4_.has_dyn_sized_stack, 0
	.set _ZN9rocsparseL34gtsv_solve_spike_grid_level_kernelILj256EdEEviiiPT0_PKS1_S4_.has_recursion, 0
	.set _ZN9rocsparseL34gtsv_solve_spike_grid_level_kernelILj256EdEEviiiPT0_PKS1_S4_.has_indirect_call, 0
	.section	.AMDGPU.csdata,"",@progbits
; Kernel info:
; codeLenInByte = 4652
; TotalNumSgprs: 24
; NumVgprs: 48
; NumAgprs: 0
; TotalNumVgprs: 48
; ScratchSize: 0
; MemoryBound: 1
; FloatMode: 240
; IeeeMode: 1
; LDSByteSize: 12288 bytes/workgroup (compile time only)
; SGPRBlocks: 2
; VGPRBlocks: 5
; NumSGPRsForWavesPerEU: 24
; NumVGPRsForWavesPerEU: 48
; AccumOffset: 48
; Occupancy: 8
; WaveLimiterHint : 1
; COMPUTE_PGM_RSRC2:SCRATCH_EN: 0
; COMPUTE_PGM_RSRC2:USER_SGPR: 2
; COMPUTE_PGM_RSRC2:TRAP_HANDLER: 0
; COMPUTE_PGM_RSRC2:TGID_X_EN: 1
; COMPUTE_PGM_RSRC2:TGID_Y_EN: 1
; COMPUTE_PGM_RSRC2:TGID_Z_EN: 0
; COMPUTE_PGM_RSRC2:TIDIG_COMP_CNT: 0
; COMPUTE_PGM_RSRC3_GFX90A:ACCUM_OFFSET: 11
; COMPUTE_PGM_RSRC3_GFX90A:TG_SPLIT: 0
	.section	.text._ZN9rocsparseL34gtsv_solve_spike_grid_level_kernelILj512EdEEviiiPT0_PKS1_S4_,"axG",@progbits,_ZN9rocsparseL34gtsv_solve_spike_grid_level_kernelILj512EdEEviiiPT0_PKS1_S4_,comdat
	.globl	_ZN9rocsparseL34gtsv_solve_spike_grid_level_kernelILj512EdEEviiiPT0_PKS1_S4_ ; -- Begin function _ZN9rocsparseL34gtsv_solve_spike_grid_level_kernelILj512EdEEviiiPT0_PKS1_S4_
	.p2align	8
	.type	_ZN9rocsparseL34gtsv_solve_spike_grid_level_kernelILj512EdEEviiiPT0_PKS1_S4_,@function
_ZN9rocsparseL34gtsv_solve_spike_grid_level_kernelILj512EdEEviiiPT0_PKS1_S4_: ; @_ZN9rocsparseL34gtsv_solve_spike_grid_level_kernelILj512EdEEviiiPT0_PKS1_S4_
; %bb.0:
	s_load_dwordx4 s[4:7], s[0:1], 0x10
	s_load_dwordx2 s[8:9], s[0:1], 0x20
	v_lshlrev_b32_e32 v6, 3, v0
	v_mov_b32_e32 v7, 0
	v_lshl_or_b32 v4, s3, 10, v0
	s_waitcnt lgkmcnt(0)
	v_lshl_add_u64 v[2:3], s[6:7], 0, v[6:7]
	v_add_co_u32_e32 v2, vcc, 0x1000, v2
	v_mov_b32_e32 v5, v7
	s_nop 0
	v_addc_co_u32_e32 v3, vcc, 0, v3, vcc
	global_load_dwordx2 v[8:9], v[2:3], off
	v_lshl_add_u64 v[2:3], s[8:9], 0, v[6:7]
	v_add_co_u32_e32 v10, vcc, 0x1000, v2
	s_movk_i32 s0, 0x100
	s_nop 0
	v_addc_co_u32_e32 v11, vcc, 0, v3, vcc
	v_lshl_add_u64 v[2:3], v[4:5], 3, s[4:5]
	v_or_b32_e32 v4, 0x200, v4
	v_lshl_add_u64 v[4:5], v[4:5], 3, s[4:5]
	global_load_dwordx2 v[12:13], v[2:3], off
	global_load_dwordx2 v[14:15], v[4:5], off
	global_load_dwordx2 v[16:17], v6, s[6:7]
	global_load_dwordx2 v[18:19], v6, s[8:9]
	global_load_dwordx2 v[20:21], v[10:11], off
	v_or_b32_e32 v7, 0x2000, v6
	v_or_b32_e32 v1, 0x4000, v6
	v_cmp_gt_u32_e64 s[0:1], s0, v0
	s_waitcnt vmcnt(3)
	ds_write2st64_b64 v6, v[12:13], v[14:15] offset0:32 offset1:40
	s_waitcnt vmcnt(2)
	ds_write2st64_b64 v6, v[16:17], v[8:9] offset0:16 offset1:24
	s_waitcnt vmcnt(0)
	ds_write2st64_b64 v6, v[18:19], v[20:21] offset1:8
	s_waitcnt lgkmcnt(0)
	s_barrier
	s_and_saveexec_b64 s[2:3], s[0:1]
	s_cbranch_execz .LBB104_2
; %bb.1:
	v_add_u32_e32 v42, v7, v6
	ds_read_b128 v[8:11], v42
	v_add_u32_e32 v43, v6, v6
	ds_read_b128 v[12:15], v43 offset:4096
	ds_read_b128 v[16:19], v43
	ds_read_b128 v[20:23], v42 offset:4096
	v_add_u32_e32 v44, v1, v6
	s_waitcnt lgkmcnt(2)
	v_fma_f64 v[32:33], -v[10:11], v[12:13], 1.0
	v_div_scale_f64 v[34:35], s[4:5], v[32:33], v[32:33], 1.0
	v_rcp_f64_e32 v[36:37], v[34:35]
	v_div_scale_f64 v[38:39], vcc, 1.0, v[32:33], 1.0
	v_fma_f64 v[24:25], -v[34:35], v[36:37], 1.0
	v_fmac_f64_e32 v[36:37], v[36:37], v[24:25]
	v_fma_f64 v[24:25], -v[34:35], v[36:37], 1.0
	v_fmac_f64_e32 v[36:37], v[36:37], v[24:25]
	ds_read_b128 v[24:27], v44 offset:4096
	ds_read_b128 v[28:31], v44
	v_mul_f64 v[40:41], v[38:39], v[36:37]
	v_fma_f64 v[34:35], -v[34:35], v[40:41], v[38:39]
	v_div_fmas_f64 v[34:35], v[34:35], v[36:37], v[40:41]
	v_div_fixup_f64 v[36:37], v[34:35], v[32:33], 1.0
	s_waitcnt lgkmcnt(0)
	v_fma_f64 v[32:33], -v[12:13], v[30:31], v[24:25]
	v_fma_f64 v[24:25], -v[10:11], v[24:25], v[30:31]
	v_mul_f64 v[12:13], v[12:13], v[18:19]
	v_mul_f64 v[10:11], v[10:11], v[20:21]
	v_mul_f64 v[32:33], v[36:37], v[32:33]
	v_mul_f64 v[30:31], v[24:25], v[36:37]
	v_mul_f64 v[12:13], v[12:13], -v[36:37]
	v_mul_f64 v[18:19], v[36:37], v[18:19]
	v_mul_f64 v[10:11], v[10:11], -v[36:37]
	v_mul_f64 v[20:21], v[36:37], v[20:21]
	v_fma_f64 v[28:29], -v[30:31], v[16:17], v[28:29]
	v_fma_f64 v[34:35], -v[22:23], v[32:33], v[26:27]
	;; [unrolled: 1-line block ×3, first 2 shown]
	v_mul_f64 v[16:17], v[18:19], -v[16:17]
	v_fma_f64 v[14:15], -v[12:13], v[22:23], v[14:15]
	v_mul_f64 v[22:23], v[20:21], -v[22:23]
	ds_write_b128 v44, v[28:31]
	ds_write_b128 v44, v[32:35] offset:4096
	ds_write_b128 v42, v[8:11]
	ds_write_b128 v43, v[16:19]
	ds_write_b128 v43, v[12:15] offset:4096
	ds_write_b128 v42, v[20:23] offset:4096
.LBB104_2:
	s_or_b64 exec, exec, s[2:3]
	s_movk_i32 s2, 0x80
	v_cmp_gt_u32_e64 s[2:3], s2, v0
	s_waitcnt lgkmcnt(0)
	s_barrier
	s_and_saveexec_b64 s[4:5], s[2:3]
	s_cbranch_execz .LBB104_4
; %bb.3:
	v_mad_u32_u24 v36, v0, 24, v6
	v_mad_u32_u24 v7, v0, 24, v7
	v_add_u32_e32 v37, 0x1000, v36
	ds_read2_b64 v[8:11], v7 offset1:2
	ds_read2_b64 v[12:15], v37 offset0:1 offset1:3
	v_mad_u32_u24 v38, v0, 24, v1
	v_add_u32_e32 v39, 0x1000, v38
	v_add_u32_e32 v40, 0x1000, v7
	s_waitcnt lgkmcnt(0)
	v_fma_f64 v[24:25], -v[10:11], v[12:13], 1.0
	v_div_scale_f64 v[26:27], s[6:7], v[24:25], v[24:25], 1.0
	v_rcp_f64_e32 v[28:29], v[26:27]
	v_div_scale_f64 v[30:31], vcc, 1.0, v[24:25], 1.0
	v_fma_f64 v[16:17], -v[26:27], v[28:29], 1.0
	v_fmac_f64_e32 v[28:29], v[28:29], v[16:17]
	v_fma_f64 v[16:17], -v[26:27], v[28:29], 1.0
	v_fmac_f64_e32 v[28:29], v[28:29], v[16:17]
	ds_read2_b64 v[16:19], v39 offset0:1 offset1:3
	ds_read2_b64 v[20:23], v38 offset1:2
	v_mul_f64 v[32:33], v[30:31], v[28:29]
	v_fma_f64 v[26:27], -v[26:27], v[32:33], v[30:31]
	v_div_fmas_f64 v[26:27], v[26:27], v[28:29], v[32:33]
	v_div_fixup_f64 v[32:33], v[26:27], v[24:25], 1.0
	s_waitcnt lgkmcnt(0)
	v_fma_f64 v[24:25], -v[12:13], v[22:23], v[16:17]
	v_mul_f64 v[34:35], v[32:33], v[24:25]
	ds_read2_b64 v[24:27], v36 offset1:2
	ds_read2_b64 v[28:31], v40 offset0:1 offset1:3
	v_fma_f64 v[16:17], -v[10:11], v[16:17], v[22:23]
	v_mul_f64 v[16:17], v[16:17], v[32:33]
	s_waitcnt lgkmcnt(1)
	v_fma_f64 v[20:21], -v[16:17], v[24:25], v[20:21]
	s_waitcnt lgkmcnt(0)
	v_mul_f64 v[10:11], v[10:11], v[28:29]
	ds_write2_b64 v38, v[20:21], v[16:17] offset1:2
	v_fma_f64 v[16:17], -v[30:31], v[34:35], v[18:19]
	v_mul_f64 v[10:11], v[10:11], -v[32:33]
	ds_write2_b64 v39, v[34:35], v[16:17] offset0:1 offset1:3
	v_mul_f64 v[12:13], v[12:13], v[26:27]
	v_mul_f64 v[16:17], v[32:33], v[26:27]
	v_fma_f64 v[8:9], -v[10:11], v[24:25], v[8:9]
	v_mul_f64 v[12:13], v[12:13], -v[32:33]
	ds_write2_b64 v7, v[8:9], v[10:11] offset1:2
	v_mul_f64 v[8:9], v[16:17], -v[24:25]
	v_mul_f64 v[18:19], v[32:33], v[28:29]
	ds_write2_b64 v36, v[8:9], v[16:17] offset1:2
	v_fma_f64 v[8:9], -v[12:13], v[30:31], v[14:15]
	ds_write2_b64 v37, v[12:13], v[8:9] offset0:1 offset1:3
	v_mul_f64 v[8:9], v[18:19], -v[30:31]
	ds_write2_b64 v40, v[18:19], v[8:9] offset0:1 offset1:3
.LBB104_4:
	s_or_b64 exec, exec, s[4:5]
	v_cmp_gt_u32_e64 s[4:5], 64, v0
	v_lshlrev_b32_e32 v7, 6, v0
	s_waitcnt lgkmcnt(0)
	s_barrier
	s_and_saveexec_b64 s[6:7], s[4:5]
	s_cbranch_execz .LBB104_6
; %bb.5:
	v_add_u32_e32 v36, 0x2000, v7
	v_add_u32_e32 v37, 0x1000, v7
	ds_read2_b64 v[8:11], v36 offset1:4
	ds_read2_b64 v[12:15], v37 offset0:3 offset1:7
	v_add_u32_e32 v38, 0x5000, v7
	v_add_u32_e32 v39, 0x4000, v7
	ds_read2_b64 v[16:19], v38 offset0:3 offset1:7
	v_add_u32_e32 v40, 0x3000, v7
	s_waitcnt lgkmcnt(1)
	v_fma_f64 v[24:25], -v[10:11], v[12:13], 1.0
	v_div_scale_f64 v[26:27], s[8:9], v[24:25], v[24:25], 1.0
	v_rcp_f64_e32 v[28:29], v[26:27]
	v_div_scale_f64 v[30:31], vcc, 1.0, v[24:25], 1.0
	v_fma_f64 v[20:21], -v[26:27], v[28:29], 1.0
	v_fmac_f64_e32 v[28:29], v[28:29], v[20:21]
	v_fma_f64 v[20:21], -v[26:27], v[28:29], 1.0
	v_fmac_f64_e32 v[28:29], v[28:29], v[20:21]
	ds_read2_b64 v[20:23], v39 offset1:4
	v_mul_f64 v[32:33], v[30:31], v[28:29]
	v_fma_f64 v[26:27], -v[26:27], v[32:33], v[30:31]
	v_div_fmas_f64 v[26:27], v[26:27], v[28:29], v[32:33]
	v_div_fixup_f64 v[32:33], v[26:27], v[24:25], 1.0
	s_waitcnt lgkmcnt(0)
	v_fma_f64 v[24:25], -v[12:13], v[22:23], v[16:17]
	v_mul_f64 v[34:35], v[32:33], v[24:25]
	ds_read2_b64 v[24:27], v7 offset1:4
	ds_read2_b64 v[28:31], v40 offset0:3 offset1:7
	v_fma_f64 v[16:17], -v[10:11], v[16:17], v[22:23]
	v_mul_f64 v[16:17], v[16:17], v[32:33]
	s_waitcnt lgkmcnt(1)
	v_fma_f64 v[20:21], -v[16:17], v[24:25], v[20:21]
	s_waitcnt lgkmcnt(0)
	v_mul_f64 v[10:11], v[10:11], v[28:29]
	ds_write2_b64 v39, v[20:21], v[16:17] offset1:4
	v_fma_f64 v[16:17], -v[30:31], v[34:35], v[18:19]
	v_mul_f64 v[10:11], v[10:11], -v[32:33]
	ds_write2_b64 v38, v[34:35], v[16:17] offset0:3 offset1:7
	v_mul_f64 v[12:13], v[12:13], v[26:27]
	v_mul_f64 v[16:17], v[32:33], v[26:27]
	v_fma_f64 v[8:9], -v[10:11], v[24:25], v[8:9]
	v_mul_f64 v[12:13], v[12:13], -v[32:33]
	ds_write2_b64 v36, v[8:9], v[10:11] offset1:4
	v_mul_f64 v[8:9], v[16:17], -v[24:25]
	v_mul_f64 v[18:19], v[32:33], v[28:29]
	ds_write2_b64 v7, v[8:9], v[16:17] offset1:4
	v_fma_f64 v[8:9], -v[12:13], v[30:31], v[14:15]
	ds_write2_b64 v37, v[12:13], v[8:9] offset0:3 offset1:7
	v_mul_f64 v[8:9], v[18:19], -v[30:31]
	ds_write2_b64 v40, v[18:19], v[8:9] offset0:3 offset1:7
.LBB104_6:
	s_or_b64 exec, exec, s[6:7]
	v_cmp_gt_u32_e64 s[6:7], 32, v0
	v_lshlrev_b32_e32 v8, 7, v0
	s_waitcnt lgkmcnt(0)
	s_barrier
	s_and_saveexec_b64 s[8:9], s[6:7]
	s_cbranch_execz .LBB104_8
; %bb.7:
	v_add_u32_e32 v9, 0x2000, v8
	v_add_u32_e32 v38, 0x1000, v8
	ds_read2_b64 v[10:13], v9 offset1:8
	ds_read2_b64 v[14:17], v38 offset0:7 offset1:15
	v_add_u32_e32 v39, 0x5000, v8
	v_add_u32_e32 v40, 0x4000, v8
	ds_read2_b64 v[18:21], v39 offset0:7 offset1:15
	v_add_u32_e32 v41, 0x3000, v8
	s_waitcnt lgkmcnt(1)
	v_fma_f64 v[26:27], -v[12:13], v[14:15], 1.0
	v_div_scale_f64 v[28:29], s[10:11], v[26:27], v[26:27], 1.0
	v_rcp_f64_e32 v[30:31], v[28:29]
	v_div_scale_f64 v[32:33], vcc, 1.0, v[26:27], 1.0
	v_fma_f64 v[22:23], -v[28:29], v[30:31], 1.0
	v_fmac_f64_e32 v[30:31], v[30:31], v[22:23]
	v_fma_f64 v[22:23], -v[28:29], v[30:31], 1.0
	v_fmac_f64_e32 v[30:31], v[30:31], v[22:23]
	ds_read2_b64 v[22:25], v40 offset1:8
	v_mul_f64 v[34:35], v[32:33], v[30:31]
	v_fma_f64 v[28:29], -v[28:29], v[34:35], v[32:33]
	v_div_fmas_f64 v[28:29], v[28:29], v[30:31], v[34:35]
	v_div_fixup_f64 v[34:35], v[28:29], v[26:27], 1.0
	s_waitcnt lgkmcnt(0)
	v_fma_f64 v[26:27], -v[14:15], v[24:25], v[18:19]
	v_mul_f64 v[36:37], v[34:35], v[26:27]
	ds_read2_b64 v[26:29], v8 offset1:8
	ds_read2_b64 v[30:33], v41 offset0:7 offset1:15
	v_fma_f64 v[18:19], -v[12:13], v[18:19], v[24:25]
	v_mul_f64 v[18:19], v[18:19], v[34:35]
	s_waitcnt lgkmcnt(1)
	v_fma_f64 v[22:23], -v[18:19], v[26:27], v[22:23]
	s_waitcnt lgkmcnt(0)
	v_mul_f64 v[12:13], v[12:13], v[30:31]
	ds_write2_b64 v40, v[22:23], v[18:19] offset1:8
	v_fma_f64 v[18:19], -v[32:33], v[36:37], v[20:21]
	v_mul_f64 v[12:13], v[12:13], -v[34:35]
	ds_write2_b64 v39, v[36:37], v[18:19] offset0:7 offset1:15
	v_mul_f64 v[14:15], v[14:15], v[28:29]
	v_mul_f64 v[18:19], v[34:35], v[28:29]
	v_fma_f64 v[10:11], -v[12:13], v[26:27], v[10:11]
	v_mul_f64 v[14:15], v[14:15], -v[34:35]
	ds_write2_b64 v9, v[10:11], v[12:13] offset1:8
	v_mul_f64 v[10:11], v[18:19], -v[26:27]
	v_mul_f64 v[20:21], v[34:35], v[30:31]
	ds_write2_b64 v8, v[10:11], v[18:19] offset1:8
	v_fma_f64 v[10:11], -v[14:15], v[32:33], v[16:17]
	ds_write2_b64 v38, v[14:15], v[10:11] offset0:7 offset1:15
	v_mul_f64 v[10:11], v[20:21], -v[32:33]
	ds_write2_b64 v41, v[20:21], v[10:11] offset0:7 offset1:15
.LBB104_8:
	;; [unrolled: 58-line block ×4, first 2 shown]
	s_or_b64 exec, exec, s[12:13]
	v_cmp_gt_u32_e64 s[12:13], 4, v0
	v_lshlrev_b32_e32 v11, 10, v0
	s_waitcnt lgkmcnt(0)
	s_barrier
	s_and_saveexec_b64 s[14:15], s[12:13]
	s_cbranch_execz .LBB104_14
; %bb.13:
	v_add_u32_e32 v46, 0x1f8, v11
	ds_read2st64_b64 v[12:15], v46 offset0:8 offset1:9
	ds_read2st64_b64 v[16:19], v11 offset0:16 offset1:17
	ds_read2st64_b64 v[20:23], v11 offset1:1
	ds_read2st64_b64 v[24:27], v46 offset0:24 offset1:25
	ds_read2st64_b64 v[28:31], v46 offset0:40 offset1:41
	s_waitcnt lgkmcnt(3)
	v_fma_f64 v[36:37], -v[18:19], v[12:13], 1.0
	v_div_scale_f64 v[38:39], s[16:17], v[36:37], v[36:37], 1.0
	v_rcp_f64_e32 v[40:41], v[38:39]
	v_div_scale_f64 v[42:43], vcc, 1.0, v[36:37], 1.0
	v_fma_f64 v[32:33], -v[38:39], v[40:41], 1.0
	v_fmac_f64_e32 v[40:41], v[40:41], v[32:33]
	v_fma_f64 v[32:33], -v[38:39], v[40:41], 1.0
	v_fmac_f64_e32 v[40:41], v[40:41], v[32:33]
	ds_read2st64_b64 v[32:35], v11 offset0:32 offset1:33
	v_mul_f64 v[44:45], v[42:43], v[40:41]
	v_fma_f64 v[38:39], -v[38:39], v[44:45], v[42:43]
	v_div_fmas_f64 v[38:39], v[38:39], v[40:41], v[44:45]
	v_div_fixup_f64 v[36:37], v[38:39], v[36:37], 1.0
	s_waitcnt lgkmcnt(0)
	v_fma_f64 v[38:39], -v[12:13], v[34:35], v[28:29]
	v_fma_f64 v[28:29], -v[18:19], v[28:29], v[34:35]
	v_mul_f64 v[12:13], v[12:13], v[22:23]
	v_mul_f64 v[18:19], v[18:19], v[24:25]
	;; [unrolled: 1-line block ×3, first 2 shown]
	v_mul_f64 v[12:13], v[12:13], -v[36:37]
	v_mul_f64 v[18:19], v[18:19], -v[36:37]
	v_mul_f64 v[38:39], v[36:37], v[38:39]
	v_fma_f64 v[32:33], -v[28:29], v[20:21], v[32:33]
	v_mul_f64 v[22:23], v[36:37], v[22:23]
	v_mul_f64 v[24:25], v[36:37], v[24:25]
	v_fma_f64 v[16:17], -v[18:19], v[20:21], v[16:17]
	v_fma_f64 v[14:15], -v[12:13], v[26:27], v[14:15]
	ds_write2st64_b64 v11, v[32:33], v[28:29] offset0:32 offset1:33
	v_fma_f64 v[28:29], -v[26:27], v[38:39], v[30:31]
	ds_write2st64_b64 v11, v[16:17], v[18:19] offset0:16 offset1:17
	v_mul_f64 v[16:17], v[22:23], -v[20:21]
	ds_write2st64_b64 v46, v[12:13], v[14:15] offset0:8 offset1:9
	v_mul_f64 v[12:13], v[24:25], -v[26:27]
	ds_write2st64_b64 v46, v[38:39], v[28:29] offset0:40 offset1:41
	ds_write2st64_b64 v11, v[16:17], v[22:23] offset1:1
	ds_write2st64_b64 v46, v[24:25], v[12:13] offset0:24 offset1:25
.LBB104_14:
	s_or_b64 exec, exec, s[14:15]
	v_cmp_gt_u32_e64 s[14:15], 2, v0
	v_lshlrev_b32_e32 v12, 11, v0
	s_waitcnt lgkmcnt(0)
	s_barrier
	s_and_saveexec_b64 s[16:17], s[14:15]
	s_cbranch_execz .LBB104_16
; %bb.15:
	ds_read2st64_b64 v[14:17], v12 offset0:16 offset1:18
	v_add_u32_e32 v13, 0x1f8, v12
	ds_read2st64_b64 v[18:21], v13 offset0:9 offset1:11
	ds_read2st64_b64 v[22:25], v12 offset0:32 offset1:34
	ds_read2st64_b64 v[26:29], v13 offset0:41 offset1:43
	s_waitcnt lgkmcnt(2)
	v_fma_f64 v[30:31], -v[16:17], v[18:19], 1.0
	v_div_scale_f64 v[32:33], s[18:19], v[30:31], v[30:31], 1.0
	v_rcp_f64_e32 v[34:35], v[32:33]
	v_div_scale_f64 v[36:37], vcc, 1.0, v[30:31], 1.0
	v_fma_f64 v[38:39], -v[32:33], v[34:35], 1.0
	v_fmac_f64_e32 v[34:35], v[34:35], v[38:39]
	v_fma_f64 v[38:39], -v[32:33], v[34:35], 1.0
	v_fmac_f64_e32 v[34:35], v[34:35], v[38:39]
	v_mul_f64 v[38:39], v[36:37], v[34:35]
	v_fma_f64 v[32:33], -v[32:33], v[38:39], v[36:37]
	v_div_fmas_f64 v[32:33], v[32:33], v[34:35], v[38:39]
	v_div_fixup_f64 v[38:39], v[32:33], v[30:31], 1.0
	s_waitcnt lgkmcnt(0)
	v_fma_f64 v[34:35], -v[18:19], v[24:25], v[26:27]
	ds_read2st64_b64 v[30:33], v12 offset1:2
	v_mul_f64 v[40:41], v[38:39], v[34:35]
	ds_read2st64_b64 v[34:37], v13 offset0:25 offset1:27
	v_fma_f64 v[24:25], -v[16:17], v[26:27], v[24:25]
	v_mul_f64 v[24:25], v[24:25], v[38:39]
	s_waitcnt lgkmcnt(1)
	v_fma_f64 v[22:23], -v[24:25], v[30:31], v[22:23]
	ds_write2st64_b64 v12, v[22:23], v[24:25] offset0:32 offset1:34
	s_waitcnt lgkmcnt(1)
	v_mul_f64 v[16:17], v[16:17], v[34:35]
	v_fma_f64 v[22:23], -v[36:37], v[40:41], v[28:29]
	v_mul_f64 v[16:17], v[16:17], -v[38:39]
	ds_write2st64_b64 v13, v[40:41], v[22:23] offset0:41 offset1:43
	v_mul_f64 v[18:19], v[18:19], v[32:33]
	v_mul_f64 v[22:23], v[38:39], v[32:33]
	v_fma_f64 v[14:15], -v[16:17], v[30:31], v[14:15]
	v_mul_f64 v[18:19], v[18:19], -v[38:39]
	ds_write2st64_b64 v12, v[14:15], v[16:17] offset0:16 offset1:18
	v_mul_f64 v[14:15], v[22:23], -v[30:31]
	v_mul_f64 v[24:25], v[38:39], v[34:35]
	ds_write2st64_b64 v12, v[14:15], v[22:23] offset1:2
	v_fma_f64 v[14:15], -v[18:19], v[36:37], v[20:21]
	ds_write2st64_b64 v13, v[18:19], v[14:15] offset0:9 offset1:11
	v_mul_f64 v[14:15], v[24:25], -v[36:37]
	ds_write2st64_b64 v13, v[24:25], v[14:15] offset0:25 offset1:27
.LBB104_16:
	s_or_b64 exec, exec, s[16:17]
	v_cmp_eq_u32_e32 vcc, 0, v0
	s_waitcnt lgkmcnt(0)
	s_barrier
	s_and_saveexec_b64 s[16:17], vcc
	s_cbranch_execz .LBB104_18
; %bb.17:
	v_mov_b32_e32 v13, 0
	ds_read_b64 v[30:31], v13 offset:10240
	ds_read_b64 v[32:33], v13 offset:14328
	;; [unrolled: 1-line block ×4, first 2 shown]
	v_mov_b32_e32 v41, 0x3ff8
	v_mov_b32_e32 v42, 0x1ff8
	s_waitcnt lgkmcnt(1)
	v_fma_f64 v[20:21], -v[30:31], v[34:35], 1.0
	v_div_scale_f64 v[22:23], s[18:19], v[20:21], v[20:21], 1.0
	v_rcp_f64_e32 v[24:25], v[22:23]
	s_movk_i32 s18, 0x1f8
	v_add_u32_e64 v40, s18, 0
	v_div_scale_f64 v[26:27], vcc, 1.0, v[20:21], 1.0
	v_fma_f64 v[14:15], -v[22:23], v[24:25], 1.0
	v_fmac_f64_e32 v[24:25], v[24:25], v[14:15]
	v_fma_f64 v[14:15], -v[22:23], v[24:25], 1.0
	v_fmac_f64_e32 v[24:25], v[24:25], v[14:15]
	ds_read2st64_b64 v[14:17], v40 offset0:43 offset1:47
	v_mul_f64 v[28:29], v[26:27], v[24:25]
	v_fma_f64 v[22:23], -v[22:23], v[28:29], v[26:27]
	v_div_fmas_f64 v[22:23], v[22:23], v[24:25], v[28:29]
	v_div_fixup_f64 v[36:37], v[22:23], v[20:21], 1.0
	s_waitcnt lgkmcnt(0)
	v_fma_f64 v[20:21], -v[34:35], v[18:19], v[14:15]
	v_mul_f64 v[38:39], v[36:37], v[20:21]
	v_fma_f64 v[14:15], -v[30:31], v[14:15], v[18:19]
	ds_read2_b64 v[18:21], v41 offset1:1
	ds_read2st64_b64 v[22:25], v13 offset1:4
	ds_read2_b64 v[26:29], v42 offset1:1
	v_mul_f64 v[14:15], v[14:15], v[36:37]
	ds_write_b64 v13, v[14:15] offset:18432
	s_waitcnt lgkmcnt(3)
	v_fma_f64 v[16:17], -v[18:19], v[38:39], v[16:17]
	s_waitcnt lgkmcnt(2)
	v_fma_f64 v[14:15], -v[14:15], v[22:23], v[20:21]
	ds_write2st64_b64 v40, v[38:39], v[16:17] offset0:43 offset1:47
	v_mul_f64 v[16:17], v[34:35], v[24:25]
	v_mul_f64 v[20:21], v[36:37], v[24:25]
	;; [unrolled: 1-line block ×3, first 2 shown]
	v_mul_f64 v[16:17], v[16:17], -v[36:37]
	v_mul_f64 v[24:25], v[24:25], -v[36:37]
	ds_write_b64 v13, v[16:17] offset:6136
	ds_write_b64 v13, v[24:25] offset:10240
	v_mul_f64 v[30:31], v[36:37], v[32:33]
	s_waitcnt lgkmcnt(4)
	v_fma_f64 v[24:25], -v[24:25], v[22:23], v[28:29]
	v_fma_f64 v[16:17], -v[16:17], v[18:19], v[26:27]
	v_mul_f64 v[22:23], v[20:21], -v[22:23]
	ds_write2_b64 v42, v[16:17], v[24:25] offset1:1
	v_mul_f64 v[16:17], v[30:31], -v[18:19]
	ds_write_b64 v13, v[30:31] offset:14328
	ds_write2st64_b64 v13, v[22:23], v[20:21] offset1:4
	ds_write2_b64 v41, v[16:17], v[14:15] offset1:1
.LBB104_18:
	s_or_b64 exec, exec, s[16:17]
	s_waitcnt lgkmcnt(0)
	s_barrier
	s_and_saveexec_b64 s[16:17], s[14:15]
	s_cbranch_execz .LBB104_20
; %bb.19:
	v_max_u32_e32 v13, 1, v9
	v_min_u32_e32 v16, 0xff, v9
	ds_read_b64 v[14:15], v12 offset:21496
	v_lshlrev_b32_e32 v13, 3, v13
	v_lshlrev_b32_e32 v24, 3, v16
	ds_read_b64 v[16:17], v12 offset:13304
	ds_read_b64 v[18:19], v13 offset:20472
	ds_read_b64 v[20:21], v12 offset:5112
	ds_read_b64 v[22:23], v24 offset:18432
	s_waitcnt lgkmcnt(2)
	v_fma_f64 v[14:15], -v[16:17], v[18:19], v[14:15]
	s_waitcnt lgkmcnt(0)
	v_fma_f64 v[14:15], -v[20:21], v[22:23], v[14:15]
	ds_write_b64 v12, v[14:15] offset:21496
	ds_read_b64 v[14:15], v12 offset:17408
	ds_read_b64 v[16:17], v12 offset:9216
	ds_read_b64 v[18:19], v13 offset:20472
	ds_read_b64 v[20:21], v12 offset:1024
	s_waitcnt lgkmcnt(1)
	v_fma_f64 v[14:15], -v[16:17], v[18:19], v[14:15]
	ds_write_b64 v12, v[14:15] offset:17408
	ds_read_b64 v[16:17], v24 offset:18432
	s_waitcnt lgkmcnt(0)
	v_fma_f64 v[14:15], -v[20:21], v[16:17], v[14:15]
	ds_write_b64 v12, v[14:15] offset:17408
.LBB104_20:
	s_or_b64 exec, exec, s[16:17]
	s_waitcnt lgkmcnt(0)
	s_barrier
	s_and_saveexec_b64 s[14:15], s[12:13]
	s_cbranch_execz .LBB104_22
; %bb.21:
	v_max_u32_e32 v14, 1, v8
	v_min_u32_e32 v15, 0x17f, v8
	ds_read_b64 v[12:13], v11 offset:20984
	v_lshlrev_b32_e32 v22, 3, v14
	v_lshlrev_b32_e32 v23, 3, v15
	ds_read_b64 v[14:15], v11 offset:12792
	ds_read_b64 v[16:17], v22 offset:20472
	ds_read_b64 v[18:19], v11 offset:4600
	ds_read_b64 v[20:21], v23 offset:17408
	s_waitcnt lgkmcnt(2)
	v_fma_f64 v[12:13], -v[14:15], v[16:17], v[12:13]
	s_waitcnt lgkmcnt(0)
	v_fma_f64 v[12:13], -v[18:19], v[20:21], v[12:13]
	ds_write_b64 v11, v[12:13] offset:20984
	ds_read_b64 v[12:13], v11 offset:16896
	ds_read_b64 v[14:15], v11 offset:8704
	ds_read_b64 v[16:17], v22 offset:20472
	ds_read_b64 v[18:19], v11 offset:512
	s_waitcnt lgkmcnt(1)
	v_fma_f64 v[12:13], -v[14:15], v[16:17], v[12:13]
	ds_write_b64 v11, v[12:13] offset:16896
	ds_read_b64 v[14:15], v23 offset:17408
	s_waitcnt lgkmcnt(0)
	v_fma_f64 v[12:13], -v[18:19], v[14:15], v[12:13]
	ds_write_b64 v11, v[12:13] offset:16896
.LBB104_22:
	;; [unrolled: 32-line block ×3, first 2 shown]
	s_or_b64 exec, exec, s[12:13]
	v_lshlrev_b32_e32 v10, 5, v0
	s_waitcnt lgkmcnt(0)
	s_barrier
	s_and_saveexec_b64 s[10:11], s[8:9]
	s_cbranch_execz .LBB104_26
; %bb.25:
	v_max_u32_e32 v11, 1, v10
	v_min_u32_e32 v14, 0x1df, v10
	ds_read_b64 v[12:13], v9 offset:20600
	v_lshlrev_b32_e32 v11, 3, v11
	v_lshlrev_b32_e32 v22, 3, v14
	ds_read_b64 v[14:15], v9 offset:12408
	ds_read_b64 v[16:17], v11 offset:20472
	;; [unrolled: 1-line block ×4, first 2 shown]
	s_waitcnt lgkmcnt(2)
	v_fma_f64 v[12:13], -v[14:15], v[16:17], v[12:13]
	s_waitcnt lgkmcnt(0)
	v_fma_f64 v[12:13], -v[18:19], v[20:21], v[12:13]
	ds_write_b64 v9, v[12:13] offset:20600
	ds_read_b64 v[12:13], v9 offset:16512
	ds_read_b64 v[14:15], v9 offset:8320
	;; [unrolled: 1-line block ×4, first 2 shown]
	s_waitcnt lgkmcnt(1)
	v_fma_f64 v[12:13], -v[14:15], v[16:17], v[12:13]
	ds_write_b64 v9, v[12:13] offset:16512
	ds_read_b64 v[14:15], v22 offset:16640
	s_waitcnt lgkmcnt(0)
	v_fma_f64 v[12:13], -v[18:19], v[14:15], v[12:13]
	ds_write_b64 v9, v[12:13] offset:16512
.LBB104_26:
	s_or_b64 exec, exec, s[10:11]
	v_lshlrev_b32_e32 v9, 4, v0
	s_waitcnt lgkmcnt(0)
	s_barrier
	s_and_saveexec_b64 s[8:9], s[6:7]
	s_cbranch_execz .LBB104_28
; %bb.27:
	v_max_u32_e32 v11, 1, v9
	v_min_u32_e32 v14, 0x1ef, v9
	ds_read_b64 v[12:13], v8 offset:20536
	v_lshlrev_b32_e32 v11, 3, v11
	v_lshlrev_b32_e32 v22, 3, v14
	ds_read_b64 v[14:15], v8 offset:12344
	ds_read_b64 v[16:17], v11 offset:20472
	;; [unrolled: 1-line block ×4, first 2 shown]
	s_waitcnt lgkmcnt(2)
	v_fma_f64 v[12:13], -v[14:15], v[16:17], v[12:13]
	s_waitcnt lgkmcnt(0)
	v_fma_f64 v[12:13], -v[18:19], v[20:21], v[12:13]
	ds_write_b64 v8, v[12:13] offset:20536
	ds_read_b64 v[12:13], v8 offset:16448
	ds_read_b64 v[14:15], v8 offset:8256
	;; [unrolled: 1-line block ×4, first 2 shown]
	s_waitcnt lgkmcnt(1)
	v_fma_f64 v[12:13], -v[14:15], v[16:17], v[12:13]
	ds_write_b64 v8, v[12:13] offset:16448
	ds_read_b64 v[14:15], v22 offset:16512
	s_waitcnt lgkmcnt(0)
	v_fma_f64 v[12:13], -v[18:19], v[14:15], v[12:13]
	ds_write_b64 v8, v[12:13] offset:16448
.LBB104_28:
	s_or_b64 exec, exec, s[8:9]
	s_waitcnt lgkmcnt(0)
	s_barrier
	s_and_saveexec_b64 s[6:7], s[4:5]
	s_cbranch_execz .LBB104_30
; %bb.29:
	v_max_u32_e32 v8, 1, v6
	v_min_u32_e32 v6, 0x1f7, v6
	ds_read_b64 v[12:13], v7 offset:20504
	v_lshlrev_b32_e32 v8, 3, v8
	v_lshlrev_b32_e32 v6, 3, v6
	ds_read_b64 v[14:15], v7 offset:12312
	ds_read_b64 v[16:17], v8 offset:20472
	;; [unrolled: 1-line block ×4, first 2 shown]
	s_waitcnt lgkmcnt(2)
	v_fma_f64 v[12:13], -v[14:15], v[16:17], v[12:13]
	s_waitcnt lgkmcnt(0)
	v_fma_f64 v[12:13], -v[18:19], v[20:21], v[12:13]
	ds_write_b64 v7, v[12:13] offset:20504
	ds_read_b64 v[12:13], v7 offset:16416
	ds_read_b64 v[14:15], v7 offset:8224
	ds_read_b64 v[16:17], v8 offset:20472
	ds_read_b64 v[18:19], v7 offset:32
	s_waitcnt lgkmcnt(1)
	v_fma_f64 v[12:13], -v[14:15], v[16:17], v[12:13]
	ds_write_b64 v7, v[12:13] offset:16416
	ds_read_b64 v[14:15], v6 offset:16448
	s_waitcnt lgkmcnt(0)
	v_fma_f64 v[12:13], -v[18:19], v[14:15], v[12:13]
	ds_write_b64 v7, v[12:13] offset:16416
.LBB104_30:
	s_or_b64 exec, exec, s[6:7]
	s_waitcnt lgkmcnt(0)
	s_barrier
	s_and_saveexec_b64 s[4:5], s[2:3]
	s_cbranch_execz .LBB104_32
; %bb.31:
	v_lshlrev_b32_e32 v6, 2, v0
	v_max_u32_e32 v8, 1, v6
	v_min_u32_e32 v11, 0x1fb, v6
	ds_read_b64 v[6:7], v10 offset:20488
	v_lshlrev_b32_e32 v8, 3, v8
	v_lshlrev_b32_e32 v11, 3, v11
	ds_read_b64 v[12:13], v10 offset:12296
	ds_read_b64 v[14:15], v8 offset:20472
	;; [unrolled: 1-line block ×4, first 2 shown]
	s_waitcnt lgkmcnt(2)
	v_fma_f64 v[6:7], -v[12:13], v[14:15], v[6:7]
	s_waitcnt lgkmcnt(0)
	v_fma_f64 v[6:7], -v[16:17], v[18:19], v[6:7]
	ds_write_b64 v10, v[6:7] offset:20488
	ds_read_b64 v[6:7], v10 offset:16400
	ds_read_b64 v[12:13], v10 offset:8208
	;; [unrolled: 1-line block ×4, first 2 shown]
	s_waitcnt lgkmcnt(1)
	v_fma_f64 v[6:7], -v[12:13], v[14:15], v[6:7]
	ds_write_b64 v10, v[6:7] offset:16400
	ds_read_b64 v[12:13], v11 offset:16416
	s_waitcnt lgkmcnt(0)
	v_fma_f64 v[6:7], -v[16:17], v[12:13], v[6:7]
	ds_write_b64 v10, v[6:7] offset:16400
.LBB104_32:
	s_or_b64 exec, exec, s[4:5]
	s_waitcnt lgkmcnt(0)
	s_barrier
	s_and_saveexec_b64 s[2:3], s[0:1]
	s_cbranch_execz .LBB104_34
; %bb.33:
	v_lshlrev_b32_e32 v0, 1, v0
	v_max_u32_e32 v8, 1, v0
	v_min_u32_e32 v0, 0x1fd, v0
	ds_read_b64 v[6:7], v9 offset:20480
	v_lshlrev_b32_e32 v8, 3, v8
	v_lshlrev_b32_e32 v0, 3, v0
	ds_read_b64 v[10:11], v9 offset:12288
	ds_read_b64 v[12:13], v8 offset:20472
	;; [unrolled: 1-line block ×4, first 2 shown]
	s_waitcnt lgkmcnt(2)
	v_fma_f64 v[6:7], -v[10:11], v[12:13], v[6:7]
	s_waitcnt lgkmcnt(0)
	v_fma_f64 v[6:7], -v[14:15], v[16:17], v[6:7]
	ds_write_b64 v9, v[6:7] offset:20480
	ds_read_b64 v[6:7], v9 offset:16392
	ds_read_b64 v[10:11], v9 offset:8200
	;; [unrolled: 1-line block ×4, first 2 shown]
	s_waitcnt lgkmcnt(1)
	v_fma_f64 v[6:7], -v[10:11], v[12:13], v[6:7]
	ds_write_b64 v9, v[6:7] offset:16392
	ds_read_b64 v[10:11], v0 offset:16400
	s_waitcnt lgkmcnt(0)
	v_fma_f64 v[6:7], -v[14:15], v[10:11], v[6:7]
	ds_write_b64 v9, v[6:7] offset:16392
.LBB104_34:
	s_or_b64 exec, exec, s[2:3]
	s_waitcnt lgkmcnt(0)
	s_barrier
	ds_read2st64_b64 v[6:9], v1 offset1:8
	s_waitcnt lgkmcnt(0)
	global_store_dwordx2 v[2:3], v[6:7], off
	global_store_dwordx2 v[4:5], v[8:9], off
	s_endpgm
	.section	.rodata,"a",@progbits
	.p2align	6, 0x0
	.amdhsa_kernel _ZN9rocsparseL34gtsv_solve_spike_grid_level_kernelILj512EdEEviiiPT0_PKS1_S4_
		.amdhsa_group_segment_fixed_size 24576
		.amdhsa_private_segment_fixed_size 0
		.amdhsa_kernarg_size 40
		.amdhsa_user_sgpr_count 2
		.amdhsa_user_sgpr_dispatch_ptr 0
		.amdhsa_user_sgpr_queue_ptr 0
		.amdhsa_user_sgpr_kernarg_segment_ptr 1
		.amdhsa_user_sgpr_dispatch_id 0
		.amdhsa_user_sgpr_kernarg_preload_length 0
		.amdhsa_user_sgpr_kernarg_preload_offset 0
		.amdhsa_user_sgpr_private_segment_size 0
		.amdhsa_uses_dynamic_stack 0
		.amdhsa_enable_private_segment 0
		.amdhsa_system_sgpr_workgroup_id_x 1
		.amdhsa_system_sgpr_workgroup_id_y 1
		.amdhsa_system_sgpr_workgroup_id_z 0
		.amdhsa_system_sgpr_workgroup_info 0
		.amdhsa_system_vgpr_workitem_id 0
		.amdhsa_next_free_vgpr 47
		.amdhsa_next_free_sgpr 20
		.amdhsa_accum_offset 48
		.amdhsa_reserve_vcc 1
		.amdhsa_float_round_mode_32 0
		.amdhsa_float_round_mode_16_64 0
		.amdhsa_float_denorm_mode_32 3
		.amdhsa_float_denorm_mode_16_64 3
		.amdhsa_dx10_clamp 1
		.amdhsa_ieee_mode 1
		.amdhsa_fp16_overflow 0
		.amdhsa_tg_split 0
		.amdhsa_exception_fp_ieee_invalid_op 0
		.amdhsa_exception_fp_denorm_src 0
		.amdhsa_exception_fp_ieee_div_zero 0
		.amdhsa_exception_fp_ieee_overflow 0
		.amdhsa_exception_fp_ieee_underflow 0
		.amdhsa_exception_fp_ieee_inexact 0
		.amdhsa_exception_int_div_zero 0
	.end_amdhsa_kernel
	.section	.text._ZN9rocsparseL34gtsv_solve_spike_grid_level_kernelILj512EdEEviiiPT0_PKS1_S4_,"axG",@progbits,_ZN9rocsparseL34gtsv_solve_spike_grid_level_kernelILj512EdEEviiiPT0_PKS1_S4_,comdat
.Lfunc_end104:
	.size	_ZN9rocsparseL34gtsv_solve_spike_grid_level_kernelILj512EdEEviiiPT0_PKS1_S4_, .Lfunc_end104-_ZN9rocsparseL34gtsv_solve_spike_grid_level_kernelILj512EdEEviiiPT0_PKS1_S4_
                                        ; -- End function
	.set _ZN9rocsparseL34gtsv_solve_spike_grid_level_kernelILj512EdEEviiiPT0_PKS1_S4_.num_vgpr, 47
	.set _ZN9rocsparseL34gtsv_solve_spike_grid_level_kernelILj512EdEEviiiPT0_PKS1_S4_.num_agpr, 0
	.set _ZN9rocsparseL34gtsv_solve_spike_grid_level_kernelILj512EdEEviiiPT0_PKS1_S4_.numbered_sgpr, 20
	.set _ZN9rocsparseL34gtsv_solve_spike_grid_level_kernelILj512EdEEviiiPT0_PKS1_S4_.num_named_barrier, 0
	.set _ZN9rocsparseL34gtsv_solve_spike_grid_level_kernelILj512EdEEviiiPT0_PKS1_S4_.private_seg_size, 0
	.set _ZN9rocsparseL34gtsv_solve_spike_grid_level_kernelILj512EdEEviiiPT0_PKS1_S4_.uses_vcc, 1
	.set _ZN9rocsparseL34gtsv_solve_spike_grid_level_kernelILj512EdEEviiiPT0_PKS1_S4_.uses_flat_scratch, 0
	.set _ZN9rocsparseL34gtsv_solve_spike_grid_level_kernelILj512EdEEviiiPT0_PKS1_S4_.has_dyn_sized_stack, 0
	.set _ZN9rocsparseL34gtsv_solve_spike_grid_level_kernelILj512EdEEviiiPT0_PKS1_S4_.has_recursion, 0
	.set _ZN9rocsparseL34gtsv_solve_spike_grid_level_kernelILj512EdEEviiiPT0_PKS1_S4_.has_indirect_call, 0
	.section	.AMDGPU.csdata,"",@progbits
; Kernel info:
; codeLenInByte = 5288
; TotalNumSgprs: 26
; NumVgprs: 47
; NumAgprs: 0
; TotalNumVgprs: 47
; ScratchSize: 0
; MemoryBound: 1
; FloatMode: 240
; IeeeMode: 1
; LDSByteSize: 24576 bytes/workgroup (compile time only)
; SGPRBlocks: 3
; VGPRBlocks: 5
; NumSGPRsForWavesPerEU: 26
; NumVGPRsForWavesPerEU: 47
; AccumOffset: 48
; Occupancy: 8
; WaveLimiterHint : 1
; COMPUTE_PGM_RSRC2:SCRATCH_EN: 0
; COMPUTE_PGM_RSRC2:USER_SGPR: 2
; COMPUTE_PGM_RSRC2:TRAP_HANDLER: 0
; COMPUTE_PGM_RSRC2:TGID_X_EN: 1
; COMPUTE_PGM_RSRC2:TGID_Y_EN: 1
; COMPUTE_PGM_RSRC2:TGID_Z_EN: 0
; COMPUTE_PGM_RSRC2:TIDIG_COMP_CNT: 0
; COMPUTE_PGM_RSRC3_GFX90A:ACCUM_OFFSET: 11
; COMPUTE_PGM_RSRC3_GFX90A:TG_SPLIT: 0
	.section	.text._ZN9rocsparseL33gtsv_solve_spike_propagate_kernelILj256ELj2EdEEviiiPT1_PKS1_S4_S4_,"axG",@progbits,_ZN9rocsparseL33gtsv_solve_spike_propagate_kernelILj256ELj2EdEEviiiPT1_PKS1_S4_S4_,comdat
	.globl	_ZN9rocsparseL33gtsv_solve_spike_propagate_kernelILj256ELj2EdEEviiiPT1_PKS1_S4_S4_ ; -- Begin function _ZN9rocsparseL33gtsv_solve_spike_propagate_kernelILj256ELj2EdEEviiiPT1_PKS1_S4_S4_
	.p2align	8
	.type	_ZN9rocsparseL33gtsv_solve_spike_propagate_kernelILj256ELj2EdEEviiiPT1_PKS1_S4_S4_,@function
_ZN9rocsparseL33gtsv_solve_spike_propagate_kernelILj256ELj2EdEEviiiPT1_PKS1_S4_S4_: ; @_ZN9rocsparseL33gtsv_solve_spike_propagate_kernelILj256ELj2EdEEviiiPT1_PKS1_S4_S4_
; %bb.0:
	s_load_dword s8, s[0:1], 0x0
	v_lshl_or_b32 v2, s2, 8, v0
	v_mov_b64_e32 v[6:7], 0
	v_ashrrev_i32_e32 v3, 31, v2
	v_mov_b64_e32 v[8:9], 0
	s_waitcnt lgkmcnt(0)
	s_lshr_b32 s14, s8, 1
	v_cmp_le_i32_e64 s[4:5], s14, v2
	v_cmp_gt_i32_e32 vcc, s14, v2
	v_add_u32_e32 v4, s14, v2
	s_and_saveexec_b64 s[6:7], vcc
	s_cbranch_execz .LBB105_2
; %bb.1:
	s_load_dwordx2 s[10:11], s[0:1], 0x18
	v_mov_b32_e32 v5, 0
	s_waitcnt lgkmcnt(0)
	v_lshl_add_u64 v[10:11], v[2:3], 3, s[10:11]
	v_lshl_add_u64 v[12:13], v[4:5], 3, s[10:11]
	global_load_dwordx2 v[6:7], v[10:11], off
	global_load_dwordx2 v[8:9], v[12:13], off
.LBB105_2:
	s_or_b64 exec, exec, s[6:7]
	s_load_dwordx2 s[6:7], s[0:1], 0x10
	v_lshlrev_b32_e32 v1, 3, v0
	v_add_u32_e32 v5, 16, v1
	s_waitcnt vmcnt(0)
	ds_write2st64_b64 v5, v[6:7], v[8:9] offset0:16 offset1:20
	s_and_saveexec_b64 s[10:11], s[4:5]
	s_xor_b64 s[4:5], exec, s[10:11]
; %bb.3:
	s_mov_b32 s10, 0
	s_mov_b32 s11, s10
	v_mov_b64_e32 v[6:7], s[10:11]
	ds_write2st64_b64 v5, v[6:7], v[6:7] offset0:8 offset1:12
                                        ; implicit-def: $vgpr4
; %bb.4:
	s_or_saveexec_b64 s[4:5], s[4:5]
	v_mov_b64_e32 v[6:7], 0
	s_mul_i32 s8, s8, s3
	v_mov_b64_e32 v[8:9], 0
	s_xor_b64 exec, exec, s[4:5]
	s_cbranch_execz .LBB105_6
; %bb.5:
	s_load_dwordx2 s[10:11], s[0:1], 0x20
	v_mov_b32_e32 v5, 0
	s_waitcnt lgkmcnt(0)
	v_lshl_add_u64 v[10:11], v[4:5], 3, s[10:11]
	v_add_u32_e32 v4, s8, v4
	v_lshl_add_u64 v[8:9], v[2:3], 3, s[10:11]
	v_lshl_add_u64 v[4:5], v[4:5], 3, s[6:7]
	global_load_dwordx2 v[12:13], v[8:9], off
	global_load_dwordx2 v[14:15], v[10:11], off
	v_add_u32_e32 v3, 16, v1
	global_load_dwordx2 v[8:9], v[4:5], off
	s_waitcnt vmcnt(1)
	ds_write2st64_b64 v3, v[12:13], v[14:15] offset0:8 offset1:12
.LBB105_6:
	s_or_b64 exec, exec, s[4:5]
	v_add_u32_e32 v2, s8, v2
	s_waitcnt vmcnt(0)
	ds_write_b64 v1, v[8:9] offset:8
	s_and_saveexec_b64 s[4:5], vcc
	s_cbranch_execz .LBB105_8
; %bb.7:
	v_ashrrev_i32_e32 v3, 31, v2
	s_waitcnt lgkmcnt(0)
	v_lshl_add_u64 v[4:5], v[2:3], 3, s[6:7]
	global_load_dwordx2 v[6:7], v[4:5], off
.LBB105_8:
	s_or_b64 exec, exec, s[4:5]
	v_cmp_eq_u32_e64 s[4:5], 0, v0
	s_waitcnt vmcnt(0)
	ds_write_b64 v1, v[6:7] offset:2056
	s_waitcnt lgkmcnt(0)
	s_barrier
	s_and_saveexec_b64 s[8:9], s[4:5]
	s_cbranch_execz .LBB105_14
; %bb.9:
	s_load_dword s15, s[0:1], 0x30
	s_load_dwordx2 s[10:11], s[0:1], 0x28
	s_cmp_lt_i32 s2, 1
	s_mov_b64 s[0:1], 0
	s_mov_b64 s[12:13], 0
	s_waitcnt lgkmcnt(0)
	s_mul_i32 s3, s3, s15
	s_cbranch_scc1 .LBB105_11
; %bb.10:
	s_lshl_b32 s12, s3, 1
	s_add_i32 s13, s2, s15
	s_add_i32 s12, s13, s12
	s_add_i32 s12, s12, -1
	s_mov_b32 s13, 0
	s_lshl_b64 s[12:13], s[12:13], 3
	s_add_u32 s12, s10, s12
	s_addc_u32 s13, s11, s13
	s_load_dwordx2 s[12:13], s[12:13], 0x0
.LBB105_11:
	s_waitcnt lgkmcnt(0)
	v_mov_b64_e32 v[4:5], s[12:13]
	s_add_i32 s12, s15, -1
	v_mov_b32_e32 v3, 0
	s_cmp_ge_u32 s2, s12
	ds_write_b64 v3, v[4:5]
	s_cbranch_scc1 .LBB105_13
; %bb.12:
	s_lshl_b32 s0, s3, 1
	s_add_i32 s0, s2, s0
	s_add_i32 s0, s0, 1
	s_mov_b32 s1, 0
	s_lshl_b64 s[0:1], s[0:1], 3
	s_add_u32 s0, s10, s0
	s_addc_u32 s1, s11, s1
	s_load_dwordx2 s[0:1], s[0:1], 0x0
.LBB105_13:
	s_lshl_b32 s3, s3, 1
	s_add_i32 s2, s3, s2
	s_mov_b32 s3, 0
	s_lshl_b64 s[12:13], s[2:3], 3
	s_add_u32 s12, s10, s12
	s_addc_u32 s13, s11, s13
	s_add_i32 s2, s2, s15
	s_lshl_b64 s[2:3], s[2:3], 3
	s_add_u32 s2, s10, s2
	s_addc_u32 s3, s11, s3
	s_load_dwordx2 s[10:11], s[2:3], 0x0
	s_load_dwordx2 s[16:17], s[12:13], 0x0
	s_waitcnt lgkmcnt(0)
	v_mov_b64_e32 v[4:5], s[0:1]
	ds_write_b64 v3, v[4:5] offset:4104
	v_mov_b32_e32 v4, s10
	v_mov_b32_e32 v5, s11
	;; [unrolled: 1-line block ×4, first 2 shown]
	ds_write_b128 v3, v[4:7] offset:2048
.LBB105_14:
	s_or_b64 exec, exec, s[8:9]
	s_waitcnt lgkmcnt(0)
	s_barrier
	s_and_saveexec_b64 s[0:1], s[4:5]
	s_cbranch_execz .LBB105_16
; %bb.15:
	s_movk_i32 s2, 0x1410
	v_mov_b32_e32 v3, 0
	v_add_u32_e64 v8, s2, 0
	v_add_u32_e64 v12, 8, 0
	s_movk_i32 s2, 0x2410
	ds_read2st64_b64 v[4:7], v3 offset1:2
	ds_read2_b64 v[8:11], v8 offset1:255
	ds_read2st64_b64 v[12:15], v12 offset0:6 offset1:8
	v_add_u32_e64 v16, s2, 0
	ds_read2_b64 v[16:19], v16 offset1:255
	s_waitcnt lgkmcnt(1)
	v_fma_f64 v[6:7], -v[10:11], v[14:15], v[6:7]
	s_waitcnt lgkmcnt(0)
	v_fma_f64 v[6:7], -v[18:19], v[4:5], v[6:7]
	ds_write_b64 v3, v[6:7] offset:1024
	v_fma_f64 v[6:7], -v[8:9], v[14:15], v[12:13]
	v_fma_f64 v[4:5], -v[16:17], v[4:5], v[6:7]
	ds_write_b64 v3, v[4:5] offset:3080
.LBB105_16:
	s_or_b64 exec, exec, s[0:1]
	v_cmp_gt_u32_e64 s[0:1], 2, v0
	s_waitcnt lgkmcnt(0)
	s_barrier
	s_and_saveexec_b64 s[2:3], s[0:1]
	s_cbranch_execz .LBB105_18
; %bb.17:
	s_movk_i32 s0, 0x3f8
	v_mad_u32_u24 v3, v0, s0, v1
	v_lshlrev_b32_e32 v16, 10, v0
	v_add_u32_e32 v8, 0x1210, v16
	v_add_u32_e32 v12, 8, v3
	ds_read2st64_b64 v[4:7], v3 offset1:1
	ds_read2_b64 v[8:11], v8 offset1:255
	ds_read2st64_b64 v[12:15], v12 offset0:5 offset1:6
	v_add_u32_e32 v16, 0x2210, v16
	ds_read2_b64 v[16:19], v16 offset1:255
	s_waitcnt lgkmcnt(1)
	v_fma_f64 v[6:7], -v[10:11], v[14:15], v[6:7]
	s_waitcnt lgkmcnt(0)
	v_fma_f64 v[6:7], -v[18:19], v[4:5], v[6:7]
	ds_write_b64 v3, v[6:7] offset:512
	v_fma_f64 v[6:7], -v[8:9], v[14:15], v[12:13]
	v_fma_f64 v[4:5], -v[16:17], v[4:5], v[6:7]
	ds_write_b64 v3, v[4:5] offset:2568
.LBB105_18:
	s_or_b64 exec, exec, s[2:3]
	v_cmp_gt_u32_e64 s[0:1], 4, v0
	s_waitcnt lgkmcnt(0)
	s_barrier
	s_and_saveexec_b64 s[2:3], s[0:1]
	s_cbranch_execz .LBB105_20
; %bb.19:
	v_lshlrev_b32_e32 v3, 9, v0
	v_add_u32_e32 v8, 0x1110, v3
	v_add_u32_e32 v12, 0x800, v3
	ds_read2_b64 v[4:7], v3 offset1:32
	ds_read2_b64 v[8:11], v8 offset1:255
	ds_read2_b64 v[12:15], v12 offset0:33 offset1:65
	v_add_u32_e32 v16, 0x2110, v3
	ds_read2_b64 v[16:19], v16 offset1:255
	s_waitcnt lgkmcnt(1)
	v_fma_f64 v[6:7], -v[10:11], v[14:15], v[6:7]
	s_waitcnt lgkmcnt(0)
	v_fma_f64 v[6:7], -v[18:19], v[4:5], v[6:7]
	ds_write_b64 v3, v[6:7] offset:256
	v_fma_f64 v[6:7], -v[8:9], v[14:15], v[12:13]
	v_fma_f64 v[4:5], -v[16:17], v[4:5], v[6:7]
	ds_write_b64 v3, v[4:5] offset:2312
.LBB105_20:
	s_or_b64 exec, exec, s[2:3]
	v_cmp_gt_u32_e64 s[0:1], 8, v0
	s_waitcnt lgkmcnt(0)
	s_barrier
	s_and_saveexec_b64 s[2:3], s[0:1]
	s_cbranch_execz .LBB105_22
; %bb.21:
	v_lshlrev_b32_e32 v3, 8, v0
	v_add_u32_e32 v8, 0x1090, v3
	v_add_u32_e32 v12, 0x800, v3
	ds_read2_b64 v[4:7], v3 offset1:16
	ds_read2_b64 v[8:11], v8 offset1:255
	ds_read2_b64 v[12:15], v12 offset0:17 offset1:33
	v_add_u32_e32 v16, 0x2090, v3
	ds_read2_b64 v[16:19], v16 offset1:255
	s_waitcnt lgkmcnt(1)
	v_fma_f64 v[6:7], -v[10:11], v[14:15], v[6:7]
	s_waitcnt lgkmcnt(0)
	v_fma_f64 v[6:7], -v[18:19], v[4:5], v[6:7]
	ds_write_b64 v3, v[6:7] offset:128
	v_fma_f64 v[6:7], -v[8:9], v[14:15], v[12:13]
	v_fma_f64 v[4:5], -v[16:17], v[4:5], v[6:7]
	ds_write_b64 v3, v[4:5] offset:2184
.LBB105_22:
	;; [unrolled: 24-line block ×5, first 2 shown]
	s_or_b64 exec, exec, s[2:3]
	s_movk_i32 s0, 0x80
	v_cmp_gt_u32_e64 s[0:1], s0, v0
	s_waitcnt lgkmcnt(0)
	s_barrier
	s_and_saveexec_b64 s[2:3], s[0:1]
	s_cbranch_execz .LBB105_30
; %bb.29:
	v_lshlrev_b32_e32 v0, 4, v0
	v_add_u32_e32 v3, 0x1018, v0
	ds_read2_b64 v[4:7], v3 offset1:255
	ds_read_b128 v[8:11], v0
	ds_read_b128 v[12:15], v0 offset:2064
	v_add_u32_e32 v3, 0x2018, v0
	ds_read2_b64 v[16:19], v3 offset1:255
	s_waitcnt lgkmcnt(1)
	v_fma_f64 v[6:7], -v[6:7], v[14:15], v[10:11]
	v_fma_f64 v[4:5], -v[4:5], v[14:15], v[12:13]
	s_waitcnt lgkmcnt(0)
	v_fma_f64 v[6:7], -v[18:19], v[8:9], v[6:7]
	v_fma_f64 v[4:5], -v[16:17], v[8:9], v[4:5]
	ds_write_b64 v0, v[6:7] offset:8
	ds_write_b64 v0, v[4:5] offset:2064
.LBB105_30:
	s_or_b64 exec, exec, s[2:3]
	s_waitcnt lgkmcnt(0)
	s_barrier
	s_and_saveexec_b64 s[0:1], vcc
	s_cbranch_execz .LBB105_32
; %bb.31:
	v_add_u32_e32 v0, 8, v1
	ds_read2st64_b64 v[4:7], v0 offset1:4
	v_ashrrev_i32_e32 v3, 31, v2
	v_add_u32_e32 v0, s14, v2
	v_mov_b32_e32 v1, 0
	v_lshl_add_u64 v[2:3], v[2:3], 3, s[6:7]
	v_lshl_add_u64 v[0:1], v[0:1], 3, s[6:7]
	s_waitcnt lgkmcnt(0)
	global_store_dwordx2 v[2:3], v[6:7], off
	global_store_dwordx2 v[0:1], v[4:5], off
.LBB105_32:
	s_endpgm
	.section	.rodata,"a",@progbits
	.p2align	6, 0x0
	.amdhsa_kernel _ZN9rocsparseL33gtsv_solve_spike_propagate_kernelILj256ELj2EdEEviiiPT1_PKS1_S4_S4_
		.amdhsa_group_segment_fixed_size 12304
		.amdhsa_private_segment_fixed_size 0
		.amdhsa_kernarg_size 304
		.amdhsa_user_sgpr_count 2
		.amdhsa_user_sgpr_dispatch_ptr 0
		.amdhsa_user_sgpr_queue_ptr 0
		.amdhsa_user_sgpr_kernarg_segment_ptr 1
		.amdhsa_user_sgpr_dispatch_id 0
		.amdhsa_user_sgpr_kernarg_preload_length 0
		.amdhsa_user_sgpr_kernarg_preload_offset 0
		.amdhsa_user_sgpr_private_segment_size 0
		.amdhsa_uses_dynamic_stack 0
		.amdhsa_enable_private_segment 0
		.amdhsa_system_sgpr_workgroup_id_x 1
		.amdhsa_system_sgpr_workgroup_id_y 1
		.amdhsa_system_sgpr_workgroup_id_z 0
		.amdhsa_system_sgpr_workgroup_info 0
		.amdhsa_system_vgpr_workitem_id 0
		.amdhsa_next_free_vgpr 20
		.amdhsa_next_free_sgpr 18
		.amdhsa_accum_offset 20
		.amdhsa_reserve_vcc 1
		.amdhsa_float_round_mode_32 0
		.amdhsa_float_round_mode_16_64 0
		.amdhsa_float_denorm_mode_32 3
		.amdhsa_float_denorm_mode_16_64 3
		.amdhsa_dx10_clamp 1
		.amdhsa_ieee_mode 1
		.amdhsa_fp16_overflow 0
		.amdhsa_tg_split 0
		.amdhsa_exception_fp_ieee_invalid_op 0
		.amdhsa_exception_fp_denorm_src 0
		.amdhsa_exception_fp_ieee_div_zero 0
		.amdhsa_exception_fp_ieee_overflow 0
		.amdhsa_exception_fp_ieee_underflow 0
		.amdhsa_exception_fp_ieee_inexact 0
		.amdhsa_exception_int_div_zero 0
	.end_amdhsa_kernel
	.section	.text._ZN9rocsparseL33gtsv_solve_spike_propagate_kernelILj256ELj2EdEEviiiPT1_PKS1_S4_S4_,"axG",@progbits,_ZN9rocsparseL33gtsv_solve_spike_propagate_kernelILj256ELj2EdEEviiiPT1_PKS1_S4_S4_,comdat
.Lfunc_end105:
	.size	_ZN9rocsparseL33gtsv_solve_spike_propagate_kernelILj256ELj2EdEEviiiPT1_PKS1_S4_S4_, .Lfunc_end105-_ZN9rocsparseL33gtsv_solve_spike_propagate_kernelILj256ELj2EdEEviiiPT1_PKS1_S4_S4_
                                        ; -- End function
	.set _ZN9rocsparseL33gtsv_solve_spike_propagate_kernelILj256ELj2EdEEviiiPT1_PKS1_S4_S4_.num_vgpr, 20
	.set _ZN9rocsparseL33gtsv_solve_spike_propagate_kernelILj256ELj2EdEEviiiPT1_PKS1_S4_S4_.num_agpr, 0
	.set _ZN9rocsparseL33gtsv_solve_spike_propagate_kernelILj256ELj2EdEEviiiPT1_PKS1_S4_S4_.numbered_sgpr, 18
	.set _ZN9rocsparseL33gtsv_solve_spike_propagate_kernelILj256ELj2EdEEviiiPT1_PKS1_S4_S4_.num_named_barrier, 0
	.set _ZN9rocsparseL33gtsv_solve_spike_propagate_kernelILj256ELj2EdEEviiiPT1_PKS1_S4_S4_.private_seg_size, 0
	.set _ZN9rocsparseL33gtsv_solve_spike_propagate_kernelILj256ELj2EdEEviiiPT1_PKS1_S4_S4_.uses_vcc, 1
	.set _ZN9rocsparseL33gtsv_solve_spike_propagate_kernelILj256ELj2EdEEviiiPT1_PKS1_S4_S4_.uses_flat_scratch, 0
	.set _ZN9rocsparseL33gtsv_solve_spike_propagate_kernelILj256ELj2EdEEviiiPT1_PKS1_S4_S4_.has_dyn_sized_stack, 0
	.set _ZN9rocsparseL33gtsv_solve_spike_propagate_kernelILj256ELj2EdEEviiiPT1_PKS1_S4_S4_.has_recursion, 0
	.set _ZN9rocsparseL33gtsv_solve_spike_propagate_kernelILj256ELj2EdEEviiiPT1_PKS1_S4_S4_.has_indirect_call, 0
	.section	.AMDGPU.csdata,"",@progbits
; Kernel info:
; codeLenInByte = 1852
; TotalNumSgprs: 24
; NumVgprs: 20
; NumAgprs: 0
; TotalNumVgprs: 20
; ScratchSize: 0
; MemoryBound: 0
; FloatMode: 240
; IeeeMode: 1
; LDSByteSize: 12304 bytes/workgroup (compile time only)
; SGPRBlocks: 2
; VGPRBlocks: 2
; NumSGPRsForWavesPerEU: 24
; NumVGPRsForWavesPerEU: 20
; AccumOffset: 20
; Occupancy: 8
; WaveLimiterHint : 0
; COMPUTE_PGM_RSRC2:SCRATCH_EN: 0
; COMPUTE_PGM_RSRC2:USER_SGPR: 2
; COMPUTE_PGM_RSRC2:TRAP_HANDLER: 0
; COMPUTE_PGM_RSRC2:TGID_X_EN: 1
; COMPUTE_PGM_RSRC2:TGID_Y_EN: 1
; COMPUTE_PGM_RSRC2:TGID_Z_EN: 0
; COMPUTE_PGM_RSRC2:TIDIG_COMP_CNT: 0
; COMPUTE_PGM_RSRC3_GFX90A:ACCUM_OFFSET: 4
; COMPUTE_PGM_RSRC3_GFX90A:TG_SPLIT: 0
	.section	.text._ZN9rocsparseL39gtsv_spike_backward_substitution_kernelILj256ELj2EdEEviiiPT1_PKS1_S4_,"axG",@progbits,_ZN9rocsparseL39gtsv_spike_backward_substitution_kernelILj256ELj2EdEEviiiPT1_PKS1_S4_,comdat
	.globl	_ZN9rocsparseL39gtsv_spike_backward_substitution_kernelILj256ELj2EdEEviiiPT1_PKS1_S4_ ; -- Begin function _ZN9rocsparseL39gtsv_spike_backward_substitution_kernelILj256ELj2EdEEviiiPT1_PKS1_S4_
	.p2align	8
	.type	_ZN9rocsparseL39gtsv_spike_backward_substitution_kernelILj256ELj2EdEEviiiPT1_PKS1_S4_,@function
_ZN9rocsparseL39gtsv_spike_backward_substitution_kernelILj256ELj2EdEEviiiPT1_PKS1_S4_: ; @_ZN9rocsparseL39gtsv_spike_backward_substitution_kernelILj256ELj2EdEEviiiPT1_PKS1_S4_
; %bb.0:
	s_endpgm
	.section	.rodata,"a",@progbits
	.p2align	6, 0x0
	.amdhsa_kernel _ZN9rocsparseL39gtsv_spike_backward_substitution_kernelILj256ELj2EdEEviiiPT1_PKS1_S4_
		.amdhsa_group_segment_fixed_size 0
		.amdhsa_private_segment_fixed_size 0
		.amdhsa_kernarg_size 40
		.amdhsa_user_sgpr_count 2
		.amdhsa_user_sgpr_dispatch_ptr 0
		.amdhsa_user_sgpr_queue_ptr 0
		.amdhsa_user_sgpr_kernarg_segment_ptr 1
		.amdhsa_user_sgpr_dispatch_id 0
		.amdhsa_user_sgpr_kernarg_preload_length 0
		.amdhsa_user_sgpr_kernarg_preload_offset 0
		.amdhsa_user_sgpr_private_segment_size 0
		.amdhsa_uses_dynamic_stack 0
		.amdhsa_enable_private_segment 0
		.amdhsa_system_sgpr_workgroup_id_x 1
		.amdhsa_system_sgpr_workgroup_id_y 0
		.amdhsa_system_sgpr_workgroup_id_z 0
		.amdhsa_system_sgpr_workgroup_info 0
		.amdhsa_system_vgpr_workitem_id 0
		.amdhsa_next_free_vgpr 1
		.amdhsa_next_free_sgpr 0
		.amdhsa_accum_offset 4
		.amdhsa_reserve_vcc 0
		.amdhsa_float_round_mode_32 0
		.amdhsa_float_round_mode_16_64 0
		.amdhsa_float_denorm_mode_32 3
		.amdhsa_float_denorm_mode_16_64 3
		.amdhsa_dx10_clamp 1
		.amdhsa_ieee_mode 1
		.amdhsa_fp16_overflow 0
		.amdhsa_tg_split 0
		.amdhsa_exception_fp_ieee_invalid_op 0
		.amdhsa_exception_fp_denorm_src 0
		.amdhsa_exception_fp_ieee_div_zero 0
		.amdhsa_exception_fp_ieee_overflow 0
		.amdhsa_exception_fp_ieee_underflow 0
		.amdhsa_exception_fp_ieee_inexact 0
		.amdhsa_exception_int_div_zero 0
	.end_amdhsa_kernel
	.section	.text._ZN9rocsparseL39gtsv_spike_backward_substitution_kernelILj256ELj2EdEEviiiPT1_PKS1_S4_,"axG",@progbits,_ZN9rocsparseL39gtsv_spike_backward_substitution_kernelILj256ELj2EdEEviiiPT1_PKS1_S4_,comdat
.Lfunc_end106:
	.size	_ZN9rocsparseL39gtsv_spike_backward_substitution_kernelILj256ELj2EdEEviiiPT1_PKS1_S4_, .Lfunc_end106-_ZN9rocsparseL39gtsv_spike_backward_substitution_kernelILj256ELj2EdEEviiiPT1_PKS1_S4_
                                        ; -- End function
	.set _ZN9rocsparseL39gtsv_spike_backward_substitution_kernelILj256ELj2EdEEviiiPT1_PKS1_S4_.num_vgpr, 0
	.set _ZN9rocsparseL39gtsv_spike_backward_substitution_kernelILj256ELj2EdEEviiiPT1_PKS1_S4_.num_agpr, 0
	.set _ZN9rocsparseL39gtsv_spike_backward_substitution_kernelILj256ELj2EdEEviiiPT1_PKS1_S4_.numbered_sgpr, 0
	.set _ZN9rocsparseL39gtsv_spike_backward_substitution_kernelILj256ELj2EdEEviiiPT1_PKS1_S4_.num_named_barrier, 0
	.set _ZN9rocsparseL39gtsv_spike_backward_substitution_kernelILj256ELj2EdEEviiiPT1_PKS1_S4_.private_seg_size, 0
	.set _ZN9rocsparseL39gtsv_spike_backward_substitution_kernelILj256ELj2EdEEviiiPT1_PKS1_S4_.uses_vcc, 0
	.set _ZN9rocsparseL39gtsv_spike_backward_substitution_kernelILj256ELj2EdEEviiiPT1_PKS1_S4_.uses_flat_scratch, 0
	.set _ZN9rocsparseL39gtsv_spike_backward_substitution_kernelILj256ELj2EdEEviiiPT1_PKS1_S4_.has_dyn_sized_stack, 0
	.set _ZN9rocsparseL39gtsv_spike_backward_substitution_kernelILj256ELj2EdEEviiiPT1_PKS1_S4_.has_recursion, 0
	.set _ZN9rocsparseL39gtsv_spike_backward_substitution_kernelILj256ELj2EdEEviiiPT1_PKS1_S4_.has_indirect_call, 0
	.section	.AMDGPU.csdata,"",@progbits
; Kernel info:
; codeLenInByte = 4
; TotalNumSgprs: 6
; NumVgprs: 0
; NumAgprs: 0
; TotalNumVgprs: 0
; ScratchSize: 0
; MemoryBound: 0
; FloatMode: 240
; IeeeMode: 1
; LDSByteSize: 0 bytes/workgroup (compile time only)
; SGPRBlocks: 0
; VGPRBlocks: 0
; NumSGPRsForWavesPerEU: 6
; NumVGPRsForWavesPerEU: 1
; AccumOffset: 4
; Occupancy: 8
; WaveLimiterHint : 0
; COMPUTE_PGM_RSRC2:SCRATCH_EN: 0
; COMPUTE_PGM_RSRC2:USER_SGPR: 2
; COMPUTE_PGM_RSRC2:TRAP_HANDLER: 0
; COMPUTE_PGM_RSRC2:TGID_X_EN: 1
; COMPUTE_PGM_RSRC2:TGID_Y_EN: 0
; COMPUTE_PGM_RSRC2:TGID_Z_EN: 0
; COMPUTE_PGM_RSRC2:TIDIG_COMP_CNT: 0
; COMPUTE_PGM_RSRC3_GFX90A:ACCUM_OFFSET: 0
; COMPUTE_PGM_RSRC3_GFX90A:TG_SPLIT: 0
	.section	.text._ZN9rocsparseL32gtsv_transpose_back_array_kernelILj256ELj2EdEEviiiPKT1_PS1_,"axG",@progbits,_ZN9rocsparseL32gtsv_transpose_back_array_kernelILj256ELj2EdEEviiiPKT1_PS1_,comdat
	.globl	_ZN9rocsparseL32gtsv_transpose_back_array_kernelILj256ELj2EdEEviiiPKT1_PS1_ ; -- Begin function _ZN9rocsparseL32gtsv_transpose_back_array_kernelILj256ELj2EdEEviiiPKT1_PS1_
	.p2align	8
	.type	_ZN9rocsparseL32gtsv_transpose_back_array_kernelILj256ELj2EdEEviiiPKT1_PS1_,@function
_ZN9rocsparseL32gtsv_transpose_back_array_kernelILj256ELj2EdEEviiiPKT1_PS1_: ; @_ZN9rocsparseL32gtsv_transpose_back_array_kernelILj256ELj2EdEEviiiPKT1_PS1_
; %bb.0:
	s_load_dwordx4 s[4:7], s[0:1], 0x0
	v_lshl_or_b32 v0, s2, 8, v0
	v_lshlrev_b32_e32 v2, 1, v0
	s_waitcnt lgkmcnt(0)
	v_cvt_f32_u32_e32 v1, s5
	s_sub_i32 s2, 0, s5
	v_rcp_iflag_f32_e32 v1, v1
	s_nop 0
	v_mul_f32_e32 v1, 0x4f7ffffe, v1
	v_cvt_u32_f32_e32 v1, v1
	v_mul_lo_u32 v3, s2, v1
	v_mul_hi_u32 v3, v1, v3
	v_add_u32_e32 v1, v1, v3
	v_mul_hi_u32 v1, v2, v1
	v_mul_lo_u32 v3, v1, s5
	v_sub_u32_e32 v3, v2, v3
	v_add_u32_e32 v4, 1, v1
	v_cmp_le_u32_e32 vcc, s5, v3
	s_nop 1
	v_cndmask_b32_e32 v1, v1, v4, vcc
	v_subrev_u32_e32 v4, s5, v3
	v_cndmask_b32_e32 v3, v3, v4, vcc
	v_add_u32_e32 v4, 1, v1
	v_cmp_le_u32_e32 vcc, s5, v3
	s_nop 1
	v_cndmask_b32_e32 v1, v1, v4, vcc
	v_mul_lo_u32 v3, v1, s5
	v_sub_u32_e32 v2, v2, v3
	v_add_u32_e32 v1, v1, v2
	v_cmp_gt_i32_e32 vcc, s4, v1
	s_and_saveexec_b64 s[8:9], vcc
	s_cbranch_execz .LBB107_2
; %bb.1:
	s_load_dwordx4 s[8:11], s[0:1], 0x10
	s_mul_i32 s0, s5, s3
	v_add_u32_e32 v2, s0, v0
	v_ashrrev_i32_e32 v3, 31, v2
	s_mul_i32 s0, s6, s3
	s_waitcnt lgkmcnt(0)
	v_lshl_add_u64 v[2:3], v[2:3], 3, s[8:9]
	global_load_dwordx2 v[2:3], v[2:3], off
	v_add_u32_e32 v0, s0, v1
	v_ashrrev_i32_e32 v1, 31, v0
	v_lshl_add_u64 v[0:1], v[0:1], 3, s[10:11]
	s_waitcnt vmcnt(0)
	global_store_dwordx2 v[0:1], v[2:3], off
.LBB107_2:
	s_endpgm
	.section	.rodata,"a",@progbits
	.p2align	6, 0x0
	.amdhsa_kernel _ZN9rocsparseL32gtsv_transpose_back_array_kernelILj256ELj2EdEEviiiPKT1_PS1_
		.amdhsa_group_segment_fixed_size 0
		.amdhsa_private_segment_fixed_size 0
		.amdhsa_kernarg_size 32
		.amdhsa_user_sgpr_count 2
		.amdhsa_user_sgpr_dispatch_ptr 0
		.amdhsa_user_sgpr_queue_ptr 0
		.amdhsa_user_sgpr_kernarg_segment_ptr 1
		.amdhsa_user_sgpr_dispatch_id 0
		.amdhsa_user_sgpr_kernarg_preload_length 0
		.amdhsa_user_sgpr_kernarg_preload_offset 0
		.amdhsa_user_sgpr_private_segment_size 0
		.amdhsa_uses_dynamic_stack 0
		.amdhsa_enable_private_segment 0
		.amdhsa_system_sgpr_workgroup_id_x 1
		.amdhsa_system_sgpr_workgroup_id_y 1
		.amdhsa_system_sgpr_workgroup_id_z 0
		.amdhsa_system_sgpr_workgroup_info 0
		.amdhsa_system_vgpr_workitem_id 0
		.amdhsa_next_free_vgpr 5
		.amdhsa_next_free_sgpr 12
		.amdhsa_accum_offset 8
		.amdhsa_reserve_vcc 1
		.amdhsa_float_round_mode_32 0
		.amdhsa_float_round_mode_16_64 0
		.amdhsa_float_denorm_mode_32 3
		.amdhsa_float_denorm_mode_16_64 3
		.amdhsa_dx10_clamp 1
		.amdhsa_ieee_mode 1
		.amdhsa_fp16_overflow 0
		.amdhsa_tg_split 0
		.amdhsa_exception_fp_ieee_invalid_op 0
		.amdhsa_exception_fp_denorm_src 0
		.amdhsa_exception_fp_ieee_div_zero 0
		.amdhsa_exception_fp_ieee_overflow 0
		.amdhsa_exception_fp_ieee_underflow 0
		.amdhsa_exception_fp_ieee_inexact 0
		.amdhsa_exception_int_div_zero 0
	.end_amdhsa_kernel
	.section	.text._ZN9rocsparseL32gtsv_transpose_back_array_kernelILj256ELj2EdEEviiiPKT1_PS1_,"axG",@progbits,_ZN9rocsparseL32gtsv_transpose_back_array_kernelILj256ELj2EdEEviiiPKT1_PS1_,comdat
.Lfunc_end107:
	.size	_ZN9rocsparseL32gtsv_transpose_back_array_kernelILj256ELj2EdEEviiiPKT1_PS1_, .Lfunc_end107-_ZN9rocsparseL32gtsv_transpose_back_array_kernelILj256ELj2EdEEviiiPKT1_PS1_
                                        ; -- End function
	.set _ZN9rocsparseL32gtsv_transpose_back_array_kernelILj256ELj2EdEEviiiPKT1_PS1_.num_vgpr, 5
	.set _ZN9rocsparseL32gtsv_transpose_back_array_kernelILj256ELj2EdEEviiiPKT1_PS1_.num_agpr, 0
	.set _ZN9rocsparseL32gtsv_transpose_back_array_kernelILj256ELj2EdEEviiiPKT1_PS1_.numbered_sgpr, 12
	.set _ZN9rocsparseL32gtsv_transpose_back_array_kernelILj256ELj2EdEEviiiPKT1_PS1_.num_named_barrier, 0
	.set _ZN9rocsparseL32gtsv_transpose_back_array_kernelILj256ELj2EdEEviiiPKT1_PS1_.private_seg_size, 0
	.set _ZN9rocsparseL32gtsv_transpose_back_array_kernelILj256ELj2EdEEviiiPKT1_PS1_.uses_vcc, 1
	.set _ZN9rocsparseL32gtsv_transpose_back_array_kernelILj256ELj2EdEEviiiPKT1_PS1_.uses_flat_scratch, 0
	.set _ZN9rocsparseL32gtsv_transpose_back_array_kernelILj256ELj2EdEEviiiPKT1_PS1_.has_dyn_sized_stack, 0
	.set _ZN9rocsparseL32gtsv_transpose_back_array_kernelILj256ELj2EdEEviiiPKT1_PS1_.has_recursion, 0
	.set _ZN9rocsparseL32gtsv_transpose_back_array_kernelILj256ELj2EdEEviiiPKT1_PS1_.has_indirect_call, 0
	.section	.AMDGPU.csdata,"",@progbits
; Kernel info:
; codeLenInByte = 236
; TotalNumSgprs: 18
; NumVgprs: 5
; NumAgprs: 0
; TotalNumVgprs: 5
; ScratchSize: 0
; MemoryBound: 0
; FloatMode: 240
; IeeeMode: 1
; LDSByteSize: 0 bytes/workgroup (compile time only)
; SGPRBlocks: 2
; VGPRBlocks: 0
; NumSGPRsForWavesPerEU: 18
; NumVGPRsForWavesPerEU: 5
; AccumOffset: 8
; Occupancy: 8
; WaveLimiterHint : 0
; COMPUTE_PGM_RSRC2:SCRATCH_EN: 0
; COMPUTE_PGM_RSRC2:USER_SGPR: 2
; COMPUTE_PGM_RSRC2:TRAP_HANDLER: 0
; COMPUTE_PGM_RSRC2:TGID_X_EN: 1
; COMPUTE_PGM_RSRC2:TGID_Y_EN: 1
; COMPUTE_PGM_RSRC2:TGID_Z_EN: 0
; COMPUTE_PGM_RSRC2:TIDIG_COMP_CNT: 0
; COMPUTE_PGM_RSRC3_GFX90A:ACCUM_OFFSET: 1
; COMPUTE_PGM_RSRC3_GFX90A:TG_SPLIT: 0
	.section	.text._ZN9rocsparseL42gtsv_transpose_and_pad_array_shared_kernelILj256ELj4EdEEviiiPKT1_PS1_S1_,"axG",@progbits,_ZN9rocsparseL42gtsv_transpose_and_pad_array_shared_kernelILj256ELj4EdEEviiiPKT1_PS1_S1_,comdat
	.globl	_ZN9rocsparseL42gtsv_transpose_and_pad_array_shared_kernelILj256ELj4EdEEviiiPKT1_PS1_S1_ ; -- Begin function _ZN9rocsparseL42gtsv_transpose_and_pad_array_shared_kernelILj256ELj4EdEEviiiPKT1_PS1_S1_
	.p2align	8
	.type	_ZN9rocsparseL42gtsv_transpose_and_pad_array_shared_kernelILj256ELj4EdEEviiiPKT1_PS1_S1_,@function
_ZN9rocsparseL42gtsv_transpose_and_pad_array_shared_kernelILj256ELj4EdEEviiiPKT1_PS1_S1_: ; @_ZN9rocsparseL42gtsv_transpose_and_pad_array_shared_kernelILj256ELj4EdEEviiiPKT1_PS1_S1_
; %bb.0:
	s_load_dwordx4 s[4:7], s[0:1], 0x0
	s_load_dwordx2 s[8:9], s[0:1], 0x20
	v_lshl_or_b32 v1, s2, 8, v0
	s_waitcnt lgkmcnt(0)
	v_cmp_gt_i32_e32 vcc, s4, v1
	v_mov_b64_e32 v[4:5], s[8:9]
	s_and_saveexec_b64 s[8:9], vcc
	s_cbranch_execz .LBB108_2
; %bb.1:
	s_load_dwordx2 s[10:11], s[0:1], 0x10
	s_mul_i32 s4, s6, s3
	v_add_u32_e32 v2, s4, v1
	v_ashrrev_i32_e32 v3, 31, v2
	s_waitcnt lgkmcnt(0)
	v_lshl_add_u64 v[2:3], v[2:3], 3, s[10:11]
	global_load_dwordx2 v[4:5], v[2:3], off
.LBB108_2:
	s_or_b64 exec, exec, s[8:9]
	v_lshrrev_b32_e32 v2, 6, v0
	v_and_b32_e32 v3, 63, v0
	v_lshlrev_b32_e32 v0, 3, v0
	s_waitcnt vmcnt(0)
	ds_write_b64 v0, v[4:5]
	s_lshr_b32 s4, s5, 2
	v_lshl_or_b32 v0, s2, 6, v3
	v_mad_u64_u32 v[0:1], s[6:7], s4, v2, v[0:1]
	v_cmp_gt_i32_e32 vcc, s5, v0
	s_waitcnt lgkmcnt(0)
	s_barrier
	s_and_saveexec_b64 s[6:7], vcc
	s_cbranch_execz .LBB108_4
; %bb.3:
	v_lshlrev_b32_e32 v1, 3, v2
	s_load_dwordx2 s[0:1], s[0:1], 0x18
	v_lshl_or_b32 v1, v3, 5, v1
	ds_read_b64 v[2:3], v1
	s_mul_i32 s2, s5, s3
	v_add_u32_e32 v0, s2, v0
	v_ashrrev_i32_e32 v1, 31, v0
	s_waitcnt lgkmcnt(0)
	v_lshl_add_u64 v[0:1], v[0:1], 3, s[0:1]
	global_store_dwordx2 v[0:1], v[2:3], off
.LBB108_4:
	s_endpgm
	.section	.rodata,"a",@progbits
	.p2align	6, 0x0
	.amdhsa_kernel _ZN9rocsparseL42gtsv_transpose_and_pad_array_shared_kernelILj256ELj4EdEEviiiPKT1_PS1_S1_
		.amdhsa_group_segment_fixed_size 2048
		.amdhsa_private_segment_fixed_size 0
		.amdhsa_kernarg_size 40
		.amdhsa_user_sgpr_count 2
		.amdhsa_user_sgpr_dispatch_ptr 0
		.amdhsa_user_sgpr_queue_ptr 0
		.amdhsa_user_sgpr_kernarg_segment_ptr 1
		.amdhsa_user_sgpr_dispatch_id 0
		.amdhsa_user_sgpr_kernarg_preload_length 0
		.amdhsa_user_sgpr_kernarg_preload_offset 0
		.amdhsa_user_sgpr_private_segment_size 0
		.amdhsa_uses_dynamic_stack 0
		.amdhsa_enable_private_segment 0
		.amdhsa_system_sgpr_workgroup_id_x 1
		.amdhsa_system_sgpr_workgroup_id_y 1
		.amdhsa_system_sgpr_workgroup_id_z 0
		.amdhsa_system_sgpr_workgroup_info 0
		.amdhsa_system_vgpr_workitem_id 0
		.amdhsa_next_free_vgpr 6
		.amdhsa_next_free_sgpr 12
		.amdhsa_accum_offset 8
		.amdhsa_reserve_vcc 1
		.amdhsa_float_round_mode_32 0
		.amdhsa_float_round_mode_16_64 0
		.amdhsa_float_denorm_mode_32 3
		.amdhsa_float_denorm_mode_16_64 3
		.amdhsa_dx10_clamp 1
		.amdhsa_ieee_mode 1
		.amdhsa_fp16_overflow 0
		.amdhsa_tg_split 0
		.amdhsa_exception_fp_ieee_invalid_op 0
		.amdhsa_exception_fp_denorm_src 0
		.amdhsa_exception_fp_ieee_div_zero 0
		.amdhsa_exception_fp_ieee_overflow 0
		.amdhsa_exception_fp_ieee_underflow 0
		.amdhsa_exception_fp_ieee_inexact 0
		.amdhsa_exception_int_div_zero 0
	.end_amdhsa_kernel
	.section	.text._ZN9rocsparseL42gtsv_transpose_and_pad_array_shared_kernelILj256ELj4EdEEviiiPKT1_PS1_S1_,"axG",@progbits,_ZN9rocsparseL42gtsv_transpose_and_pad_array_shared_kernelILj256ELj4EdEEviiiPKT1_PS1_S1_,comdat
.Lfunc_end108:
	.size	_ZN9rocsparseL42gtsv_transpose_and_pad_array_shared_kernelILj256ELj4EdEEviiiPKT1_PS1_S1_, .Lfunc_end108-_ZN9rocsparseL42gtsv_transpose_and_pad_array_shared_kernelILj256ELj4EdEEviiiPKT1_PS1_S1_
                                        ; -- End function
	.set _ZN9rocsparseL42gtsv_transpose_and_pad_array_shared_kernelILj256ELj4EdEEviiiPKT1_PS1_S1_.num_vgpr, 6
	.set _ZN9rocsparseL42gtsv_transpose_and_pad_array_shared_kernelILj256ELj4EdEEviiiPKT1_PS1_S1_.num_agpr, 0
	.set _ZN9rocsparseL42gtsv_transpose_and_pad_array_shared_kernelILj256ELj4EdEEviiiPKT1_PS1_S1_.numbered_sgpr, 12
	.set _ZN9rocsparseL42gtsv_transpose_and_pad_array_shared_kernelILj256ELj4EdEEviiiPKT1_PS1_S1_.num_named_barrier, 0
	.set _ZN9rocsparseL42gtsv_transpose_and_pad_array_shared_kernelILj256ELj4EdEEviiiPKT1_PS1_S1_.private_seg_size, 0
	.set _ZN9rocsparseL42gtsv_transpose_and_pad_array_shared_kernelILj256ELj4EdEEviiiPKT1_PS1_S1_.uses_vcc, 1
	.set _ZN9rocsparseL42gtsv_transpose_and_pad_array_shared_kernelILj256ELj4EdEEviiiPKT1_PS1_S1_.uses_flat_scratch, 0
	.set _ZN9rocsparseL42gtsv_transpose_and_pad_array_shared_kernelILj256ELj4EdEEviiiPKT1_PS1_S1_.has_dyn_sized_stack, 0
	.set _ZN9rocsparseL42gtsv_transpose_and_pad_array_shared_kernelILj256ELj4EdEEviiiPKT1_PS1_S1_.has_recursion, 0
	.set _ZN9rocsparseL42gtsv_transpose_and_pad_array_shared_kernelILj256ELj4EdEEviiiPKT1_PS1_S1_.has_indirect_call, 0
	.section	.AMDGPU.csdata,"",@progbits
; Kernel info:
; codeLenInByte = 216
; TotalNumSgprs: 18
; NumVgprs: 6
; NumAgprs: 0
; TotalNumVgprs: 6
; ScratchSize: 0
; MemoryBound: 0
; FloatMode: 240
; IeeeMode: 1
; LDSByteSize: 2048 bytes/workgroup (compile time only)
; SGPRBlocks: 2
; VGPRBlocks: 0
; NumSGPRsForWavesPerEU: 18
; NumVGPRsForWavesPerEU: 6
; AccumOffset: 8
; Occupancy: 8
; WaveLimiterHint : 0
; COMPUTE_PGM_RSRC2:SCRATCH_EN: 0
; COMPUTE_PGM_RSRC2:USER_SGPR: 2
; COMPUTE_PGM_RSRC2:TRAP_HANDLER: 0
; COMPUTE_PGM_RSRC2:TGID_X_EN: 1
; COMPUTE_PGM_RSRC2:TGID_Y_EN: 1
; COMPUTE_PGM_RSRC2:TGID_Z_EN: 0
; COMPUTE_PGM_RSRC2:TIDIG_COMP_CNT: 0
; COMPUTE_PGM_RSRC3_GFX90A:ACCUM_OFFSET: 1
; COMPUTE_PGM_RSRC3_GFX90A:TG_SPLIT: 0
	.section	.text._ZN9rocsparseL18gtsv_LBM_wv_kernelILj256ELj4EdEEviiiPKT1_S3_S3_PS1_S4_S4_Pi,"axG",@progbits,_ZN9rocsparseL18gtsv_LBM_wv_kernelILj256ELj4EdEEviiiPKT1_S3_S3_PS1_S4_S4_Pi,comdat
	.globl	_ZN9rocsparseL18gtsv_LBM_wv_kernelILj256ELj4EdEEviiiPKT1_S3_S3_PS1_S4_S4_Pi ; -- Begin function _ZN9rocsparseL18gtsv_LBM_wv_kernelILj256ELj4EdEEviiiPKT1_S3_S3_PS1_S4_S4_Pi
	.p2align	8
	.type	_ZN9rocsparseL18gtsv_LBM_wv_kernelILj256ELj4EdEEviiiPKT1_S3_S3_PS1_S4_S4_Pi,@function
_ZN9rocsparseL18gtsv_LBM_wv_kernelILj256ELj4EdEEviiiPKT1_S3_S3_PS1_S4_S4_Pi: ; @_ZN9rocsparseL18gtsv_LBM_wv_kernelILj256ELj4EdEEviiiPKT1_S3_S3_PS1_S4_S4_Pi
; %bb.0:
	s_load_dword s27, s[0:1], 0x0
	v_lshl_or_b32 v0, s2, 8, v0
	s_waitcnt lgkmcnt(0)
	s_lshr_b32 s26, s27, 2
	v_cmp_gt_i32_e32 vcc, s26, v0
	s_and_saveexec_b64 s[2:3], vcc
	s_cbranch_execz .LBB109_30
; %bb.1:
	s_load_dwordx2 s[16:17], s[0:1], 0x10
	s_load_dwordx8 s[8:15], s[0:1], 0x20
	v_ashrrev_i32_e32 v1, 31, v0
	s_mul_i32 s28, s26, 3
	v_lshlrev_b64 v[2:3], 3, v[0:1]
	v_add_u32_e32 v6, s28, v0
	v_mov_b32_e32 v7, 0
	s_waitcnt lgkmcnt(0)
	v_lshl_add_u64 v[4:5], s[16:17], 0, v[2:3]
	v_lshlrev_b64 v[8:9], 3, v[6:7]
	global_load_dwordx2 v[4:5], v[4:5], off
	v_lshl_add_u64 v[10:11], s[8:9], 0, v[8:9]
	global_load_dwordx2 v[10:11], v[10:11], off
	s_load_dwordx2 s[6:7], s[0:1], 0x40
	v_lshl_add_u64 v[2:3], s[10:11], 0, v[2:3]
	s_cmp_lt_i32 s27, 1
	v_add_u32_e32 v36, s26, v0
	v_lshl_add_u64 v[8:9], s[12:13], 0, v[8:9]
	s_waitcnt vmcnt(1)
	global_store_dwordx2 v[2:3], v[4:5], off
	s_waitcnt vmcnt(1)
	global_store_dwordx2 v[8:9], v[10:11], off
	v_mov_b32_e32 v4, v7
	s_cbranch_scc1 .LBB109_23
; %bb.2:
	s_load_dwordx2 s[18:19], s[0:1], 0x18
	s_mov_b32 s22, 0x372fe950
	s_lshl_b32 s29, s26, 1
	s_mov_b64 s[20:21], 0
	s_mov_b32 s23, 0x3fe3c6ef
	s_waitcnt lgkmcnt(0)
	v_lshl_add_u64 v[4:5], v[0:1], 3, s[18:19]
	global_load_dwordx2 v[6:7], v[4:5], off
	v_add_u32_e32 v1, s26, v36
	v_mov_b32_e32 v4, 0
	v_mov_b32_e32 v37, 2
	v_mov_b32_e32 v38, 1
	s_branch .LBB109_5
.LBB109_3:                              ;   in Loop: Header=BB109_5 Depth=1
	s_or_b64 exec, exec, s[4:5]
	v_fma_f64 v[6:7], -v[6:7], v[20:21], v[10:11]
	v_mov_b32_e32 v5, s26
.LBB109_4:                              ;   in Loop: Header=BB109_5 Depth=1
	s_or_b64 exec, exec, s[2:3]
	v_add_u32_e32 v4, v5, v4
	v_cmp_le_i32_e32 vcc, s27, v4
	s_or_b64 s[20:21], vcc, s[20:21]
	s_andn2_b64 exec, exec, s[20:21]
	s_cbranch_execz .LBB109_22
.LBB109_5:                              ; =>This Inner Loop Header: Depth=1
	v_add_u32_e32 v14, v4, v0
	v_ashrrev_i32_e32 v15, 31, v14
	v_lshl_add_u64 v[8:9], v[14:15], 3, s[8:9]
	global_load_dwordx2 v[12:13], v[8:9], off
	v_cmp_gt_u32_e64 s[0:1], s28, v4
	v_mov_b64_e32 v[10:11], 0
	v_mov_b64_e32 v[8:9], 0
	s_and_saveexec_b64 s[2:3], s[0:1]
	s_cbranch_execz .LBB109_7
; %bb.6:                                ;   in Loop: Header=BB109_5 Depth=1
	v_add_u32_e32 v8, v36, v4
	v_ashrrev_i32_e32 v9, 31, v8
	v_lshl_add_u64 v[8:9], v[8:9], 3, s[16:17]
	global_load_dwordx2 v[8:9], v[8:9], off
.LBB109_7:                              ;   in Loop: Header=BB109_5 Depth=1
	s_or_b64 exec, exec, s[2:3]
	s_and_saveexec_b64 s[2:3], s[0:1]
	s_cbranch_execz .LBB109_9
; %bb.8:                                ;   in Loop: Header=BB109_5 Depth=1
	v_add_u32_e32 v10, v36, v4
	v_ashrrev_i32_e32 v11, 31, v10
	v_lshl_add_u64 v[10:11], v[10:11], 3, s[18:19]
	global_load_dwordx2 v[10:11], v[10:11], off
.LBB109_9:                              ;   in Loop: Header=BB109_5 Depth=1
	s_or_b64 exec, exec, s[2:3]
	v_mov_b64_e32 v[18:19], 0
	v_mov_b64_e32 v[16:17], 0
	s_and_saveexec_b64 s[2:3], s[0:1]
	s_cbranch_execz .LBB109_11
; %bb.10:                               ;   in Loop: Header=BB109_5 Depth=1
	v_add_u32_e32 v16, v36, v4
	v_ashrrev_i32_e32 v17, 31, v16
	v_lshl_add_u64 v[16:17], v[16:17], 3, s[8:9]
	global_load_dwordx2 v[16:17], v[16:17], off
.LBB109_11:                             ;   in Loop: Header=BB109_5 Depth=1
	s_or_b64 exec, exec, s[2:3]
	v_cmp_gt_u32_e64 s[2:3], s29, v4
	s_and_saveexec_b64 s[4:5], s[2:3]
	s_cbranch_execz .LBB109_13
; %bb.12:                               ;   in Loop: Header=BB109_5 Depth=1
	v_add_u32_e32 v18, v1, v4
	v_ashrrev_i32_e32 v19, 31, v18
	v_lshl_add_u64 v[18:19], v[18:19], 3, s[16:17]
	global_load_dwordx2 v[18:19], v[18:19], off
.LBB109_13:                             ;   in Loop: Header=BB109_5 Depth=1
	s_or_b64 exec, exec, s[4:5]
	s_waitcnt vmcnt(0)
	v_xor_b32_e32 v5, 0x80000000, v9
	v_cmp_gt_f64_e32 vcc, 0, v[8:9]
	v_mov_b32_e32 v20, v8
	v_mov_b32_e32 v22, v18
	v_cndmask_b32_e32 v21, v9, v5, vcc
	v_xor_b32_e32 v5, 0x80000000, v19
	v_cmp_gt_f64_e32 vcc, 0, v[18:19]
	v_cmp_ne_u32_e64 s[4:5], s28, v4
	s_nop 0
	v_cndmask_b32_e32 v23, v19, v5, vcc
	v_cmp_lt_f64_e32 vcc, v[20:21], v[22:23]
	v_xor_b32_e32 v5, 0x80000000, v11
	v_mov_b32_e32 v22, v10
	v_cndmask_b32_e32 v21, v21, v23, vcc
	v_cndmask_b32_e32 v20, v8, v18, vcc
	v_cmp_gt_f64_e32 vcc, 0, v[10:11]
	s_nop 1
	v_cndmask_b32_e32 v23, v11, v5, vcc
	v_cmp_lt_f64_e32 vcc, v[22:23], v[20:21]
	v_xor_b32_e32 v5, 0x80000000, v13
	v_mov_b32_e32 v22, v12
	v_cndmask_b32_e32 v21, v23, v21, vcc
	v_cndmask_b32_e32 v20, v10, v20, vcc
	v_cmp_gt_f64_e32 vcc, 0, v[12:13]
	;; [unrolled: 8-line block ×4, first 2 shown]
	s_nop 1
	v_cndmask_b32_e32 v23, v7, v5, vcc
	v_mul_f64 v[22:23], v[22:23], v[20:21]
	v_mul_f64 v[20:21], v[12:13], v[8:9]
	v_xor_b32_e32 v5, 0x80000000, v21
	v_cmp_gt_f64_e32 vcc, 0, v[20:21]
	v_mov_b32_e32 v24, v20
	s_nop 0
	v_cndmask_b32_e32 v25, v21, v5, vcc
	v_mul_f64 v[24:25], v[24:25], s[22:23]
	v_cmp_nge_f64_e32 vcc, v[22:23], v[24:25]
	s_and_b64 s[4:5], s[4:5], vcc
	s_and_saveexec_b64 s[24:25], s[4:5]
	s_xor_b64 s[4:5], exec, s[24:25]
	s_cbranch_execz .LBB109_19
; %bb.14:                               ;   in Loop: Header=BB109_5 Depth=1
	v_add_u32_e32 v26, v36, v4
	v_ashrrev_i32_e32 v27, 31, v26
	v_lshlrev_b64 v[30:31], 3, v[26:27]
	v_ashrrev_i32_e32 v5, 31, v4
	v_lshl_add_u64 v[28:29], s[10:11], 0, v[30:31]
	v_lshl_add_u64 v[40:41], v[4:5], 3, v[2:3]
	global_load_dwordx2 v[24:25], v[28:29], off
	v_lshlrev_b64 v[42:43], 3, v[14:15]
	v_lshl_add_u64 v[30:31], s[12:13], 0, v[30:31]
	global_load_dwordx2 v[22:23], v[40:41], off
	global_load_dwordx2 v[32:33], v[30:31], off
	v_lshl_add_u64 v[44:45], s[12:13], 0, v[42:43]
	global_load_dwordx2 v[34:35], v[44:45], off
	v_fma_f64 v[20:21], v[6:7], v[10:11], -v[20:21]
	v_lshl_add_u64 v[48:49], v[14:15], 2, s[6:7]
	v_div_scale_f64 v[14:15], s[24:25], v[20:21], v[20:21], 1.0
	v_rcp_f64_e32 v[50:51], v[14:15]
	v_div_scale_f64 v[52:53], vcc, 1.0, v[20:21], 1.0
	v_mul_f64 v[46:47], v[16:17], -v[12:13]
	v_fma_f64 v[54:55], -v[14:15], v[50:51], 1.0
	v_fmac_f64_e32 v[50:51], v[50:51], v[54:55]
	v_fma_f64 v[54:55], -v[14:15], v[50:51], 1.0
	v_fmac_f64_e32 v[50:51], v[50:51], v[54:55]
	v_mul_f64 v[54:55], v[52:53], v[50:51]
	v_fma_f64 v[14:15], -v[14:15], v[54:55], v[52:53]
	v_div_fmas_f64 v[14:15], v[14:15], v[50:51], v[54:55]
	v_div_fixup_f64 v[14:15], v[14:15], v[20:21], 1.0
	v_lshl_add_u64 v[42:43], s[14:15], 0, v[42:43]
	v_mul_f64 v[20:21], v[14:15], v[46:47]
	global_store_dwordx2 v[42:43], v[20:21], off
	s_waitcnt vmcnt(4)
	v_mul_f64 v[20:21], v[12:13], v[24:25]
	s_waitcnt vmcnt(3)
	v_fma_f64 v[20:21], v[10:11], v[22:23], -v[20:21]
	s_waitcnt vmcnt(2)
	v_mul_f64 v[12:13], v[12:13], v[32:33]
	s_waitcnt vmcnt(1)
	v_fma_f64 v[10:11], v[10:11], v[34:35], -v[12:13]
	v_mul_f64 v[12:13], v[14:15], v[20:21]
	v_mul_f64 v[10:11], v[14:15], v[10:11]
	global_store_dwordx2 v[40:41], v[12:13], off
	global_store_dwordx2 v[44:45], v[10:11], off
	global_store_dword v[48:49], v37, off
	s_and_saveexec_b64 s[24:25], s[0:1]
	s_cbranch_execz .LBB109_16
; %bb.15:                               ;   in Loop: Header=BB109_5 Depth=1
	v_mul_f64 v[10:11], v[8:9], v[22:23]
	v_fma_f64 v[10:11], v[6:7], v[24:25], -v[10:11]
	v_mul_f64 v[10:11], v[14:15], v[10:11]
	global_store_dwordx2 v[28:29], v[10:11], off
	v_mul_f64 v[10:11], v[8:9], v[34:35]
	v_fma_f64 v[10:11], v[6:7], v[32:33], -v[10:11]
	v_mul_f64 v[10:11], v[14:15], v[10:11]
	global_store_dwordx2 v[30:31], v[10:11], off
	v_mul_f64 v[10:11], v[6:7], v[16:17]
	v_mul_f64 v[10:11], v[14:15], v[10:11]
	v_lshl_add_u64 v[12:13], v[26:27], 3, s[14:15]
	global_store_dwordx2 v[12:13], v[10:11], off
	v_lshl_add_u64 v[10:11], v[26:27], 2, s[6:7]
	global_store_dword v[10:11], v37, off
.LBB109_16:                             ;   in Loop: Header=BB109_5 Depth=1
	s_or_b64 exec, exec, s[24:25]
	v_mov_b64_e32 v[10:11], 0
	s_and_saveexec_b64 s[24:25], s[2:3]
	s_cbranch_execz .LBB109_18
; %bb.17:                               ;   in Loop: Header=BB109_5 Depth=1
	v_add_u32_e32 v10, v1, v4
	v_ashrrev_i32_e32 v11, 31, v10
	v_lshlrev_b64 v[10:11], 3, v[10:11]
	v_lshl_add_u64 v[12:13], s[10:11], 0, v[10:11]
	v_lshl_add_u64 v[10:11], s[18:19], 0, v[10:11]
	global_load_dwordx2 v[20:21], v[12:13], off
	v_mul_f64 v[6:7], v[6:7], v[18:19]
	global_load_dwordx2 v[10:11], v[10:11], off
	v_mul_f64 v[8:9], v[18:19], v[8:9]
	v_mul_f64 v[18:19], v[14:15], v[6:7]
	;; [unrolled: 1-line block ×5, first 2 shown]
	v_fma_f64 v[8:9], v[8:9], v[22:23], -v[16:17]
	s_waitcnt vmcnt(1)
	v_add_f64 v[8:9], v[8:9], v[20:21]
	global_store_dwordx2 v[12:13], v[8:9], off
	s_waitcnt vmcnt(1)
	v_fma_f64 v[10:11], -v[14:15], v[6:7], v[10:11]
.LBB109_18:                             ;   in Loop: Header=BB109_5 Depth=1
	s_or_b64 exec, exec, s[24:25]
	v_mov_b64_e32 v[6:7], v[10:11]
                                        ; implicit-def: $vgpr20_vgpr21
                                        ; implicit-def: $vgpr10_vgpr11
                                        ; implicit-def: $vgpr12_vgpr13
                                        ; implicit-def: $vgpr14_vgpr15
                                        ; implicit-def: $vgpr8_vgpr9
.LBB109_19:                             ;   in Loop: Header=BB109_5 Depth=1
	s_or_saveexec_b64 s[2:3], s[4:5]
	v_mov_b32_e32 v5, s29
	s_xor_b64 exec, exec, s[2:3]
	s_cbranch_execz .LBB109_4
; %bb.20:                               ;   in Loop: Header=BB109_5 Depth=1
	v_ashrrev_i32_e32 v5, 31, v4
	v_lshl_add_u64 v[18:19], v[4:5], 3, v[2:3]
	v_lshlrev_b64 v[22:23], 3, v[14:15]
	global_load_dwordx2 v[16:17], v[18:19], off
	v_lshl_add_u64 v[24:25], s[12:13], 0, v[22:23]
	global_load_dwordx2 v[26:27], v[24:25], off
	v_div_scale_f64 v[28:29], s[4:5], v[6:7], v[6:7], 1.0
	v_rcp_f64_e32 v[30:31], v[28:29]
	v_div_scale_f64 v[32:33], vcc, 1.0, v[6:7], 1.0
	v_lshl_add_u64 v[22:23], s[14:15], 0, v[22:23]
	v_fma_f64 v[34:35], -v[28:29], v[30:31], 1.0
	v_fmac_f64_e32 v[30:31], v[30:31], v[34:35]
	v_fma_f64 v[34:35], -v[28:29], v[30:31], 1.0
	v_fmac_f64_e32 v[30:31], v[30:31], v[34:35]
	v_mul_f64 v[34:35], v[32:33], v[30:31]
	v_fma_f64 v[28:29], -v[28:29], v[34:35], v[32:33]
	v_div_fmas_f64 v[28:29], v[28:29], v[30:31], v[34:35]
	v_div_fixup_f64 v[6:7], v[28:29], v[6:7], 1.0
	v_mul_f64 v[12:13], v[6:7], v[12:13]
	global_store_dwordx2 v[22:23], v[12:13], off
	v_lshl_add_u64 v[14:15], v[14:15], 2, s[6:7]
	s_waitcnt vmcnt(2)
	v_mul_f64 v[12:13], v[6:7], v[16:17]
	s_waitcnt vmcnt(1)
	v_mul_f64 v[22:23], v[6:7], v[26:27]
	global_store_dwordx2 v[18:19], v[12:13], off
	global_store_dwordx2 v[24:25], v[22:23], off
	global_store_dword v[14:15], v38, off
	s_and_saveexec_b64 s[4:5], s[0:1]
	s_cbranch_execz .LBB109_3
; %bb.21:                               ;   in Loop: Header=BB109_5 Depth=1
	v_add_u32_e32 v12, v36, v4
	v_ashrrev_i32_e32 v13, 31, v12
	v_lshl_add_u64 v[12:13], v[12:13], 3, s[10:11]
	global_load_dwordx2 v[14:15], v[12:13], off
	v_mul_f64 v[8:9], v[8:9], v[6:7]
	s_waitcnt vmcnt(0)
	v_fma_f64 v[8:9], -v[8:9], v[16:17], v[14:15]
	global_store_dwordx2 v[12:13], v[8:9], off
	s_branch .LBB109_3
.LBB109_22:
	s_or_b64 exec, exec, s[20:21]
.LBB109_23:
	v_subrev_u32_e32 v1, s26, v4
	v_add_u32_e32 v4, v1, v0
	v_ashrrev_i32_e32 v5, 31, v4
	s_waitcnt lgkmcnt(0)
	v_lshl_add_u64 v[4:5], v[4:5], 2, s[6:7]
	buffer_wbl2 sc1
	s_waitcnt vmcnt(0)
	buffer_inv sc1
	global_load_dword v4, v[4:5], off
	s_waitcnt vmcnt(0)
	v_mul_lo_u32 v4, v4, s26
	v_sub_u32_e32 v4, v1, v4
	v_cmp_lt_i32_e32 vcc, -1, v4
	s_and_b64 exec, exec, vcc
	s_cbranch_execz .LBB109_30
; %bb.24:
	v_subrev_u32_e32 v1, s26, v0
	s_lshl_b32 s4, s26, 1
	s_mov_b64 s[0:1], 0
	s_branch .LBB109_26
.LBB109_25:                             ;   in Loop: Header=BB109_26 Depth=1
	s_or_b64 exec, exec, s[2:3]
	v_sub_u32_e32 v4, v4, v5
	v_cmp_gt_i32_e32 vcc, 0, v4
	s_or_b64 s[0:1], vcc, s[0:1]
	s_andn2_b64 exec, exec, s[0:1]
	s_cbranch_execz .LBB109_30
.LBB109_26:                             ; =>This Inner Loop Header: Depth=1
	v_add_u32_e32 v8, v4, v0
	v_ashrrev_i32_e32 v9, 31, v8
	s_waitcnt vmcnt(0)
	v_lshl_add_u64 v[6:7], v[8:9], 2, s[6:7]
	global_load_dword v5, v[6:7], off
	v_lshl_add_u64 v[6:7], v[8:9], 3, s[14:15]
	global_load_dwordx2 v[6:7], v[6:7], off
	s_waitcnt vmcnt(1)
	v_cmp_ne_u32_e32 vcc, 1, v5
	s_and_saveexec_b64 s[2:3], vcc
	s_xor_b64 s[2:3], exec, s[2:3]
	s_cbranch_execz .LBB109_28
; %bb.27:                               ;   in Loop: Header=BB109_26 Depth=1
	v_add_u32_e32 v10, v36, v4
	v_ashrrev_i32_e32 v11, 31, v10
	v_lshlrev_b64 v[10:11], 3, v[10:11]
	v_lshl_add_u64 v[12:13], s[10:11], 0, v[10:11]
	v_ashrrev_i32_e32 v5, 31, v4
	v_lshl_add_u64 v[14:15], v[4:5], 3, v[2:3]
	global_load_dwordx2 v[16:17], v[12:13], off
	global_load_dwordx2 v[18:19], v[14:15], off
	v_lshl_add_u64 v[10:11], s[12:13], 0, v[10:11]
	v_lshl_add_u64 v[8:9], v[8:9], 3, s[12:13]
	global_load_dwordx2 v[20:21], v[10:11], off
	global_load_dwordx2 v[22:23], v[8:9], off
	v_add_u32_e32 v24, v1, v4
	v_ashrrev_i32_e32 v25, 31, v24
	v_lshlrev_b64 v[24:25], 3, v[24:25]
	v_lshl_add_u64 v[26:27], s[14:15], 0, v[24:25]
	global_load_dwordx2 v[26:27], v[26:27], off
	v_lshl_add_u64 v[28:29], s[10:11], 0, v[24:25]
	v_lshl_add_u64 v[24:25], s[12:13], 0, v[24:25]
	s_waitcnt vmcnt(3)
	v_fma_f64 v[16:17], -v[6:7], v[16:17], v[18:19]
	s_waitcnt vmcnt(1)
	v_fma_f64 v[6:7], -v[6:7], v[20:21], v[22:23]
	global_store_dwordx2 v[14:15], v[16:17], off
	global_store_dwordx2 v[8:9], v[6:7], off
	global_load_dwordx2 v[6:7], v[12:13], off
	s_nop 0
	global_load_dwordx2 v[8:9], v[28:29], off
	global_load_dwordx2 v[14:15], v[10:11], off
	;; [unrolled: 1-line block ×3, first 2 shown]
	s_waitcnt vmcnt(2)
	v_fma_f64 v[6:7], -v[26:27], v[6:7], v[8:9]
	s_waitcnt vmcnt(0)
	v_fma_f64 v[8:9], -v[26:27], v[14:15], v[16:17]
	global_store_dwordx2 v[28:29], v[6:7], off
	global_store_dwordx2 v[24:25], v[8:9], off
                                        ; implicit-def: $vgpr6_vgpr7
                                        ; implicit-def: $vgpr8_vgpr9
.LBB109_28:                             ;   in Loop: Header=BB109_26 Depth=1
	s_or_saveexec_b64 s[2:3], s[2:3]
	v_mov_b32_e32 v5, s4
	s_xor_b64 exec, exec, s[2:3]
	s_cbranch_execz .LBB109_25
; %bb.29:                               ;   in Loop: Header=BB109_26 Depth=1
	v_add_u32_e32 v10, v36, v4
	v_ashrrev_i32_e32 v11, 31, v10
	v_lshlrev_b64 v[10:11], 3, v[10:11]
	v_lshl_add_u64 v[12:13], s[10:11], 0, v[10:11]
	v_ashrrev_i32_e32 v5, 31, v4
	v_lshl_add_u64 v[14:15], v[4:5], 3, v[2:3]
	global_load_dwordx2 v[16:17], v[12:13], off
	global_load_dwordx2 v[18:19], v[14:15], off
	v_lshl_add_u64 v[10:11], s[12:13], 0, v[10:11]
	v_lshl_add_u64 v[8:9], v[8:9], 3, s[12:13]
	global_load_dwordx2 v[12:13], v[10:11], off
	global_load_dwordx2 v[20:21], v[8:9], off
	v_mov_b32_e32 v5, s26
	s_waitcnt vmcnt(2)
	v_fma_f64 v[10:11], -v[6:7], v[16:17], v[18:19]
	s_waitcnt vmcnt(0)
	v_fma_f64 v[6:7], -v[6:7], v[12:13], v[20:21]
	global_store_dwordx2 v[14:15], v[10:11], off
	global_store_dwordx2 v[8:9], v[6:7], off
	s_branch .LBB109_25
.LBB109_30:
	s_endpgm
	.section	.rodata,"a",@progbits
	.p2align	6, 0x0
	.amdhsa_kernel _ZN9rocsparseL18gtsv_LBM_wv_kernelILj256ELj4EdEEviiiPKT1_S3_S3_PS1_S4_S4_Pi
		.amdhsa_group_segment_fixed_size 0
		.amdhsa_private_segment_fixed_size 0
		.amdhsa_kernarg_size 72
		.amdhsa_user_sgpr_count 2
		.amdhsa_user_sgpr_dispatch_ptr 0
		.amdhsa_user_sgpr_queue_ptr 0
		.amdhsa_user_sgpr_kernarg_segment_ptr 1
		.amdhsa_user_sgpr_dispatch_id 0
		.amdhsa_user_sgpr_kernarg_preload_length 0
		.amdhsa_user_sgpr_kernarg_preload_offset 0
		.amdhsa_user_sgpr_private_segment_size 0
		.amdhsa_uses_dynamic_stack 0
		.amdhsa_enable_private_segment 0
		.amdhsa_system_sgpr_workgroup_id_x 1
		.amdhsa_system_sgpr_workgroup_id_y 0
		.amdhsa_system_sgpr_workgroup_id_z 0
		.amdhsa_system_sgpr_workgroup_info 0
		.amdhsa_system_vgpr_workitem_id 0
		.amdhsa_next_free_vgpr 56
		.amdhsa_next_free_sgpr 30
		.amdhsa_accum_offset 56
		.amdhsa_reserve_vcc 1
		.amdhsa_float_round_mode_32 0
		.amdhsa_float_round_mode_16_64 0
		.amdhsa_float_denorm_mode_32 3
		.amdhsa_float_denorm_mode_16_64 3
		.amdhsa_dx10_clamp 1
		.amdhsa_ieee_mode 1
		.amdhsa_fp16_overflow 0
		.amdhsa_tg_split 0
		.amdhsa_exception_fp_ieee_invalid_op 0
		.amdhsa_exception_fp_denorm_src 0
		.amdhsa_exception_fp_ieee_div_zero 0
		.amdhsa_exception_fp_ieee_overflow 0
		.amdhsa_exception_fp_ieee_underflow 0
		.amdhsa_exception_fp_ieee_inexact 0
		.amdhsa_exception_int_div_zero 0
	.end_amdhsa_kernel
	.section	.text._ZN9rocsparseL18gtsv_LBM_wv_kernelILj256ELj4EdEEviiiPKT1_S3_S3_PS1_S4_S4_Pi,"axG",@progbits,_ZN9rocsparseL18gtsv_LBM_wv_kernelILj256ELj4EdEEviiiPKT1_S3_S3_PS1_S4_S4_Pi,comdat
.Lfunc_end109:
	.size	_ZN9rocsparseL18gtsv_LBM_wv_kernelILj256ELj4EdEEviiiPKT1_S3_S3_PS1_S4_S4_Pi, .Lfunc_end109-_ZN9rocsparseL18gtsv_LBM_wv_kernelILj256ELj4EdEEviiiPKT1_S3_S3_PS1_S4_S4_Pi
                                        ; -- End function
	.set _ZN9rocsparseL18gtsv_LBM_wv_kernelILj256ELj4EdEEviiiPKT1_S3_S3_PS1_S4_S4_Pi.num_vgpr, 56
	.set _ZN9rocsparseL18gtsv_LBM_wv_kernelILj256ELj4EdEEviiiPKT1_S3_S3_PS1_S4_S4_Pi.num_agpr, 0
	.set _ZN9rocsparseL18gtsv_LBM_wv_kernelILj256ELj4EdEEviiiPKT1_S3_S3_PS1_S4_S4_Pi.numbered_sgpr, 30
	.set _ZN9rocsparseL18gtsv_LBM_wv_kernelILj256ELj4EdEEviiiPKT1_S3_S3_PS1_S4_S4_Pi.num_named_barrier, 0
	.set _ZN9rocsparseL18gtsv_LBM_wv_kernelILj256ELj4EdEEviiiPKT1_S3_S3_PS1_S4_S4_Pi.private_seg_size, 0
	.set _ZN9rocsparseL18gtsv_LBM_wv_kernelILj256ELj4EdEEviiiPKT1_S3_S3_PS1_S4_S4_Pi.uses_vcc, 1
	.set _ZN9rocsparseL18gtsv_LBM_wv_kernelILj256ELj4EdEEviiiPKT1_S3_S3_PS1_S4_S4_Pi.uses_flat_scratch, 0
	.set _ZN9rocsparseL18gtsv_LBM_wv_kernelILj256ELj4EdEEviiiPKT1_S3_S3_PS1_S4_S4_Pi.has_dyn_sized_stack, 0
	.set _ZN9rocsparseL18gtsv_LBM_wv_kernelILj256ELj4EdEEviiiPKT1_S3_S3_PS1_S4_S4_Pi.has_recursion, 0
	.set _ZN9rocsparseL18gtsv_LBM_wv_kernelILj256ELj4EdEEviiiPKT1_S3_S3_PS1_S4_S4_Pi.has_indirect_call, 0
	.section	.AMDGPU.csdata,"",@progbits
; Kernel info:
; codeLenInByte = 2216
; TotalNumSgprs: 36
; NumVgprs: 56
; NumAgprs: 0
; TotalNumVgprs: 56
; ScratchSize: 0
; MemoryBound: 1
; FloatMode: 240
; IeeeMode: 1
; LDSByteSize: 0 bytes/workgroup (compile time only)
; SGPRBlocks: 4
; VGPRBlocks: 6
; NumSGPRsForWavesPerEU: 36
; NumVGPRsForWavesPerEU: 56
; AccumOffset: 56
; Occupancy: 8
; WaveLimiterHint : 0
; COMPUTE_PGM_RSRC2:SCRATCH_EN: 0
; COMPUTE_PGM_RSRC2:USER_SGPR: 2
; COMPUTE_PGM_RSRC2:TRAP_HANDLER: 0
; COMPUTE_PGM_RSRC2:TGID_X_EN: 1
; COMPUTE_PGM_RSRC2:TGID_Y_EN: 0
; COMPUTE_PGM_RSRC2:TGID_Z_EN: 0
; COMPUTE_PGM_RSRC2:TIDIG_COMP_CNT: 0
; COMPUTE_PGM_RSRC3_GFX90A:ACCUM_OFFSET: 13
; COMPUTE_PGM_RSRC3_GFX90A:TG_SPLIT: 0
	.section	.text._ZN9rocsparseL19gtsv_LBM_rhs_kernelILj256ELj4ELj8EdEEviiiPKT2_S3_S3_PS1_S3_PKi,"axG",@progbits,_ZN9rocsparseL19gtsv_LBM_rhs_kernelILj256ELj4ELj8EdEEviiiPKT2_S3_S3_PS1_S3_PKi,comdat
	.globl	_ZN9rocsparseL19gtsv_LBM_rhs_kernelILj256ELj4ELj8EdEEviiiPKT2_S3_S3_PS1_S3_PKi ; -- Begin function _ZN9rocsparseL19gtsv_LBM_rhs_kernelILj256ELj4ELj8EdEEviiiPKT2_S3_S3_PS1_S3_PKi
	.p2align	8
	.type	_ZN9rocsparseL19gtsv_LBM_rhs_kernelILj256ELj4ELj8EdEEviiiPKT2_S3_S3_PS1_S3_PKi,@function
_ZN9rocsparseL19gtsv_LBM_rhs_kernelILj256ELj4ELj8EdEEviiiPKT2_S3_S3_PS1_S3_PKi: ; @_ZN9rocsparseL19gtsv_LBM_rhs_kernelILj256ELj4ELj8EdEEviiiPKT2_S3_S3_PS1_S3_PKi
; %bb.0:
	s_load_dword s23, s[0:1], 0x0
	v_lshl_or_b32 v0, s2, 8, v0
	s_waitcnt lgkmcnt(0)
	s_lshr_b32 s22, s23, 2
	v_cmp_gt_i32_e32 vcc, s22, v0
	s_and_saveexec_b64 s[4:5], vcc
	s_cbranch_execz .LBB110_29
; %bb.1:
	s_load_dwordx4 s[8:11], s[0:1], 0x28
	s_load_dwordx2 s[6:7], s[0:1], 0x38
	s_cmp_lt_i32 s23, 1
	v_add_u32_e32 v60, s22, v0
	s_mul_i32 s24, s3, s23
	s_cbranch_scc1 .LBB110_21
; %bb.2:
	s_load_dwordx4 s[12:15], s[0:1], 0x10
	s_load_dwordx2 s[16:17], s[0:1], 0x20
	v_ashrrev_i32_e32 v1, 31, v0
	s_lshl_b32 s27, s24, 3
	s_add_i32 s28, s27, s23
	s_waitcnt lgkmcnt(0)
	v_lshl_add_u64 v[2:3], v[0:1], 3, s[14:15]
	global_load_dwordx2 v[6:7], v[2:3], off
	s_add_i32 s29, s28, s23
	s_add_i32 s30, s29, s23
	;; [unrolled: 1-line block ×5, first 2 shown]
	s_mul_i32 s25, s22, 3
	s_lshl_b32 s26, s22, 1
	v_add_u32_e32 v1, s22, v60
	s_add_i32 s35, s34, s23
	v_mov_b32_e32 v3, 0
	s_mov_b64 s[18:19], 0
	v_mov_b32_e32 v61, 0
	s_branch .LBB110_5
.LBB110_3:                              ;   in Loop: Header=BB110_5 Depth=1
	s_or_b64 exec, exec, s[4:5]
	v_fma_f64 v[6:7], -v[6:7], v[22:23], v[8:9]
	v_mov_b32_e32 v2, s22
.LBB110_4:                              ;   in Loop: Header=BB110_5 Depth=1
	s_or_b64 exec, exec, s[2:3]
	v_add_u32_e32 v61, v2, v61
	v_cmp_le_i32_e32 vcc, s23, v61
	s_or_b64 s[18:19], vcc, s[18:19]
	s_andn2_b64 exec, exec, s[18:19]
	s_cbranch_execz .LBB110_20
.LBB110_5:                              ; =>This Inner Loop Header: Depth=1
	v_add_u32_e32 v16, v61, v0
	v_ashrrev_i32_e32 v17, 31, v16
	v_lshl_add_u64 v[4:5], v[16:17], 3, s[16:17]
	global_load_dwordx2 v[14:15], v[4:5], off
	v_cmp_gt_u32_e64 s[0:1], s25, v61
	v_mov_b64_e32 v[8:9], 0
	v_mov_b64_e32 v[4:5], 0
	s_and_saveexec_b64 s[2:3], s[0:1]
	s_cbranch_execz .LBB110_7
; %bb.6:                                ;   in Loop: Header=BB110_5 Depth=1
	v_add_u32_e32 v4, v60, v61
	v_ashrrev_i32_e32 v5, 31, v4
	v_lshl_add_u64 v[4:5], v[4:5], 3, s[12:13]
	global_load_dwordx2 v[4:5], v[4:5], off
.LBB110_7:                              ;   in Loop: Header=BB110_5 Depth=1
	s_or_b64 exec, exec, s[2:3]
	s_and_saveexec_b64 s[2:3], s[0:1]
	s_cbranch_execz .LBB110_9
; %bb.8:                                ;   in Loop: Header=BB110_5 Depth=1
	v_add_u32_e32 v8, v60, v61
	v_ashrrev_i32_e32 v9, 31, v8
	v_lshl_add_u64 v[8:9], v[8:9], 3, s[14:15]
	global_load_dwordx2 v[8:9], v[8:9], off
.LBB110_9:                              ;   in Loop: Header=BB110_5 Depth=1
	s_or_b64 exec, exec, s[2:3]
	v_mov_b64_e32 v[12:13], 0
	v_mov_b64_e32 v[10:11], 0
	s_and_saveexec_b64 s[2:3], s[0:1]
	s_cbranch_execz .LBB110_11
; %bb.10:                               ;   in Loop: Header=BB110_5 Depth=1
	v_add_u32_e32 v10, v60, v61
	v_ashrrev_i32_e32 v11, 31, v10
	v_lshl_add_u64 v[10:11], v[10:11], 3, s[16:17]
	global_load_dwordx2 v[10:11], v[10:11], off
.LBB110_11:                             ;   in Loop: Header=BB110_5 Depth=1
	s_or_b64 exec, exec, s[2:3]
	v_cmp_gt_u32_e64 s[2:3], s26, v61
	s_and_saveexec_b64 s[4:5], s[2:3]
	s_cbranch_execz .LBB110_13
; %bb.12:                               ;   in Loop: Header=BB110_5 Depth=1
	v_add_u32_e32 v12, v1, v61
	v_ashrrev_i32_e32 v13, 31, v12
	v_lshl_add_u64 v[12:13], v[12:13], 3, s[12:13]
	global_load_dwordx2 v[12:13], v[12:13], off
.LBB110_13:                             ;   in Loop: Header=BB110_5 Depth=1
	s_or_b64 exec, exec, s[4:5]
	v_add_u32_e32 v2, s27, v16
	v_lshl_add_u64 v[38:39], v[2:3], 3, s[8:9]
	v_add_u32_e32 v2, s28, v16
	v_lshl_add_u64 v[30:31], v[2:3], 3, s[8:9]
	;; [unrolled: 2-line block ×6, first 2 shown]
	v_lshl_add_u64 v[20:21], v[2:3], 3, s[8:9]
	v_add_u32_e32 v2, s34, v16
	global_load_dword v22, v[18:19], off
	v_lshl_add_u64 v[18:19], v[2:3], 3, s[8:9]
	v_add_u32_e32 v2, s35, v16
	global_load_dwordx2 v[50:51], v[38:39], off
	global_load_dwordx2 v[46:47], v[30:31], off
	;; [unrolled: 1-line block ×4, first 2 shown]
	v_lshl_add_u64 v[16:17], v[2:3], 3, s[8:9]
	global_load_dwordx2 v[44:45], v[26:27], off
	global_load_dwordx2 v[40:41], v[20:21], off
	;; [unrolled: 1-line block ×4, first 2 shown]
	v_cmp_ne_u32_e64 s[4:5], s25, v61
	s_waitcnt vmcnt(8)
	v_cmp_ne_u32_e32 vcc, 1, v22
	s_and_b64 s[4:5], s[4:5], vcc
	v_mul_f64 v[22:23], v[14:15], v[4:5]
	s_and_saveexec_b64 s[20:21], s[4:5]
	s_xor_b64 s[4:5], exec, s[20:21]
	s_cbranch_execz .LBB110_17
; %bb.14:                               ;   in Loop: Header=BB110_5 Depth=1
	v_add_u32_e32 v78, v60, v61
	v_add_u32_e32 v2, s27, v78
	v_fma_f64 v[22:23], v[6:7], v[8:9], -v[22:23]
	v_lshl_add_u64 v[48:49], v[2:3], 3, s[8:9]
	v_div_scale_f64 v[54:55], s[20:21], v[22:23], v[22:23], 1.0
	global_load_dwordx2 v[52:53], v[48:49], off
	v_rcp_f64_e32 v[58:59], v[54:55]
	v_add_u32_e32 v2, s28, v78
	v_lshl_add_u64 v[62:63], v[2:3], 3, s[8:9]
	v_add_u32_e32 v2, s29, v78
	global_load_dwordx2 v[66:67], v[62:63], off
	v_lshl_add_u64 v[64:65], v[2:3], 3, s[8:9]
	v_fma_f64 v[72:73], -v[54:55], v[58:59], 1.0
	global_load_dwordx2 v[70:71], v[64:65], off
	v_fmac_f64_e32 v[58:59], v[58:59], v[72:73]
	v_fma_f64 v[72:73], -v[54:55], v[58:59], 1.0
	v_div_scale_f64 v[56:57], vcc, 1.0, v[22:23], 1.0
	v_add_u32_e32 v2, s30, v78
	v_fmac_f64_e32 v[58:59], v[58:59], v[72:73]
	v_lshl_add_u64 v[68:69], v[2:3], 3, s[8:9]
	v_add_u32_e32 v2, s31, v78
	v_mul_f64 v[72:73], v[56:57], v[58:59]
	v_fma_f64 v[54:55], -v[54:55], v[72:73], v[56:57]
	v_lshl_add_u64 v[74:75], v[2:3], 3, s[8:9]
	v_add_u32_e32 v2, s33, v78
	v_div_fmas_f64 v[54:55], v[54:55], v[58:59], v[72:73]
	v_lshl_add_u64 v[72:73], v[2:3], 3, s[8:9]
	v_add_u32_e32 v2, s34, v78
	v_lshl_add_u64 v[76:77], v[2:3], 3, s[8:9]
	v_add_u32_e32 v2, s35, v78
	global_load_dwordx2 v[78:79], v[68:69], off
	global_load_dwordx2 v[80:81], v[74:75], off
	;; [unrolled: 1-line block ×4, first 2 shown]
	v_lshl_add_u64 v[86:87], v[2:3], 3, s[8:9]
	global_load_dwordx2 v[88:89], v[86:87], off
	v_div_fixup_f64 v[22:23], v[54:55], v[22:23], 1.0
	s_waitcnt vmcnt(15)
	v_mul_f64 v[50:51], v[22:23], v[50:51]
	s_waitcnt vmcnt(14)
	v_mul_f64 v[46:47], v[22:23], v[46:47]
	;; [unrolled: 2-line block ×4, first 2 shown]
	v_mul_f64 v[54:55], v[14:15], v[52:53]
	v_fma_f64 v[54:55], v[8:9], v[50:51], -v[54:55]
	global_store_dwordx2 v[38:39], v[54:55], off
	s_waitcnt vmcnt(7)
	v_mul_f64 v[54:55], v[22:23], v[66:67]
	v_mul_f64 v[38:39], v[14:15], v[54:55]
	v_fma_f64 v[38:39], v[8:9], v[46:47], -v[38:39]
	s_waitcnt vmcnt(6)
	v_mul_f64 v[58:59], v[22:23], v[70:71]
	global_store_dwordx2 v[30:31], v[38:39], off
	v_mul_f64 v[30:31], v[14:15], v[58:59]
	v_fma_f64 v[30:31], v[8:9], v[56:57], -v[30:31]
	global_store_dwordx2 v[28:29], v[30:31], off
	v_mul_f64 v[28:29], v[22:23], v[36:37]
	v_mul_f64 v[38:39], v[22:23], v[44:45]
	s_waitcnt vmcnt(7)
	v_mul_f64 v[30:31], v[22:23], v[78:79]
	v_mul_f64 v[36:37], v[14:15], v[30:31]
	v_fma_f64 v[36:37], v[8:9], v[28:29], -v[36:37]
	s_waitcnt vmcnt(6)
	v_mul_f64 v[42:43], v[22:23], v[80:81]
	global_store_dwordx2 v[24:25], v[36:37], off
	v_mul_f64 v[24:25], v[14:15], v[42:43]
	v_fma_f64 v[24:25], v[8:9], v[38:39], -v[24:25]
	s_waitcnt vmcnt(6)
	v_mul_f64 v[36:37], v[22:23], v[82:83]
	global_store_dwordx2 v[26:27], v[24:25], off
	v_mul_f64 v[26:27], v[22:23], v[40:41]
	v_mul_f64 v[24:25], v[14:15], v[36:37]
	v_fma_f64 v[24:25], v[8:9], v[26:27], -v[24:25]
	global_store_dwordx2 v[20:21], v[24:25], off
	v_mul_f64 v[20:21], v[22:23], v[32:33]
	s_waitcnt vmcnt(7)
	v_mul_f64 v[32:33], v[22:23], v[84:85]
	v_mul_f64 v[24:25], v[22:23], v[34:35]
	;; [unrolled: 1-line block ×3, first 2 shown]
	v_fma_f64 v[34:35], v[8:9], v[24:25], -v[34:35]
	global_store_dwordx2 v[18:19], v[34:35], off
	s_waitcnt vmcnt(7)
	v_mul_f64 v[18:19], v[22:23], v[88:89]
	v_mul_f64 v[14:15], v[14:15], v[18:19]
	v_fma_f64 v[8:9], v[8:9], v[20:21], -v[14:15]
	v_mul_f64 v[34:35], v[4:5], v[50:51]
	global_store_dwordx2 v[16:17], v[8:9], off
	v_mul_f64 v[8:9], v[4:5], v[28:29]
	v_mul_f64 v[40:41], v[4:5], v[46:47]
	;; [unrolled: 1-line block ×4, first 2 shown]
	v_fma_f64 v[34:35], v[6:7], v[52:53], -v[34:35]
	v_fma_f64 v[8:9], v[6:7], v[30:31], -v[8:9]
	;; [unrolled: 1-line block ×5, first 2 shown]
	global_store_dwordx2 v[48:49], v[34:35], off
	global_store_dwordx2 v[62:63], v[40:41], off
	;; [unrolled: 1-line block ×5, first 2 shown]
	v_mul_f64 v[8:9], v[4:5], v[26:27]
	v_fma_f64 v[8:9], v[6:7], v[36:37], -v[8:9]
	global_store_dwordx2 v[72:73], v[8:9], off
	v_mul_f64 v[8:9], v[4:5], v[24:25]
	v_fma_f64 v[8:9], v[6:7], v[32:33], -v[8:9]
	global_store_dwordx2 v[76:77], v[8:9], off
	;; [unrolled: 3-line block ×3, first 2 shown]
	v_mov_b64_e32 v[8:9], 0
	s_and_saveexec_b64 s[20:21], s[2:3]
	s_cbranch_execz .LBB110_16
; %bb.15:                               ;   in Loop: Header=BB110_5 Depth=1
	v_add_u32_e32 v8, v1, v61
	v_add_u32_e32 v2, s27, v8
	v_lshl_add_u64 v[14:15], v[2:3], 3, s[8:9]
	global_load_dwordx2 v[16:17], v[14:15], off
	v_mul_f64 v[6:7], v[6:7], v[12:13]
	v_mul_f64 v[4:5], v[4:5], v[12:13]
	;; [unrolled: 1-line block ×3, first 2 shown]
	v_add_u32_e32 v2, s28, v8
	v_fma_f64 v[12:13], v[4:5], v[50:51], -v[12:13]
	v_lshl_add_u64 v[34:35], v[2:3], 3, s[8:9]
	v_add_u32_e32 v2, s29, v8
	global_load_dwordx2 v[40:41], v[34:35], off
	v_lshl_add_u64 v[44:45], v[2:3], 3, s[8:9]
	v_add_u32_e32 v2, s30, v8
	v_ashrrev_i32_e32 v9, 31, v8
	s_waitcnt vmcnt(1)
	v_add_f64 v[12:13], v[12:13], v[16:17]
	global_store_dwordx2 v[14:15], v[12:13], off
	global_load_dwordx2 v[12:13], v[44:45], off
	v_mul_f64 v[14:15], v[6:7], v[54:55]
	v_fma_f64 v[14:15], v[4:5], v[46:47], -v[14:15]
	v_mul_f64 v[16:17], v[6:7], v[58:59]
	v_fma_f64 v[16:17], v[4:5], v[56:57], -v[16:17]
	v_lshl_add_u64 v[46:47], v[2:3], 3, s[8:9]
	s_waitcnt vmcnt(2)
	v_add_f64 v[14:15], v[14:15], v[40:41]
	global_store_dwordx2 v[34:35], v[14:15], off
	v_add_u32_e32 v2, s31, v8
	global_load_dwordx2 v[14:15], v[46:47], off
	v_lshl_add_u64 v[48:49], v[2:3], 3, s[8:9]
	v_add_u32_e32 v2, s33, v8
	s_waitcnt vmcnt(2)
	v_add_f64 v[12:13], v[16:17], v[12:13]
	global_store_dwordx2 v[44:45], v[12:13], off
	global_load_dwordx2 v[12:13], v[48:49], off
	v_mul_f64 v[16:17], v[6:7], v[30:31]
	v_mul_f64 v[30:31], v[6:7], v[42:43]
	v_fma_f64 v[16:17], v[4:5], v[28:29], -v[16:17]
	v_fma_f64 v[28:29], v[4:5], v[38:39], -v[30:31]
	v_lshl_add_u64 v[30:31], v[2:3], 3, s[8:9]
	v_add_u32_e32 v2, s34, v8
	s_waitcnt vmcnt(2)
	v_add_f64 v[14:15], v[16:17], v[14:15]
	global_store_dwordx2 v[46:47], v[14:15], off
	v_mul_f64 v[14:15], v[6:7], v[36:37]
	v_fma_f64 v[14:15], v[4:5], v[26:27], -v[14:15]
	v_lshl_add_u64 v[16:17], v[2:3], 3, s[8:9]
	v_add_u32_e32 v2, s35, v8
	v_lshl_add_u64 v[8:9], v[8:9], 3, s[14:15]
	global_load_dwordx2 v[8:9], v[8:9], off
	s_waitcnt vmcnt(2)
	v_add_f64 v[12:13], v[28:29], v[12:13]
	global_store_dwordx2 v[48:49], v[12:13], off
	global_load_dwordx2 v[12:13], v[30:31], off
	s_waitcnt vmcnt(0)
	v_add_f64 v[12:13], v[14:15], v[12:13]
	global_store_dwordx2 v[30:31], v[12:13], off
	global_load_dwordx2 v[12:13], v[16:17], off
	v_mul_f64 v[14:15], v[6:7], v[32:33]
	v_fma_f64 v[14:15], v[4:5], v[24:25], -v[14:15]
	v_lshl_add_u64 v[24:25], v[2:3], 3, s[8:9]
	s_waitcnt vmcnt(0)
	v_add_f64 v[12:13], v[14:15], v[12:13]
	global_store_dwordx2 v[16:17], v[12:13], off
	global_load_dwordx2 v[12:13], v[24:25], off
	v_mul_f64 v[14:15], v[6:7], v[18:19]
	v_mul_f64 v[6:7], v[10:11], v[6:7]
	v_fma_f64 v[4:5], v[4:5], v[20:21], -v[14:15]
	v_fma_f64 v[8:9], -v[22:23], v[6:7], v[8:9]
	s_waitcnt vmcnt(0)
	v_add_f64 v[4:5], v[4:5], v[12:13]
	global_store_dwordx2 v[24:25], v[4:5], off
.LBB110_16:                             ;   in Loop: Header=BB110_5 Depth=1
	s_or_b64 exec, exec, s[20:21]
	v_mov_b64_e32 v[6:7], v[8:9]
                                        ; implicit-def: $vgpr4_vgpr5
                                        ; implicit-def: $vgpr8_vgpr9
                                        ; implicit-def: $vgpr22_vgpr23
                                        ; implicit-def: $vgpr38_vgpr39
                                        ; implicit-def: $vgpr50_vgpr51
                                        ; implicit-def: $vgpr30_vgpr31
                                        ; implicit-def: $vgpr46_vgpr47
                                        ; implicit-def: $vgpr28_vgpr29
                                        ; implicit-def: $vgpr42_vgpr43
                                        ; implicit-def: $vgpr24_vgpr25
                                        ; implicit-def: $vgpr36_vgpr37
                                        ; implicit-def: $vgpr26_vgpr27
                                        ; implicit-def: $vgpr44_vgpr45
                                        ; implicit-def: $vgpr20_vgpr21
                                        ; implicit-def: $vgpr40_vgpr41
                                        ; implicit-def: $vgpr18_vgpr19
                                        ; implicit-def: $vgpr34_vgpr35
                                        ; implicit-def: $vgpr16_vgpr17
                                        ; implicit-def: $vgpr32_vgpr33
.LBB110_17:                             ;   in Loop: Header=BB110_5 Depth=1
	s_or_saveexec_b64 s[2:3], s[4:5]
	v_mov_b32_e32 v2, s26
	s_xor_b64 exec, exec, s[2:3]
	s_cbranch_execz .LBB110_4
; %bb.18:                               ;   in Loop: Header=BB110_5 Depth=1
	v_div_scale_f64 v[10:11], s[4:5], v[6:7], v[6:7], 1.0
	v_rcp_f64_e32 v[12:13], v[10:11]
	v_div_scale_f64 v[14:15], vcc, 1.0, v[6:7], 1.0
	v_fma_f64 v[48:49], -v[10:11], v[12:13], 1.0
	v_fmac_f64_e32 v[12:13], v[12:13], v[48:49]
	v_fma_f64 v[48:49], -v[10:11], v[12:13], 1.0
	v_fmac_f64_e32 v[12:13], v[12:13], v[48:49]
	v_mul_f64 v[48:49], v[14:15], v[12:13]
	v_fma_f64 v[10:11], -v[10:11], v[48:49], v[14:15]
	v_div_fmas_f64 v[10:11], v[10:11], v[12:13], v[48:49]
	v_div_fixup_f64 v[6:7], v[10:11], v[6:7], 1.0
	s_waitcnt vmcnt(7)
	v_mul_f64 v[50:51], v[6:7], v[50:51]
	s_waitcnt vmcnt(6)
	v_mul_f64 v[48:49], v[6:7], v[46:47]
	;; [unrolled: 2-line block ×8, first 2 shown]
	global_store_dwordx2 v[38:39], v[50:51], off
	global_store_dwordx2 v[30:31], v[48:49], off
	;; [unrolled: 1-line block ×8, first 2 shown]
	s_and_saveexec_b64 s[4:5], s[0:1]
	s_cbranch_execz .LBB110_3
; %bb.19:                               ;   in Loop: Header=BB110_5 Depth=1
	v_add_u32_e32 v30, v60, v61
	v_add_u32_e32 v2, s27, v30
	v_lshl_add_u64 v[16:17], v[2:3], 3, s[8:9]
	global_load_dwordx2 v[18:19], v[16:17], off
	v_add_u32_e32 v2, s28, v30
	v_lshl_add_u64 v[20:21], v[2:3], 3, s[8:9]
	v_add_u32_e32 v2, s29, v30
	global_load_dwordx2 v[24:25], v[20:21], off
	v_lshl_add_u64 v[26:27], v[2:3], 3, s[8:9]
	v_add_u32_e32 v2, s30, v30
	s_waitcnt vmcnt(1)
	v_fma_f64 v[18:19], -v[4:5], v[50:51], v[18:19]
	global_store_dwordx2 v[16:17], v[18:19], off
	global_load_dwordx2 v[16:17], v[26:27], off
	v_lshl_add_u64 v[18:19], v[2:3], 3, s[8:9]
	s_waitcnt vmcnt(2)
	v_fma_f64 v[24:25], -v[4:5], v[48:49], v[24:25]
	global_store_dwordx2 v[20:21], v[24:25], off
	v_add_u32_e32 v2, s31, v30
	global_load_dwordx2 v[20:21], v[18:19], off
	v_lshl_add_u64 v[28:29], v[2:3], 3, s[8:9]
	v_add_u32_e32 v2, s33, v30
	v_lshl_add_u64 v[24:25], v[2:3], 3, s[8:9]
	v_add_u32_e32 v2, s34, v30
	s_waitcnt vmcnt(2)
	v_fma_f64 v[16:17], -v[4:5], v[46:47], v[16:17]
	global_store_dwordx2 v[26:27], v[16:17], off
	global_load_dwordx2 v[16:17], v[28:29], off
	s_waitcnt vmcnt(2)
	v_fma_f64 v[20:21], -v[4:5], v[42:43], v[20:21]
	global_store_dwordx2 v[18:19], v[20:21], off
	v_lshl_add_u64 v[18:19], v[2:3], 3, s[8:9]
	v_add_u32_e32 v2, s35, v30
	s_waitcnt vmcnt(1)
	v_fma_f64 v[16:17], -v[4:5], v[36:37], v[16:17]
	global_store_dwordx2 v[28:29], v[16:17], off
	global_load_dwordx2 v[16:17], v[24:25], off
	s_waitcnt vmcnt(0)
	v_fma_f64 v[14:15], -v[4:5], v[14:15], v[16:17]
	global_store_dwordx2 v[24:25], v[14:15], off
	global_load_dwordx2 v[14:15], v[18:19], off
	s_waitcnt vmcnt(0)
	v_fma_f64 v[12:13], -v[4:5], v[12:13], v[14:15]
	global_store_dwordx2 v[18:19], v[12:13], off
	v_lshl_add_u64 v[12:13], v[2:3], 3, s[8:9]
	global_load_dwordx2 v[14:15], v[12:13], off
	s_waitcnt vmcnt(0)
	v_fma_f64 v[4:5], -v[4:5], v[10:11], v[14:15]
	global_store_dwordx2 v[12:13], v[4:5], off
	s_branch .LBB110_3
.LBB110_20:
	s_or_b64 exec, exec, s[18:19]
	s_branch .LBB110_22
.LBB110_21:
	v_mov_b32_e32 v61, 0
.LBB110_22:
	v_subrev_u32_e32 v1, s22, v61
	v_add_u32_e32 v2, v1, v0
	v_ashrrev_i32_e32 v3, 31, v2
	s_waitcnt lgkmcnt(0)
	v_lshl_add_u64 v[2:3], v[2:3], 2, s[6:7]
	buffer_wbl2 sc1
	s_waitcnt vmcnt(0)
	buffer_inv sc1
	global_load_dword v2, v[2:3], off
	s_waitcnt vmcnt(0)
	v_mul_lo_u32 v2, v2, s22
	v_sub_u32_e32 v1, v1, v2
	v_cmp_lt_i32_e32 vcc, -1, v1
	s_and_b64 exec, exec, vcc
	s_cbranch_execz .LBB110_29
; %bb.23:
	s_lshl_b32 s4, s24, 3
	s_add_i32 s5, s4, s23
	s_add_i32 s12, s5, s23
	;; [unrolled: 1-line block ×7, first 2 shown]
	s_lshl_b32 s18, s22, 1
	s_mov_b64 s[0:1], 0
	v_mov_b32_e32 v3, 0
	s_branch .LBB110_25
.LBB110_24:                             ;   in Loop: Header=BB110_25 Depth=1
	s_or_b64 exec, exec, s[2:3]
	v_sub_u32_e32 v1, v1, v2
	v_cmp_gt_i32_e32 vcc, 0, v1
	s_or_b64 s[0:1], vcc, s[0:1]
	s_andn2_b64 exec, exec, s[0:1]
	s_cbranch_execz .LBB110_29
.LBB110_25:                             ; =>This Inner Loop Header: Depth=1
	v_add_u32_e32 v6, v1, v0
	v_ashrrev_i32_e32 v7, 31, v6
	s_waitcnt vmcnt(0)
	v_lshl_add_u64 v[4:5], v[6:7], 2, s[6:7]
	global_load_dword v2, v[4:5], off
	v_lshl_add_u64 v[4:5], v[6:7], 3, s[10:11]
	global_load_dwordx2 v[4:5], v[4:5], off
	s_waitcnt vmcnt(1)
	v_cmp_ne_u32_e32 vcc, 1, v2
	s_and_saveexec_b64 s[2:3], vcc
	s_xor_b64 s[2:3], exec, s[2:3]
	s_cbranch_execz .LBB110_27
; %bb.26:                               ;   in Loop: Header=BB110_25 Depth=1
	v_add_u32_e32 v7, v60, v1
	v_add_u32_e32 v2, s4, v7
	v_lshl_add_u64 v[8:9], v[2:3], 3, s[8:9]
	v_add_u32_e32 v2, s5, v7
	v_lshl_add_u64 v[10:11], v[2:3], 3, s[8:9]
	;; [unrolled: 2-line block ×9, first 2 shown]
	global_load_dwordx2 v[26:27], v[24:25], off
	global_load_dwordx2 v[28:29], v[8:9], off
	;; [unrolled: 1-line block ×9, first 2 shown]
	v_add_u32_e32 v2, s5, v6
	v_lshl_add_u64 v[8:9], v[2:3], 3, s[8:9]
	v_add_u32_e32 v2, s12, v6
	v_lshl_add_u64 v[12:13], v[2:3], 3, s[8:9]
	v_add_u32_e32 v2, s13, v6
	s_waitcnt vmcnt(7)
	v_fma_f64 v[10:11], -v[4:5], v[28:29], v[26:27]
	global_store_dwordx2 v[24:25], v[10:11], off
	global_load_dwordx2 v[10:11], v[8:9], off
	s_waitcnt vmcnt(0)
	v_fma_f64 v[10:11], -v[4:5], v[30:31], v[10:11]
	global_store_dwordx2 v[8:9], v[10:11], off
	global_load_dwordx2 v[8:9], v[12:13], off
	v_lshl_add_u64 v[10:11], v[2:3], 3, s[8:9]
	v_add_u32_e32 v2, s14, v6
	s_waitcnt vmcnt(0)
	v_fma_f64 v[8:9], -v[4:5], v[32:33], v[8:9]
	global_store_dwordx2 v[12:13], v[8:9], off
	global_load_dwordx2 v[8:9], v[10:11], off
	v_lshl_add_u64 v[12:13], v[2:3], 3, s[8:9]
	v_add_u32_e32 v2, s15, v6
	;; [unrolled: 6-line block ×4, first 2 shown]
	v_lshl_add_u64 v[6:7], v[2:3], 3, s[8:9]
	v_subrev_u32_e32 v2, s22, v1
	s_waitcnt vmcnt(0)
	v_fma_f64 v[8:9], -v[4:5], v[38:39], v[8:9]
	global_store_dwordx2 v[10:11], v[8:9], off
	global_load_dwordx2 v[8:9], v[12:13], off
	v_add_u32_e32 v10, v2, v0
	v_ashrrev_i32_e32 v11, 31, v10
	v_add_u32_e32 v2, s4, v10
	v_lshl_add_u64 v[14:15], v[2:3], 3, s[8:9]
	v_add_u32_e32 v2, s5, v10
	s_waitcnt vmcnt(0)
	v_fma_f64 v[8:9], -v[4:5], v[40:41], v[8:9]
	global_store_dwordx2 v[12:13], v[8:9], off
	global_load_dwordx2 v[8:9], v[6:7], off
	v_lshl_add_u64 v[12:13], v[10:11], 3, s[10:11]
	global_load_dwordx2 v[12:13], v[12:13], off
	s_waitcnt vmcnt(1)
	v_fma_f64 v[4:5], -v[4:5], v[42:43], v[8:9]
	global_store_dwordx2 v[6:7], v[4:5], off
	global_load_dwordx2 v[4:5], v[14:15], off
	v_lshl_add_u64 v[6:7], v[2:3], 3, s[8:9]
	v_add_u32_e32 v2, s12, v10
	v_lshl_add_u64 v[8:9], v[2:3], 3, s[8:9]
	v_add_u32_e32 v2, s13, v10
	s_waitcnt vmcnt(0)
	v_fma_f64 v[4:5], -v[12:13], v[28:29], v[4:5]
	global_store_dwordx2 v[14:15], v[4:5], off
	global_load_dwordx2 v[4:5], v[6:7], off
	s_waitcnt vmcnt(0)
	v_fma_f64 v[4:5], -v[12:13], v[30:31], v[4:5]
	global_store_dwordx2 v[6:7], v[4:5], off
	global_load_dwordx2 v[4:5], v[8:9], off
	v_lshl_add_u64 v[6:7], v[2:3], 3, s[8:9]
	v_add_u32_e32 v2, s14, v10
	s_waitcnt vmcnt(0)
	v_fma_f64 v[4:5], -v[12:13], v[32:33], v[4:5]
	global_store_dwordx2 v[8:9], v[4:5], off
	global_load_dwordx2 v[4:5], v[6:7], off
	v_lshl_add_u64 v[8:9], v[2:3], 3, s[8:9]
	v_add_u32_e32 v2, s15, v10
	s_waitcnt vmcnt(0)
	v_fma_f64 v[4:5], -v[12:13], v[34:35], v[4:5]
	global_store_dwordx2 v[6:7], v[4:5], off
	global_load_dwordx2 v[4:5], v[8:9], off
	v_lshl_add_u64 v[6:7], v[2:3], 3, s[8:9]
	v_add_u32_e32 v2, s16, v10
	s_waitcnt vmcnt(0)
	v_fma_f64 v[4:5], -v[12:13], v[36:37], v[4:5]
	global_store_dwordx2 v[8:9], v[4:5], off
	global_load_dwordx2 v[4:5], v[6:7], off
	v_lshl_add_u64 v[8:9], v[2:3], 3, s[8:9]
	v_add_u32_e32 v2, s17, v10
	s_waitcnt vmcnt(0)
	v_fma_f64 v[4:5], -v[12:13], v[38:39], v[4:5]
	global_store_dwordx2 v[6:7], v[4:5], off
	global_load_dwordx2 v[4:5], v[8:9], off
	s_waitcnt vmcnt(0)
	v_fma_f64 v[4:5], -v[12:13], v[40:41], v[4:5]
	global_store_dwordx2 v[8:9], v[4:5], off
	v_lshl_add_u64 v[4:5], v[2:3], 3, s[8:9]
	global_load_dwordx2 v[6:7], v[4:5], off
	s_waitcnt vmcnt(0)
	v_fma_f64 v[6:7], -v[12:13], v[42:43], v[6:7]
	global_store_dwordx2 v[4:5], v[6:7], off
                                        ; implicit-def: $vgpr6
                                        ; implicit-def: $vgpr4_vgpr5
.LBB110_27:                             ;   in Loop: Header=BB110_25 Depth=1
	s_or_saveexec_b64 s[2:3], s[2:3]
	v_mov_b32_e32 v2, s18
	s_xor_b64 exec, exec, s[2:3]
	s_cbranch_execz .LBB110_24
; %bb.28:                               ;   in Loop: Header=BB110_25 Depth=1
	v_add_u32_e32 v7, v60, v1
	v_add_u32_e32 v2, s4, v7
	v_lshl_add_u64 v[8:9], v[2:3], 3, s[8:9]
	v_add_u32_e32 v2, s4, v6
	v_lshl_add_u64 v[10:11], v[2:3], 3, s[8:9]
	global_load_dwordx2 v[12:13], v[8:9], off
	global_load_dwordx2 v[14:15], v[10:11], off
	v_add_u32_e32 v2, s5, v7
	v_lshl_add_u64 v[8:9], v[2:3], 3, s[8:9]
	v_add_u32_e32 v2, s5, v6
	v_lshl_add_u64 v[16:17], v[2:3], 3, s[8:9]
	v_add_u32_e32 v2, s12, v7
	s_waitcnt vmcnt(0)
	v_fma_f64 v[12:13], -v[4:5], v[12:13], v[14:15]
	global_store_dwordx2 v[10:11], v[12:13], off
	global_load_dwordx2 v[10:11], v[8:9], off
	s_nop 0
	global_load_dwordx2 v[12:13], v[16:17], off
	v_lshl_add_u64 v[8:9], v[2:3], 3, s[8:9]
	v_add_u32_e32 v2, s12, v6
	v_lshl_add_u64 v[14:15], v[2:3], 3, s[8:9]
	v_add_u32_e32 v2, s13, v7
	s_waitcnt vmcnt(0)
	v_fma_f64 v[10:11], -v[4:5], v[10:11], v[12:13]
	global_store_dwordx2 v[16:17], v[10:11], off
	global_load_dwordx2 v[10:11], v[8:9], off
	s_nop 0
	global_load_dwordx2 v[12:13], v[14:15], off
	;; [unrolled: 10-line block ×6, first 2 shown]
	v_lshl_add_u64 v[8:9], v[2:3], 3, s[8:9]
	v_add_u32_e32 v2, s17, v6
	v_lshl_add_u64 v[6:7], v[2:3], 3, s[8:9]
	v_mov_b32_e32 v2, s22
	s_waitcnt vmcnt(0)
	v_fma_f64 v[10:11], -v[4:5], v[10:11], v[12:13]
	global_store_dwordx2 v[14:15], v[10:11], off
	global_load_dwordx2 v[10:11], v[8:9], off
	s_nop 0
	global_load_dwordx2 v[12:13], v[6:7], off
	s_waitcnt vmcnt(0)
	v_fma_f64 v[4:5], -v[4:5], v[10:11], v[12:13]
	global_store_dwordx2 v[6:7], v[4:5], off
	s_branch .LBB110_24
.LBB110_29:
	s_endpgm
	.section	.rodata,"a",@progbits
	.p2align	6, 0x0
	.amdhsa_kernel _ZN9rocsparseL19gtsv_LBM_rhs_kernelILj256ELj4ELj8EdEEviiiPKT2_S3_S3_PS1_S3_PKi
		.amdhsa_group_segment_fixed_size 0
		.amdhsa_private_segment_fixed_size 0
		.amdhsa_kernarg_size 64
		.amdhsa_user_sgpr_count 2
		.amdhsa_user_sgpr_dispatch_ptr 0
		.amdhsa_user_sgpr_queue_ptr 0
		.amdhsa_user_sgpr_kernarg_segment_ptr 1
		.amdhsa_user_sgpr_dispatch_id 0
		.amdhsa_user_sgpr_kernarg_preload_length 0
		.amdhsa_user_sgpr_kernarg_preload_offset 0
		.amdhsa_user_sgpr_private_segment_size 0
		.amdhsa_uses_dynamic_stack 0
		.amdhsa_enable_private_segment 0
		.amdhsa_system_sgpr_workgroup_id_x 1
		.amdhsa_system_sgpr_workgroup_id_y 1
		.amdhsa_system_sgpr_workgroup_id_z 0
		.amdhsa_system_sgpr_workgroup_info 0
		.amdhsa_system_vgpr_workitem_id 0
		.amdhsa_next_free_vgpr 90
		.amdhsa_next_free_sgpr 36
		.amdhsa_accum_offset 92
		.amdhsa_reserve_vcc 1
		.amdhsa_float_round_mode_32 0
		.amdhsa_float_round_mode_16_64 0
		.amdhsa_float_denorm_mode_32 3
		.amdhsa_float_denorm_mode_16_64 3
		.amdhsa_dx10_clamp 1
		.amdhsa_ieee_mode 1
		.amdhsa_fp16_overflow 0
		.amdhsa_tg_split 0
		.amdhsa_exception_fp_ieee_invalid_op 0
		.amdhsa_exception_fp_denorm_src 0
		.amdhsa_exception_fp_ieee_div_zero 0
		.amdhsa_exception_fp_ieee_overflow 0
		.amdhsa_exception_fp_ieee_underflow 0
		.amdhsa_exception_fp_ieee_inexact 0
		.amdhsa_exception_int_div_zero 0
	.end_amdhsa_kernel
	.section	.text._ZN9rocsparseL19gtsv_LBM_rhs_kernelILj256ELj4ELj8EdEEviiiPKT2_S3_S3_PS1_S3_PKi,"axG",@progbits,_ZN9rocsparseL19gtsv_LBM_rhs_kernelILj256ELj4ELj8EdEEviiiPKT2_S3_S3_PS1_S3_PKi,comdat
.Lfunc_end110:
	.size	_ZN9rocsparseL19gtsv_LBM_rhs_kernelILj256ELj4ELj8EdEEviiiPKT2_S3_S3_PS1_S3_PKi, .Lfunc_end110-_ZN9rocsparseL19gtsv_LBM_rhs_kernelILj256ELj4ELj8EdEEviiiPKT2_S3_S3_PS1_S3_PKi
                                        ; -- End function
	.set _ZN9rocsparseL19gtsv_LBM_rhs_kernelILj256ELj4ELj8EdEEviiiPKT2_S3_S3_PS1_S3_PKi.num_vgpr, 90
	.set _ZN9rocsparseL19gtsv_LBM_rhs_kernelILj256ELj4ELj8EdEEviiiPKT2_S3_S3_PS1_S3_PKi.num_agpr, 0
	.set _ZN9rocsparseL19gtsv_LBM_rhs_kernelILj256ELj4ELj8EdEEviiiPKT2_S3_S3_PS1_S3_PKi.numbered_sgpr, 36
	.set _ZN9rocsparseL19gtsv_LBM_rhs_kernelILj256ELj4ELj8EdEEviiiPKT2_S3_S3_PS1_S3_PKi.num_named_barrier, 0
	.set _ZN9rocsparseL19gtsv_LBM_rhs_kernelILj256ELj4ELj8EdEEviiiPKT2_S3_S3_PS1_S3_PKi.private_seg_size, 0
	.set _ZN9rocsparseL19gtsv_LBM_rhs_kernelILj256ELj4ELj8EdEEviiiPKT2_S3_S3_PS1_S3_PKi.uses_vcc, 1
	.set _ZN9rocsparseL19gtsv_LBM_rhs_kernelILj256ELj4ELj8EdEEviiiPKT2_S3_S3_PS1_S3_PKi.uses_flat_scratch, 0
	.set _ZN9rocsparseL19gtsv_LBM_rhs_kernelILj256ELj4ELj8EdEEviiiPKT2_S3_S3_PS1_S3_PKi.has_dyn_sized_stack, 0
	.set _ZN9rocsparseL19gtsv_LBM_rhs_kernelILj256ELj4ELj8EdEEviiiPKT2_S3_S3_PS1_S3_PKi.has_recursion, 0
	.set _ZN9rocsparseL19gtsv_LBM_rhs_kernelILj256ELj4ELj8EdEEviiiPKT2_S3_S3_PS1_S3_PKi.has_indirect_call, 0
	.section	.AMDGPU.csdata,"",@progbits
; Kernel info:
; codeLenInByte = 4140
; TotalNumSgprs: 42
; NumVgprs: 90
; NumAgprs: 0
; TotalNumVgprs: 90
; ScratchSize: 0
; MemoryBound: 0
; FloatMode: 240
; IeeeMode: 1
; LDSByteSize: 0 bytes/workgroup (compile time only)
; SGPRBlocks: 5
; VGPRBlocks: 11
; NumSGPRsForWavesPerEU: 42
; NumVGPRsForWavesPerEU: 90
; AccumOffset: 92
; Occupancy: 5
; WaveLimiterHint : 0
; COMPUTE_PGM_RSRC2:SCRATCH_EN: 0
; COMPUTE_PGM_RSRC2:USER_SGPR: 2
; COMPUTE_PGM_RSRC2:TRAP_HANDLER: 0
; COMPUTE_PGM_RSRC2:TGID_X_EN: 1
; COMPUTE_PGM_RSRC2:TGID_Y_EN: 1
; COMPUTE_PGM_RSRC2:TGID_Z_EN: 0
; COMPUTE_PGM_RSRC2:TIDIG_COMP_CNT: 0
; COMPUTE_PGM_RSRC3_GFX90A:ACCUM_OFFSET: 22
; COMPUTE_PGM_RSRC3_GFX90A:TG_SPLIT: 0
	.section	.text._ZN9rocsparseL19gtsv_LBM_rhs_kernelILj256ELj4ELj4EdEEviiiPKT2_S3_S3_PS1_S3_PKi,"axG",@progbits,_ZN9rocsparseL19gtsv_LBM_rhs_kernelILj256ELj4ELj4EdEEviiiPKT2_S3_S3_PS1_S3_PKi,comdat
	.globl	_ZN9rocsparseL19gtsv_LBM_rhs_kernelILj256ELj4ELj4EdEEviiiPKT2_S3_S3_PS1_S3_PKi ; -- Begin function _ZN9rocsparseL19gtsv_LBM_rhs_kernelILj256ELj4ELj4EdEEviiiPKT2_S3_S3_PS1_S3_PKi
	.p2align	8
	.type	_ZN9rocsparseL19gtsv_LBM_rhs_kernelILj256ELj4ELj4EdEEviiiPKT2_S3_S3_PS1_S3_PKi,@function
_ZN9rocsparseL19gtsv_LBM_rhs_kernelILj256ELj4ELj4EdEEviiiPKT2_S3_S3_PS1_S3_PKi: ; @_ZN9rocsparseL19gtsv_LBM_rhs_kernelILj256ELj4ELj4EdEEviiiPKT2_S3_S3_PS1_S3_PKi
; %bb.0:
	s_load_dword s23, s[0:1], 0x0
	v_lshl_or_b32 v0, s2, 8, v0
	s_waitcnt lgkmcnt(0)
	s_lshr_b32 s22, s23, 2
	v_cmp_gt_i32_e32 vcc, s22, v0
	s_and_saveexec_b64 s[4:5], vcc
	s_cbranch_execz .LBB111_29
; %bb.1:
	s_load_dwordx4 s[8:11], s[0:1], 0x28
	s_load_dwordx2 s[6:7], s[0:1], 0x38
	s_cmp_lt_i32 s23, 1
	v_add_u32_e32 v42, s22, v0
	s_mul_i32 s24, s3, s23
	s_cbranch_scc1 .LBB111_21
; %bb.2:
	s_load_dwordx4 s[12:15], s[0:1], 0x10
	s_load_dwordx2 s[16:17], s[0:1], 0x20
	v_ashrrev_i32_e32 v1, 31, v0
	s_lshl_b32 s27, s24, 2
	s_add_i32 s28, s27, s23
	s_waitcnt lgkmcnt(0)
	v_lshl_add_u64 v[2:3], v[0:1], 3, s[14:15]
	global_load_dwordx2 v[4:5], v[2:3], off
	s_add_i32 s29, s28, s23
	s_mul_i32 s25, s22, 3
	s_lshl_b32 s26, s22, 1
	v_add_u32_e32 v43, s22, v42
	s_add_i32 s30, s29, s23
	v_mov_b32_e32 v3, 0
	s_mov_b64 s[18:19], 0
	v_mov_b32_e32 v1, 0
	s_branch .LBB111_5
.LBB111_3:                              ;   in Loop: Header=BB111_5 Depth=1
	s_or_b64 exec, exec, s[4:5]
	v_fma_f64 v[4:5], -v[4:5], v[14:15], v[8:9]
	v_mov_b32_e32 v2, s22
.LBB111_4:                              ;   in Loop: Header=BB111_5 Depth=1
	s_or_b64 exec, exec, s[2:3]
	v_add_u32_e32 v1, v2, v1
	v_cmp_le_i32_e32 vcc, s23, v1
	s_or_b64 s[18:19], vcc, s[18:19]
	s_andn2_b64 exec, exec, s[18:19]
	s_cbranch_execz .LBB111_20
.LBB111_5:                              ; =>This Inner Loop Header: Depth=1
	v_add_u32_e32 v14, v1, v0
	v_ashrrev_i32_e32 v15, 31, v14
	v_lshl_add_u64 v[6:7], v[14:15], 3, s[16:17]
	global_load_dwordx2 v[20:21], v[6:7], off
	v_cmp_gt_u32_e64 s[0:1], s25, v1
	v_mov_b64_e32 v[8:9], 0
	v_mov_b64_e32 v[6:7], 0
	s_and_saveexec_b64 s[2:3], s[0:1]
	s_cbranch_execz .LBB111_7
; %bb.6:                                ;   in Loop: Header=BB111_5 Depth=1
	v_add_u32_e32 v6, v42, v1
	v_ashrrev_i32_e32 v7, 31, v6
	v_lshl_add_u64 v[6:7], v[6:7], 3, s[12:13]
	global_load_dwordx2 v[6:7], v[6:7], off
.LBB111_7:                              ;   in Loop: Header=BB111_5 Depth=1
	s_or_b64 exec, exec, s[2:3]
	s_and_saveexec_b64 s[2:3], s[0:1]
	s_cbranch_execz .LBB111_9
; %bb.8:                                ;   in Loop: Header=BB111_5 Depth=1
	v_add_u32_e32 v8, v42, v1
	v_ashrrev_i32_e32 v9, 31, v8
	v_lshl_add_u64 v[8:9], v[8:9], 3, s[14:15]
	global_load_dwordx2 v[8:9], v[8:9], off
.LBB111_9:                              ;   in Loop: Header=BB111_5 Depth=1
	s_or_b64 exec, exec, s[2:3]
	v_mov_b64_e32 v[12:13], 0
	v_mov_b64_e32 v[10:11], 0
	s_and_saveexec_b64 s[2:3], s[0:1]
	s_cbranch_execz .LBB111_11
; %bb.10:                               ;   in Loop: Header=BB111_5 Depth=1
	v_add_u32_e32 v10, v42, v1
	v_ashrrev_i32_e32 v11, 31, v10
	v_lshl_add_u64 v[10:11], v[10:11], 3, s[16:17]
	global_load_dwordx2 v[10:11], v[10:11], off
.LBB111_11:                             ;   in Loop: Header=BB111_5 Depth=1
	s_or_b64 exec, exec, s[2:3]
	v_cmp_gt_u32_e64 s[2:3], s26, v1
	s_and_saveexec_b64 s[4:5], s[2:3]
	s_cbranch_execz .LBB111_13
; %bb.12:                               ;   in Loop: Header=BB111_5 Depth=1
	v_add_u32_e32 v12, v43, v1
	v_ashrrev_i32_e32 v13, 31, v12
	v_lshl_add_u64 v[12:13], v[12:13], 3, s[12:13]
	global_load_dwordx2 v[12:13], v[12:13], off
.LBB111_13:                             ;   in Loop: Header=BB111_5 Depth=1
	s_or_b64 exec, exec, s[4:5]
	v_add_u32_e32 v2, s27, v14
	v_lshl_add_u64 v[26:27], v[2:3], 3, s[8:9]
	v_add_u32_e32 v2, s28, v14
	v_lshl_add_u64 v[28:29], v[2:3], 3, s[8:9]
	v_add_u32_e32 v2, s29, v14
	s_waitcnt vmcnt(4)
	v_lshl_add_u64 v[16:17], v[14:15], 2, s[6:7]
	v_lshl_add_u64 v[30:31], v[2:3], 3, s[8:9]
	v_add_u32_e32 v2, s30, v14
	global_load_dword v15, v[16:17], off
	v_lshl_add_u64 v[34:35], v[2:3], 3, s[8:9]
	global_load_dwordx2 v[16:17], v[26:27], off
	global_load_dwordx2 v[18:19], v[28:29], off
	;; [unrolled: 1-line block ×4, first 2 shown]
	v_cmp_ne_u32_e64 s[4:5], s25, v1
	s_waitcnt vmcnt(4)
	v_cmp_ne_u32_e32 vcc, 1, v15
	s_and_b64 s[4:5], s[4:5], vcc
	v_mul_f64 v[14:15], v[20:21], v[6:7]
	s_and_saveexec_b64 s[20:21], s[4:5]
	s_xor_b64 s[4:5], exec, s[20:21]
	s_cbranch_execz .LBB111_17
; %bb.14:                               ;   in Loop: Header=BB111_5 Depth=1
	v_fma_f64 v[14:15], v[4:5], v[8:9], -v[14:15]
	v_div_scale_f64 v[22:23], s[20:21], v[14:15], v[14:15], 1.0
	v_rcp_f64_e32 v[24:25], v[22:23]
	s_nop 0
	v_fma_f64 v[38:39], -v[22:23], v[24:25], 1.0
	v_fmac_f64_e32 v[24:25], v[24:25], v[38:39]
	v_fma_f64 v[38:39], -v[22:23], v[24:25], 1.0
	v_fmac_f64_e32 v[24:25], v[24:25], v[38:39]
	v_div_scale_f64 v[38:39], vcc, 1.0, v[14:15], 1.0
	v_mul_f64 v[40:41], v[38:39], v[24:25]
	v_fma_f64 v[22:23], -v[22:23], v[40:41], v[38:39]
	s_nop 1
	v_div_fmas_f64 v[22:23], v[22:23], v[24:25], v[40:41]
	v_div_fixup_f64 v[14:15], v[22:23], v[14:15], 1.0
	s_waitcnt vmcnt(2)
	v_mul_f64 v[24:25], v[14:15], v[18:19]
	s_waitcnt vmcnt(0)
	v_mul_f64 v[18:19], v[14:15], v[36:37]
	v_add_u32_e32 v36, v42, v1
	v_add_u32_e32 v2, s27, v36
	v_lshl_add_u64 v[44:45], v[2:3], 3, s[8:9]
	v_mul_f64 v[22:23], v[14:15], v[16:17]
	v_mul_f64 v[16:17], v[14:15], v[32:33]
	global_load_dwordx2 v[32:33], v[44:45], off
	v_add_u32_e32 v2, s28, v36
	v_lshl_add_u64 v[46:47], v[2:3], 3, s[8:9]
	v_add_u32_e32 v2, s29, v36
	v_lshl_add_u64 v[48:49], v[2:3], 3, s[8:9]
	;; [unrolled: 2-line block ×3, first 2 shown]
	global_load_dwordx2 v[36:37], v[50:51], off
	s_waitcnt vmcnt(1)
	v_mul_f64 v[38:39], v[14:15], v[32:33]
	global_load_dwordx2 v[32:33], v[46:47], off
	v_mul_f64 v[52:53], v[20:21], v[38:39]
	v_fma_f64 v[52:53], v[8:9], v[22:23], -v[52:53]
	s_waitcnt vmcnt(1)
	v_mul_f64 v[36:37], v[14:15], v[36:37]
	s_waitcnt vmcnt(0)
	v_mul_f64 v[40:41], v[14:15], v[32:33]
	global_load_dwordx2 v[32:33], v[48:49], off
	s_waitcnt vmcnt(0)
	v_mul_f64 v[32:33], v[14:15], v[32:33]
	global_store_dwordx2 v[26:27], v[52:53], off
	v_mul_f64 v[26:27], v[20:21], v[40:41]
	v_fma_f64 v[26:27], v[8:9], v[24:25], -v[26:27]
	global_store_dwordx2 v[28:29], v[26:27], off
	v_mul_f64 v[26:27], v[20:21], v[32:33]
	v_mul_f64 v[20:21], v[20:21], v[36:37]
	v_fma_f64 v[26:27], v[8:9], v[16:17], -v[26:27]
	v_fma_f64 v[8:9], v[8:9], v[18:19], -v[20:21]
	global_store_dwordx2 v[30:31], v[26:27], off
	global_store_dwordx2 v[34:35], v[8:9], off
	v_mul_f64 v[8:9], v[6:7], v[22:23]
	v_fma_f64 v[8:9], v[4:5], v[38:39], -v[8:9]
	global_store_dwordx2 v[44:45], v[8:9], off
	v_mul_f64 v[8:9], v[6:7], v[24:25]
	v_fma_f64 v[8:9], v[4:5], v[40:41], -v[8:9]
	;; [unrolled: 3-line block ×4, first 2 shown]
	global_store_dwordx2 v[50:51], v[8:9], off
	v_mov_b64_e32 v[8:9], 0
	s_and_saveexec_b64 s[20:21], s[2:3]
	s_cbranch_execz .LBB111_16
; %bb.15:                               ;   in Loop: Header=BB111_5 Depth=1
	v_add_u32_e32 v8, v43, v1
	v_add_u32_e32 v2, s27, v8
	v_lshl_add_u64 v[20:21], v[2:3], 3, s[8:9]
	v_add_u32_e32 v2, s28, v8
	global_load_dwordx2 v[26:27], v[20:21], off
	v_lshl_add_u64 v[28:29], v[2:3], 3, s[8:9]
	global_load_dwordx2 v[30:31], v[28:29], off
	v_mul_f64 v[4:5], v[4:5], v[12:13]
	v_mul_f64 v[6:7], v[6:7], v[12:13]
	;; [unrolled: 1-line block ×4, first 2 shown]
	v_fma_f64 v[12:13], v[6:7], v[22:23], -v[12:13]
	v_fma_f64 v[22:23], v[6:7], v[24:25], -v[34:35]
	v_add_u32_e32 v2, s29, v8
	v_ashrrev_i32_e32 v9, 31, v8
	v_lshl_add_u64 v[24:25], v[2:3], 3, s[8:9]
	v_add_u32_e32 v2, s30, v8
	v_lshl_add_u64 v[34:35], v[2:3], 3, s[8:9]
	v_lshl_add_u64 v[8:9], v[8:9], 3, s[14:15]
	global_load_dwordx2 v[8:9], v[8:9], off
	s_waitcnt vmcnt(2)
	v_add_f64 v[12:13], v[12:13], v[26:27]
	global_store_dwordx2 v[20:21], v[12:13], off
	s_waitcnt vmcnt(2)
	v_add_f64 v[12:13], v[22:23], v[30:31]
	global_store_dwordx2 v[28:29], v[12:13], off
	global_load_dwordx2 v[20:21], v[24:25], off
	v_mul_f64 v[22:23], v[4:5], v[32:33]
	global_load_dwordx2 v[12:13], v[34:35], off
	v_mul_f64 v[26:27], v[4:5], v[36:37]
	v_mul_f64 v[4:5], v[10:11], v[4:5]
	v_fma_f64 v[10:11], v[6:7], v[16:17], -v[22:23]
	v_fma_f64 v[6:7], v[6:7], v[18:19], -v[26:27]
	s_waitcnt vmcnt(4)
	v_fma_f64 v[8:9], -v[14:15], v[4:5], v[8:9]
	s_waitcnt vmcnt(1)
	v_add_f64 v[10:11], v[10:11], v[20:21]
	global_store_dwordx2 v[24:25], v[10:11], off
	s_waitcnt vmcnt(1)
	v_add_f64 v[6:7], v[6:7], v[12:13]
	global_store_dwordx2 v[34:35], v[6:7], off
.LBB111_16:                             ;   in Loop: Header=BB111_5 Depth=1
	s_or_b64 exec, exec, s[20:21]
	v_mov_b64_e32 v[4:5], v[8:9]
                                        ; implicit-def: $vgpr6_vgpr7
                                        ; implicit-def: $vgpr8_vgpr9
                                        ; implicit-def: $vgpr14_vgpr15
                                        ; implicit-def: $vgpr26_vgpr27
                                        ; implicit-def: $vgpr16_vgpr17
                                        ; implicit-def: $vgpr28_vgpr29
                                        ; implicit-def: $vgpr18_vgpr19
                                        ; implicit-def: $vgpr30_vgpr31
                                        ; implicit-def: $vgpr32_vgpr33
                                        ; implicit-def: $vgpr34_vgpr35
                                        ; implicit-def: $vgpr36_vgpr37
.LBB111_17:                             ;   in Loop: Header=BB111_5 Depth=1
	s_or_saveexec_b64 s[2:3], s[4:5]
	v_mov_b32_e32 v2, s26
	s_xor_b64 exec, exec, s[2:3]
	s_cbranch_execz .LBB111_4
; %bb.18:                               ;   in Loop: Header=BB111_5 Depth=1
	v_div_scale_f64 v[10:11], s[4:5], v[4:5], v[4:5], 1.0
	v_rcp_f64_e32 v[12:13], v[10:11]
	v_div_scale_f64 v[20:21], vcc, 1.0, v[4:5], 1.0
	v_fma_f64 v[22:23], -v[10:11], v[12:13], 1.0
	v_fmac_f64_e32 v[12:13], v[12:13], v[22:23]
	v_fma_f64 v[22:23], -v[10:11], v[12:13], 1.0
	v_fmac_f64_e32 v[12:13], v[12:13], v[22:23]
	v_mul_f64 v[22:23], v[20:21], v[12:13]
	v_fma_f64 v[10:11], -v[10:11], v[22:23], v[20:21]
	v_div_fmas_f64 v[10:11], v[10:11], v[12:13], v[22:23]
	v_div_fixup_f64 v[4:5], v[10:11], v[4:5], 1.0
	s_waitcnt vmcnt(3)
	v_mul_f64 v[20:21], v[4:5], v[16:17]
	s_waitcnt vmcnt(2)
	v_mul_f64 v[16:17], v[4:5], v[18:19]
	;; [unrolled: 2-line block ×4, first 2 shown]
	global_store_dwordx2 v[26:27], v[20:21], off
	global_store_dwordx2 v[28:29], v[16:17], off
	;; [unrolled: 1-line block ×4, first 2 shown]
	s_and_saveexec_b64 s[4:5], s[0:1]
	s_cbranch_execz .LBB111_3
; %bb.19:                               ;   in Loop: Header=BB111_5 Depth=1
	v_add_u32_e32 v30, v42, v1
	v_add_u32_e32 v2, s27, v30
	v_lshl_add_u64 v[18:19], v[2:3], 3, s[8:9]
	v_add_u32_e32 v2, s28, v30
	v_lshl_add_u64 v[24:25], v[2:3], 3, s[8:9]
	global_load_dwordx2 v[22:23], v[18:19], off
	global_load_dwordx2 v[26:27], v[24:25], off
	v_add_u32_e32 v2, s29, v30
	v_lshl_add_u64 v[28:29], v[2:3], 3, s[8:9]
	v_add_u32_e32 v2, s30, v30
	v_lshl_add_u64 v[30:31], v[2:3], 3, s[8:9]
	s_waitcnt vmcnt(1)
	v_fma_f64 v[20:21], -v[6:7], v[20:21], v[22:23]
	s_waitcnt vmcnt(0)
	v_fma_f64 v[16:17], -v[6:7], v[16:17], v[26:27]
	global_store_dwordx2 v[18:19], v[20:21], off
	global_store_dwordx2 v[24:25], v[16:17], off
	global_load_dwordx2 v[18:19], v[28:29], off
	s_nop 0
	global_load_dwordx2 v[16:17], v[30:31], off
	s_waitcnt vmcnt(1)
	v_fma_f64 v[12:13], -v[6:7], v[12:13], v[18:19]
	global_store_dwordx2 v[28:29], v[12:13], off
	s_waitcnt vmcnt(1)
	v_fma_f64 v[6:7], -v[6:7], v[10:11], v[16:17]
	global_store_dwordx2 v[30:31], v[6:7], off
	s_branch .LBB111_3
.LBB111_20:
	s_or_b64 exec, exec, s[18:19]
	s_branch .LBB111_22
.LBB111_21:
	v_mov_b32_e32 v1, 0
.LBB111_22:
	v_subrev_u32_e32 v1, s22, v1
	v_add_u32_e32 v2, v1, v0
	v_ashrrev_i32_e32 v3, 31, v2
	s_waitcnt lgkmcnt(0)
	v_lshl_add_u64 v[2:3], v[2:3], 2, s[6:7]
	buffer_wbl2 sc1
	s_waitcnt vmcnt(0)
	buffer_inv sc1
	global_load_dword v2, v[2:3], off
	s_waitcnt vmcnt(0)
	v_mul_lo_u32 v2, v2, s22
	v_sub_u32_e32 v1, v1, v2
	v_cmp_lt_i32_e32 vcc, -1, v1
	s_and_b64 exec, exec, vcc
	s_cbranch_execz .LBB111_29
; %bb.23:
	s_lshl_b32 s4, s24, 2
	s_add_i32 s5, s4, s23
	s_add_i32 s12, s5, s23
	;; [unrolled: 1-line block ×3, first 2 shown]
	s_lshl_b32 s14, s22, 1
	s_mov_b64 s[0:1], 0
	v_mov_b32_e32 v3, 0
	s_branch .LBB111_25
.LBB111_24:                             ;   in Loop: Header=BB111_25 Depth=1
	s_or_b64 exec, exec, s[2:3]
	v_sub_u32_e32 v1, v1, v2
	v_cmp_gt_i32_e32 vcc, 0, v1
	s_or_b64 s[0:1], vcc, s[0:1]
	s_andn2_b64 exec, exec, s[0:1]
	s_cbranch_execz .LBB111_29
.LBB111_25:                             ; =>This Inner Loop Header: Depth=1
	v_add_u32_e32 v6, v1, v0
	v_ashrrev_i32_e32 v7, 31, v6
	s_waitcnt vmcnt(0)
	v_lshl_add_u64 v[4:5], v[6:7], 2, s[6:7]
	global_load_dword v2, v[4:5], off
	v_lshl_add_u64 v[4:5], v[6:7], 3, s[10:11]
	global_load_dwordx2 v[4:5], v[4:5], off
	s_waitcnt vmcnt(1)
	v_cmp_ne_u32_e32 vcc, 1, v2
	s_and_saveexec_b64 s[2:3], vcc
	s_xor_b64 s[2:3], exec, s[2:3]
	s_cbranch_execz .LBB111_27
; %bb.26:                               ;   in Loop: Header=BB111_25 Depth=1
	v_add_u32_e32 v7, v42, v1
	v_add_u32_e32 v2, s4, v7
	v_lshl_add_u64 v[8:9], v[2:3], 3, s[8:9]
	v_add_u32_e32 v2, s5, v7
	v_lshl_add_u64 v[10:11], v[2:3], 3, s[8:9]
	v_add_u32_e32 v2, s12, v7
	v_lshl_add_u64 v[12:13], v[2:3], 3, s[8:9]
	v_add_u32_e32 v2, s13, v7
	v_lshl_add_u64 v[14:15], v[2:3], 3, s[8:9]
	v_add_u32_e32 v2, s4, v6
	v_lshl_add_u64 v[16:17], v[2:3], 3, s[8:9]
	global_load_dwordx2 v[18:19], v[16:17], off
	global_load_dwordx2 v[20:21], v[8:9], off
	;; [unrolled: 1-line block ×5, first 2 shown]
	v_add_u32_e32 v2, s5, v6
	v_lshl_add_u64 v[8:9], v[2:3], 3, s[8:9]
	v_add_u32_e32 v2, s12, v6
	v_lshl_add_u64 v[12:13], v[2:3], 3, s[8:9]
	v_add_u32_e32 v2, s13, v6
	v_lshl_add_u64 v[6:7], v[2:3], 3, s[8:9]
	v_subrev_u32_e32 v2, s22, v1
	s_waitcnt vmcnt(3)
	v_fma_f64 v[10:11], -v[4:5], v[20:21], v[18:19]
	global_store_dwordx2 v[16:17], v[10:11], off
	global_load_dwordx2 v[10:11], v[8:9], off
	s_waitcnt vmcnt(0)
	v_fma_f64 v[10:11], -v[4:5], v[22:23], v[10:11]
	global_store_dwordx2 v[8:9], v[10:11], off
	global_load_dwordx2 v[8:9], v[12:13], off
	v_add_u32_e32 v10, v2, v0
	v_ashrrev_i32_e32 v11, 31, v10
	v_add_u32_e32 v2, s4, v10
	v_lshl_add_u64 v[14:15], v[2:3], 3, s[8:9]
	v_add_u32_e32 v2, s5, v10
	s_waitcnt vmcnt(0)
	v_fma_f64 v[8:9], -v[4:5], v[24:25], v[8:9]
	global_store_dwordx2 v[12:13], v[8:9], off
	global_load_dwordx2 v[8:9], v[6:7], off
	v_lshl_add_u64 v[12:13], v[10:11], 3, s[10:11]
	global_load_dwordx2 v[12:13], v[12:13], off
	s_waitcnt vmcnt(1)
	v_fma_f64 v[4:5], -v[4:5], v[26:27], v[8:9]
	global_store_dwordx2 v[6:7], v[4:5], off
	global_load_dwordx2 v[4:5], v[14:15], off
	v_lshl_add_u64 v[6:7], v[2:3], 3, s[8:9]
	v_add_u32_e32 v2, s12, v10
	v_lshl_add_u64 v[8:9], v[2:3], 3, s[8:9]
	v_add_u32_e32 v2, s13, v10
	s_waitcnt vmcnt(0)
	v_fma_f64 v[4:5], -v[12:13], v[20:21], v[4:5]
	global_store_dwordx2 v[14:15], v[4:5], off
	global_load_dwordx2 v[4:5], v[6:7], off
	s_waitcnt vmcnt(0)
	v_fma_f64 v[4:5], -v[12:13], v[22:23], v[4:5]
	global_store_dwordx2 v[6:7], v[4:5], off
	global_load_dwordx2 v[4:5], v[8:9], off
	s_waitcnt vmcnt(0)
	v_fma_f64 v[4:5], -v[12:13], v[24:25], v[4:5]
	global_store_dwordx2 v[8:9], v[4:5], off
	v_lshl_add_u64 v[4:5], v[2:3], 3, s[8:9]
	global_load_dwordx2 v[6:7], v[4:5], off
	s_waitcnt vmcnt(0)
	v_fma_f64 v[6:7], -v[12:13], v[26:27], v[6:7]
	global_store_dwordx2 v[4:5], v[6:7], off
                                        ; implicit-def: $vgpr6
                                        ; implicit-def: $vgpr4_vgpr5
.LBB111_27:                             ;   in Loop: Header=BB111_25 Depth=1
	s_or_saveexec_b64 s[2:3], s[2:3]
	v_mov_b32_e32 v2, s14
	s_xor_b64 exec, exec, s[2:3]
	s_cbranch_execz .LBB111_24
; %bb.28:                               ;   in Loop: Header=BB111_25 Depth=1
	v_add_u32_e32 v7, v42, v1
	v_add_u32_e32 v2, s4, v7
	v_lshl_add_u64 v[8:9], v[2:3], 3, s[8:9]
	v_add_u32_e32 v2, s4, v6
	v_lshl_add_u64 v[10:11], v[2:3], 3, s[8:9]
	global_load_dwordx2 v[12:13], v[8:9], off
	global_load_dwordx2 v[14:15], v[10:11], off
	v_add_u32_e32 v2, s5, v7
	v_lshl_add_u64 v[8:9], v[2:3], 3, s[8:9]
	v_add_u32_e32 v2, s5, v6
	v_lshl_add_u64 v[16:17], v[2:3], 3, s[8:9]
	v_add_u32_e32 v2, s12, v7
	s_waitcnt vmcnt(0)
	v_fma_f64 v[12:13], -v[4:5], v[12:13], v[14:15]
	global_store_dwordx2 v[10:11], v[12:13], off
	global_load_dwordx2 v[10:11], v[8:9], off
	s_nop 0
	global_load_dwordx2 v[12:13], v[16:17], off
	v_lshl_add_u64 v[8:9], v[2:3], 3, s[8:9]
	v_add_u32_e32 v2, s12, v6
	v_lshl_add_u64 v[14:15], v[2:3], 3, s[8:9]
	v_add_u32_e32 v2, s13, v7
	s_waitcnt vmcnt(0)
	v_fma_f64 v[10:11], -v[4:5], v[10:11], v[12:13]
	global_store_dwordx2 v[16:17], v[10:11], off
	global_load_dwordx2 v[10:11], v[8:9], off
	s_nop 0
	global_load_dwordx2 v[12:13], v[14:15], off
	v_lshl_add_u64 v[8:9], v[2:3], 3, s[8:9]
	v_add_u32_e32 v2, s13, v6
	v_lshl_add_u64 v[6:7], v[2:3], 3, s[8:9]
	v_mov_b32_e32 v2, s22
	s_waitcnt vmcnt(0)
	v_fma_f64 v[10:11], -v[4:5], v[10:11], v[12:13]
	global_store_dwordx2 v[14:15], v[10:11], off
	global_load_dwordx2 v[10:11], v[8:9], off
	s_nop 0
	global_load_dwordx2 v[12:13], v[6:7], off
	s_waitcnt vmcnt(0)
	v_fma_f64 v[4:5], -v[4:5], v[10:11], v[12:13]
	global_store_dwordx2 v[6:7], v[4:5], off
	s_branch .LBB111_24
.LBB111_29:
	s_endpgm
	.section	.rodata,"a",@progbits
	.p2align	6, 0x0
	.amdhsa_kernel _ZN9rocsparseL19gtsv_LBM_rhs_kernelILj256ELj4ELj4EdEEviiiPKT2_S3_S3_PS1_S3_PKi
		.amdhsa_group_segment_fixed_size 0
		.amdhsa_private_segment_fixed_size 0
		.amdhsa_kernarg_size 64
		.amdhsa_user_sgpr_count 2
		.amdhsa_user_sgpr_dispatch_ptr 0
		.amdhsa_user_sgpr_queue_ptr 0
		.amdhsa_user_sgpr_kernarg_segment_ptr 1
		.amdhsa_user_sgpr_dispatch_id 0
		.amdhsa_user_sgpr_kernarg_preload_length 0
		.amdhsa_user_sgpr_kernarg_preload_offset 0
		.amdhsa_user_sgpr_private_segment_size 0
		.amdhsa_uses_dynamic_stack 0
		.amdhsa_enable_private_segment 0
		.amdhsa_system_sgpr_workgroup_id_x 1
		.amdhsa_system_sgpr_workgroup_id_y 1
		.amdhsa_system_sgpr_workgroup_id_z 0
		.amdhsa_system_sgpr_workgroup_info 0
		.amdhsa_system_vgpr_workitem_id 0
		.amdhsa_next_free_vgpr 54
		.amdhsa_next_free_sgpr 31
		.amdhsa_accum_offset 56
		.amdhsa_reserve_vcc 1
		.amdhsa_float_round_mode_32 0
		.amdhsa_float_round_mode_16_64 0
		.amdhsa_float_denorm_mode_32 3
		.amdhsa_float_denorm_mode_16_64 3
		.amdhsa_dx10_clamp 1
		.amdhsa_ieee_mode 1
		.amdhsa_fp16_overflow 0
		.amdhsa_tg_split 0
		.amdhsa_exception_fp_ieee_invalid_op 0
		.amdhsa_exception_fp_denorm_src 0
		.amdhsa_exception_fp_ieee_div_zero 0
		.amdhsa_exception_fp_ieee_overflow 0
		.amdhsa_exception_fp_ieee_underflow 0
		.amdhsa_exception_fp_ieee_inexact 0
		.amdhsa_exception_int_div_zero 0
	.end_amdhsa_kernel
	.section	.text._ZN9rocsparseL19gtsv_LBM_rhs_kernelILj256ELj4ELj4EdEEviiiPKT2_S3_S3_PS1_S3_PKi,"axG",@progbits,_ZN9rocsparseL19gtsv_LBM_rhs_kernelILj256ELj4ELj4EdEEviiiPKT2_S3_S3_PS1_S3_PKi,comdat
.Lfunc_end111:
	.size	_ZN9rocsparseL19gtsv_LBM_rhs_kernelILj256ELj4ELj4EdEEviiiPKT2_S3_S3_PS1_S3_PKi, .Lfunc_end111-_ZN9rocsparseL19gtsv_LBM_rhs_kernelILj256ELj4ELj4EdEEviiiPKT2_S3_S3_PS1_S3_PKi
                                        ; -- End function
	.set _ZN9rocsparseL19gtsv_LBM_rhs_kernelILj256ELj4ELj4EdEEviiiPKT2_S3_S3_PS1_S3_PKi.num_vgpr, 54
	.set _ZN9rocsparseL19gtsv_LBM_rhs_kernelILj256ELj4ELj4EdEEviiiPKT2_S3_S3_PS1_S3_PKi.num_agpr, 0
	.set _ZN9rocsparseL19gtsv_LBM_rhs_kernelILj256ELj4ELj4EdEEviiiPKT2_S3_S3_PS1_S3_PKi.numbered_sgpr, 31
	.set _ZN9rocsparseL19gtsv_LBM_rhs_kernelILj256ELj4ELj4EdEEviiiPKT2_S3_S3_PS1_S3_PKi.num_named_barrier, 0
	.set _ZN9rocsparseL19gtsv_LBM_rhs_kernelILj256ELj4ELj4EdEEviiiPKT2_S3_S3_PS1_S3_PKi.private_seg_size, 0
	.set _ZN9rocsparseL19gtsv_LBM_rhs_kernelILj256ELj4ELj4EdEEviiiPKT2_S3_S3_PS1_S3_PKi.uses_vcc, 1
	.set _ZN9rocsparseL19gtsv_LBM_rhs_kernelILj256ELj4ELj4EdEEviiiPKT2_S3_S3_PS1_S3_PKi.uses_flat_scratch, 0
	.set _ZN9rocsparseL19gtsv_LBM_rhs_kernelILj256ELj4ELj4EdEEviiiPKT2_S3_S3_PS1_S3_PKi.has_dyn_sized_stack, 0
	.set _ZN9rocsparseL19gtsv_LBM_rhs_kernelILj256ELj4ELj4EdEEviiiPKT2_S3_S3_PS1_S3_PKi.has_recursion, 0
	.set _ZN9rocsparseL19gtsv_LBM_rhs_kernelILj256ELj4ELj4EdEEviiiPKT2_S3_S3_PS1_S3_PKi.has_indirect_call, 0
	.section	.AMDGPU.csdata,"",@progbits
; Kernel info:
; codeLenInByte = 2572
; TotalNumSgprs: 37
; NumVgprs: 54
; NumAgprs: 0
; TotalNumVgprs: 54
; ScratchSize: 0
; MemoryBound: 0
; FloatMode: 240
; IeeeMode: 1
; LDSByteSize: 0 bytes/workgroup (compile time only)
; SGPRBlocks: 4
; VGPRBlocks: 6
; NumSGPRsForWavesPerEU: 37
; NumVGPRsForWavesPerEU: 54
; AccumOffset: 56
; Occupancy: 8
; WaveLimiterHint : 0
; COMPUTE_PGM_RSRC2:SCRATCH_EN: 0
; COMPUTE_PGM_RSRC2:USER_SGPR: 2
; COMPUTE_PGM_RSRC2:TRAP_HANDLER: 0
; COMPUTE_PGM_RSRC2:TGID_X_EN: 1
; COMPUTE_PGM_RSRC2:TGID_Y_EN: 1
; COMPUTE_PGM_RSRC2:TGID_Z_EN: 0
; COMPUTE_PGM_RSRC2:TIDIG_COMP_CNT: 0
; COMPUTE_PGM_RSRC3_GFX90A:ACCUM_OFFSET: 13
; COMPUTE_PGM_RSRC3_GFX90A:TG_SPLIT: 0
	.section	.text._ZN9rocsparseL19gtsv_LBM_rhs_kernelILj256ELj4ELj2EdEEviiiPKT2_S3_S3_PS1_S3_PKi,"axG",@progbits,_ZN9rocsparseL19gtsv_LBM_rhs_kernelILj256ELj4ELj2EdEEviiiPKT2_S3_S3_PS1_S3_PKi,comdat
	.globl	_ZN9rocsparseL19gtsv_LBM_rhs_kernelILj256ELj4ELj2EdEEviiiPKT2_S3_S3_PS1_S3_PKi ; -- Begin function _ZN9rocsparseL19gtsv_LBM_rhs_kernelILj256ELj4ELj2EdEEviiiPKT2_S3_S3_PS1_S3_PKi
	.p2align	8
	.type	_ZN9rocsparseL19gtsv_LBM_rhs_kernelILj256ELj4ELj2EdEEviiiPKT2_S3_S3_PS1_S3_PKi,@function
_ZN9rocsparseL19gtsv_LBM_rhs_kernelILj256ELj4ELj2EdEEviiiPKT2_S3_S3_PS1_S3_PKi: ; @_ZN9rocsparseL19gtsv_LBM_rhs_kernelILj256ELj4ELj2EdEEviiiPKT2_S3_S3_PS1_S3_PKi
; %bb.0:
	s_load_dword s23, s[0:1], 0x0
	v_lshl_or_b32 v0, s2, 8, v0
	s_waitcnt lgkmcnt(0)
	s_lshr_b32 s22, s23, 2
	v_cmp_gt_i32_e32 vcc, s22, v0
	s_and_saveexec_b64 s[4:5], vcc
	s_cbranch_execz .LBB112_29
; %bb.1:
	s_load_dwordx4 s[8:11], s[0:1], 0x28
	s_load_dwordx2 s[6:7], s[0:1], 0x38
	s_cmp_lt_i32 s23, 1
	v_add_u32_e32 v30, s22, v0
	s_mul_i32 s24, s3, s23
	s_cbranch_scc1 .LBB112_21
; %bb.2:
	s_load_dwordx4 s[12:15], s[0:1], 0x10
	s_load_dwordx2 s[16:17], s[0:1], 0x20
	v_ashrrev_i32_e32 v1, 31, v0
	s_lshl_b32 s27, s24, 1
	s_mul_i32 s25, s22, 3
	s_waitcnt lgkmcnt(0)
	v_lshl_add_u64 v[2:3], v[0:1], 3, s[14:15]
	global_load_dwordx2 v[4:5], v[2:3], off
	s_lshl_b32 s26, s22, 1
	v_add_u32_e32 v31, s22, v30
	s_add_i32 s28, s27, s23
	v_mov_b32_e32 v3, 0
	s_mov_b64 s[18:19], 0
	v_mov_b32_e32 v1, 0
	s_branch .LBB112_5
.LBB112_3:                              ;   in Loop: Header=BB112_5 Depth=1
	s_or_b64 exec, exec, s[4:5]
	v_fma_f64 v[4:5], -v[4:5], v[20:21], v[8:9]
	v_mov_b32_e32 v2, s22
.LBB112_4:                              ;   in Loop: Header=BB112_5 Depth=1
	s_or_b64 exec, exec, s[2:3]
	v_add_u32_e32 v1, v2, v1
	v_cmp_le_i32_e32 vcc, s23, v1
	s_or_b64 s[18:19], vcc, s[18:19]
	s_andn2_b64 exec, exec, s[18:19]
	s_cbranch_execz .LBB112_20
.LBB112_5:                              ; =>This Inner Loop Header: Depth=1
	v_add_u32_e32 v18, v1, v0
	v_ashrrev_i32_e32 v19, 31, v18
	v_lshl_add_u64 v[6:7], v[18:19], 3, s[16:17]
	global_load_dwordx2 v[12:13], v[6:7], off
	v_cmp_gt_u32_e64 s[0:1], s25, v1
	v_mov_b64_e32 v[8:9], 0
	v_mov_b64_e32 v[6:7], 0
	s_and_saveexec_b64 s[2:3], s[0:1]
	s_cbranch_execz .LBB112_7
; %bb.6:                                ;   in Loop: Header=BB112_5 Depth=1
	v_add_u32_e32 v6, v30, v1
	v_ashrrev_i32_e32 v7, 31, v6
	v_lshl_add_u64 v[6:7], v[6:7], 3, s[12:13]
	global_load_dwordx2 v[6:7], v[6:7], off
.LBB112_7:                              ;   in Loop: Header=BB112_5 Depth=1
	s_or_b64 exec, exec, s[2:3]
	s_and_saveexec_b64 s[2:3], s[0:1]
	s_cbranch_execz .LBB112_9
; %bb.8:                                ;   in Loop: Header=BB112_5 Depth=1
	v_add_u32_e32 v8, v30, v1
	v_ashrrev_i32_e32 v9, 31, v8
	v_lshl_add_u64 v[8:9], v[8:9], 3, s[14:15]
	global_load_dwordx2 v[8:9], v[8:9], off
.LBB112_9:                              ;   in Loop: Header=BB112_5 Depth=1
	s_or_b64 exec, exec, s[2:3]
	v_mov_b64_e32 v[14:15], 0
	v_mov_b64_e32 v[10:11], 0
	s_and_saveexec_b64 s[2:3], s[0:1]
	s_cbranch_execz .LBB112_11
; %bb.10:                               ;   in Loop: Header=BB112_5 Depth=1
	v_add_u32_e32 v10, v30, v1
	v_ashrrev_i32_e32 v11, 31, v10
	v_lshl_add_u64 v[10:11], v[10:11], 3, s[16:17]
	global_load_dwordx2 v[10:11], v[10:11], off
.LBB112_11:                             ;   in Loop: Header=BB112_5 Depth=1
	s_or_b64 exec, exec, s[2:3]
	v_cmp_gt_u32_e64 s[2:3], s26, v1
	s_and_saveexec_b64 s[4:5], s[2:3]
	s_cbranch_execz .LBB112_13
; %bb.12:                               ;   in Loop: Header=BB112_5 Depth=1
	v_add_u32_e32 v14, v31, v1
	v_ashrrev_i32_e32 v15, 31, v14
	v_lshl_add_u64 v[14:15], v[14:15], 3, s[12:13]
	global_load_dwordx2 v[14:15], v[14:15], off
.LBB112_13:                             ;   in Loop: Header=BB112_5 Depth=1
	s_or_b64 exec, exec, s[4:5]
	v_lshl_add_u64 v[16:17], v[18:19], 2, s[6:7]
	global_load_dword v20, v[16:17], off
	v_add_u32_e32 v2, s27, v18
	v_lshl_add_u64 v[16:17], v[2:3], 3, s[8:9]
	v_add_u32_e32 v2, s28, v18
	v_lshl_add_u64 v[18:19], v[2:3], 3, s[8:9]
	global_load_dwordx2 v[22:23], v[16:17], off
	global_load_dwordx2 v[24:25], v[18:19], off
	v_cmp_ne_u32_e32 vcc, s25, v1
	s_waitcnt vmcnt(2)
	v_cmp_ne_u32_e64 s[4:5], 1, v20
	s_and_b64 s[4:5], vcc, s[4:5]
	v_mul_f64 v[20:21], v[12:13], v[6:7]
	s_and_saveexec_b64 s[20:21], s[4:5]
	s_xor_b64 s[4:5], exec, s[20:21]
	s_cbranch_execz .LBB112_17
; %bb.14:                               ;   in Loop: Header=BB112_5 Depth=1
	v_add_u32_e32 v26, v30, v1
	v_add_u32_e32 v2, s27, v26
	v_lshl_add_u64 v[32:33], v[2:3], 3, s[8:9]
	v_add_u32_e32 v2, s28, v26
	v_lshl_add_u64 v[34:35], v[2:3], 3, s[8:9]
	global_load_dwordx2 v[26:27], v[32:33], off
	global_load_dwordx2 v[28:29], v[34:35], off
	v_fma_f64 v[20:21], v[4:5], v[8:9], -v[20:21]
	v_div_scale_f64 v[36:37], s[20:21], v[20:21], v[20:21], 1.0
	v_rcp_f64_e32 v[38:39], v[36:37]
	v_div_scale_f64 v[40:41], vcc, 1.0, v[20:21], 1.0
	v_fma_f64 v[42:43], -v[36:37], v[38:39], 1.0
	v_fmac_f64_e32 v[38:39], v[38:39], v[42:43]
	v_fma_f64 v[42:43], -v[36:37], v[38:39], 1.0
	v_fmac_f64_e32 v[38:39], v[38:39], v[42:43]
	v_mul_f64 v[42:43], v[40:41], v[38:39]
	v_fma_f64 v[36:37], -v[36:37], v[42:43], v[40:41]
	v_div_fmas_f64 v[36:37], v[36:37], v[38:39], v[42:43]
	v_div_fixup_f64 v[20:21], v[36:37], v[20:21], 1.0
	s_waitcnt vmcnt(3)
	v_mul_f64 v[22:23], v[20:21], v[22:23]
	s_waitcnt vmcnt(2)
	v_mul_f64 v[24:25], v[20:21], v[24:25]
	v_mul_f64 v[36:37], v[6:7], v[22:23]
	;; [unrolled: 1-line block ×3, first 2 shown]
	s_waitcnt vmcnt(1)
	v_mul_f64 v[26:27], v[20:21], v[26:27]
	s_waitcnt vmcnt(0)
	v_mul_f64 v[28:29], v[20:21], v[28:29]
	v_mul_f64 v[40:41], v[12:13], v[26:27]
	;; [unrolled: 1-line block ×3, first 2 shown]
	v_fma_f64 v[40:41], v[8:9], v[22:23], -v[40:41]
	v_fma_f64 v[8:9], v[8:9], v[24:25], -v[12:13]
	;; [unrolled: 1-line block ×4, first 2 shown]
	global_store_dwordx2 v[16:17], v[40:41], off
	global_store_dwordx2 v[18:19], v[8:9], off
	;; [unrolled: 1-line block ×4, first 2 shown]
	v_mov_b64_e32 v[8:9], 0
	s_and_saveexec_b64 s[20:21], s[2:3]
	s_cbranch_execz .LBB112_16
; %bb.15:                               ;   in Loop: Header=BB112_5 Depth=1
	v_add_u32_e32 v8, v31, v1
	v_add_u32_e32 v2, s27, v8
	v_ashrrev_i32_e32 v9, 31, v8
	v_lshl_add_u64 v[12:13], v[2:3], 3, s[8:9]
	v_add_u32_e32 v2, s28, v8
	v_lshl_add_u64 v[8:9], v[8:9], 3, s[14:15]
	v_lshl_add_u64 v[16:17], v[2:3], 3, s[8:9]
	global_load_dwordx2 v[18:19], v[12:13], off
	global_load_dwordx2 v[32:33], v[16:17], off
	v_mul_f64 v[4:5], v[4:5], v[14:15]
	global_load_dwordx2 v[8:9], v[8:9], off
	v_mul_f64 v[6:7], v[6:7], v[14:15]
	v_mul_f64 v[14:15], v[4:5], v[26:27]
	;; [unrolled: 1-line block ×4, first 2 shown]
	v_fma_f64 v[10:11], v[6:7], v[22:23], -v[14:15]
	v_fma_f64 v[6:7], v[6:7], v[24:25], -v[26:27]
	s_waitcnt vmcnt(2)
	v_add_f64 v[10:11], v[10:11], v[18:19]
	s_waitcnt vmcnt(1)
	v_add_f64 v[6:7], v[6:7], v[32:33]
	global_store_dwordx2 v[12:13], v[10:11], off
	s_waitcnt vmcnt(1)
	v_fma_f64 v[8:9], -v[20:21], v[4:5], v[8:9]
	global_store_dwordx2 v[16:17], v[6:7], off
.LBB112_16:                             ;   in Loop: Header=BB112_5 Depth=1
	s_or_b64 exec, exec, s[20:21]
	v_mov_b64_e32 v[4:5], v[8:9]
                                        ; implicit-def: $vgpr20_vgpr21
                                        ; implicit-def: $vgpr8_vgpr9
                                        ; implicit-def: $vgpr22_vgpr23
                                        ; implicit-def: $vgpr24_vgpr25
                                        ; implicit-def: $vgpr16_vgpr17
                                        ; implicit-def: $vgpr18_vgpr19
                                        ; implicit-def: $vgpr6_vgpr7
.LBB112_17:                             ;   in Loop: Header=BB112_5 Depth=1
	s_or_saveexec_b64 s[2:3], s[4:5]
	v_mov_b32_e32 v2, s26
	s_xor_b64 exec, exec, s[2:3]
	s_cbranch_execz .LBB112_4
; %bb.18:                               ;   in Loop: Header=BB112_5 Depth=1
	v_div_scale_f64 v[10:11], s[4:5], v[4:5], v[4:5], 1.0
	v_rcp_f64_e32 v[12:13], v[10:11]
	v_div_scale_f64 v[14:15], vcc, 1.0, v[4:5], 1.0
	v_fma_f64 v[26:27], -v[10:11], v[12:13], 1.0
	v_fmac_f64_e32 v[12:13], v[12:13], v[26:27]
	v_fma_f64 v[26:27], -v[10:11], v[12:13], 1.0
	v_fmac_f64_e32 v[12:13], v[12:13], v[26:27]
	v_mul_f64 v[26:27], v[14:15], v[12:13]
	v_fma_f64 v[10:11], -v[10:11], v[26:27], v[14:15]
	v_div_fmas_f64 v[10:11], v[10:11], v[12:13], v[26:27]
	v_div_fixup_f64 v[4:5], v[10:11], v[4:5], 1.0
	s_waitcnt vmcnt(1)
	v_mul_f64 v[12:13], v[4:5], v[22:23]
	s_waitcnt vmcnt(0)
	v_mul_f64 v[10:11], v[4:5], v[24:25]
	global_store_dwordx2 v[16:17], v[12:13], off
	global_store_dwordx2 v[18:19], v[10:11], off
	s_and_saveexec_b64 s[4:5], s[0:1]
	s_cbranch_execz .LBB112_3
; %bb.19:                               ;   in Loop: Header=BB112_5 Depth=1
	v_add_u32_e32 v18, v30, v1
	v_add_u32_e32 v2, s27, v18
	v_lshl_add_u64 v[14:15], v[2:3], 3, s[8:9]
	v_add_u32_e32 v2, s28, v18
	v_lshl_add_u64 v[18:19], v[2:3], 3, s[8:9]
	global_load_dwordx2 v[16:17], v[14:15], off
	global_load_dwordx2 v[22:23], v[18:19], off
	s_waitcnt vmcnt(1)
	v_fma_f64 v[12:13], -v[6:7], v[12:13], v[16:17]
	s_waitcnt vmcnt(0)
	v_fma_f64 v[6:7], -v[6:7], v[10:11], v[22:23]
	global_store_dwordx2 v[14:15], v[12:13], off
	global_store_dwordx2 v[18:19], v[6:7], off
	s_branch .LBB112_3
.LBB112_20:
	s_or_b64 exec, exec, s[18:19]
	s_branch .LBB112_22
.LBB112_21:
	v_mov_b32_e32 v1, 0
.LBB112_22:
	v_subrev_u32_e32 v1, s22, v1
	v_add_u32_e32 v2, v1, v0
	v_ashrrev_i32_e32 v3, 31, v2
	s_waitcnt lgkmcnt(0)
	v_lshl_add_u64 v[2:3], v[2:3], 2, s[6:7]
	buffer_wbl2 sc1
	s_waitcnt vmcnt(0)
	buffer_inv sc1
	global_load_dword v2, v[2:3], off
	s_waitcnt vmcnt(0)
	v_mul_lo_u32 v2, v2, s22
	v_sub_u32_e32 v1, v1, v2
	v_cmp_lt_i32_e32 vcc, -1, v1
	s_and_b64 exec, exec, vcc
	s_cbranch_execz .LBB112_29
; %bb.23:
	s_lshl_b32 s4, s24, 1
	s_add_i32 s5, s4, s23
	s_lshl_b32 s12, s22, 1
	s_mov_b64 s[0:1], 0
	v_mov_b32_e32 v3, 0
	s_branch .LBB112_25
.LBB112_24:                             ;   in Loop: Header=BB112_25 Depth=1
	s_or_b64 exec, exec, s[2:3]
	v_sub_u32_e32 v1, v1, v2
	v_cmp_gt_i32_e32 vcc, 0, v1
	s_or_b64 s[0:1], vcc, s[0:1]
	s_andn2_b64 exec, exec, s[0:1]
	s_cbranch_execz .LBB112_29
.LBB112_25:                             ; =>This Inner Loop Header: Depth=1
	v_add_u32_e32 v6, v1, v0
	v_ashrrev_i32_e32 v7, 31, v6
	s_waitcnt vmcnt(0)
	v_lshl_add_u64 v[4:5], v[6:7], 2, s[6:7]
	global_load_dword v2, v[4:5], off
	v_lshl_add_u64 v[4:5], v[6:7], 3, s[10:11]
	global_load_dwordx2 v[4:5], v[4:5], off
	s_waitcnt vmcnt(1)
	v_cmp_ne_u32_e32 vcc, 1, v2
	s_and_saveexec_b64 s[2:3], vcc
	s_xor_b64 s[2:3], exec, s[2:3]
	s_cbranch_execz .LBB112_27
; %bb.26:                               ;   in Loop: Header=BB112_25 Depth=1
	v_add_u32_e32 v7, v30, v1
	v_add_u32_e32 v2, s4, v7
	v_lshl_add_u64 v[8:9], v[2:3], 3, s[8:9]
	v_add_u32_e32 v2, s5, v7
	v_lshl_add_u64 v[10:11], v[2:3], 3, s[8:9]
	;; [unrolled: 2-line block ×3, first 2 shown]
	global_load_dwordx2 v[14:15], v[8:9], off
	global_load_dwordx2 v[16:17], v[12:13], off
	;; [unrolled: 1-line block ×3, first 2 shown]
	v_add_u32_e32 v2, s5, v6
	v_lshl_add_u64 v[6:7], v[2:3], 3, s[8:9]
	v_subrev_u32_e32 v2, s22, v1
	v_add_u32_e32 v10, v2, v0
	v_ashrrev_i32_e32 v11, 31, v10
	v_add_u32_e32 v2, s4, v10
	s_waitcnt vmcnt(1)
	v_fma_f64 v[8:9], -v[4:5], v[14:15], v[16:17]
	global_store_dwordx2 v[12:13], v[8:9], off
	global_load_dwordx2 v[8:9], v[6:7], off
	v_lshl_add_u64 v[12:13], v[10:11], 3, s[10:11]
	v_lshl_add_u64 v[16:17], v[2:3], 3, s[8:9]
	global_load_dwordx2 v[12:13], v[12:13], off
	v_add_u32_e32 v2, s5, v10
	s_waitcnt vmcnt(1)
	v_fma_f64 v[4:5], -v[4:5], v[18:19], v[8:9]
	global_store_dwordx2 v[6:7], v[4:5], off
	global_load_dwordx2 v[4:5], v[16:17], off
	s_waitcnt vmcnt(0)
	v_fma_f64 v[4:5], -v[12:13], v[14:15], v[4:5]
	global_store_dwordx2 v[16:17], v[4:5], off
	v_lshl_add_u64 v[4:5], v[2:3], 3, s[8:9]
	global_load_dwordx2 v[6:7], v[4:5], off
	s_waitcnt vmcnt(0)
	v_fma_f64 v[6:7], -v[12:13], v[18:19], v[6:7]
	global_store_dwordx2 v[4:5], v[6:7], off
                                        ; implicit-def: $vgpr6
                                        ; implicit-def: $vgpr4_vgpr5
.LBB112_27:                             ;   in Loop: Header=BB112_25 Depth=1
	s_or_saveexec_b64 s[2:3], s[2:3]
	v_mov_b32_e32 v2, s12
	s_xor_b64 exec, exec, s[2:3]
	s_cbranch_execz .LBB112_24
; %bb.28:                               ;   in Loop: Header=BB112_25 Depth=1
	v_add_u32_e32 v7, v30, v1
	v_add_u32_e32 v2, s4, v7
	v_lshl_add_u64 v[8:9], v[2:3], 3, s[8:9]
	v_add_u32_e32 v2, s4, v6
	v_lshl_add_u64 v[10:11], v[2:3], 3, s[8:9]
	global_load_dwordx2 v[12:13], v[8:9], off
	global_load_dwordx2 v[14:15], v[10:11], off
	v_add_u32_e32 v2, s5, v7
	v_lshl_add_u64 v[8:9], v[2:3], 3, s[8:9]
	v_add_u32_e32 v2, s5, v6
	v_lshl_add_u64 v[6:7], v[2:3], 3, s[8:9]
	v_mov_b32_e32 v2, s22
	s_waitcnt vmcnt(0)
	v_fma_f64 v[12:13], -v[4:5], v[12:13], v[14:15]
	global_store_dwordx2 v[10:11], v[12:13], off
	global_load_dwordx2 v[10:11], v[8:9], off
	s_nop 0
	global_load_dwordx2 v[12:13], v[6:7], off
	s_waitcnt vmcnt(0)
	v_fma_f64 v[4:5], -v[4:5], v[10:11], v[12:13]
	global_store_dwordx2 v[6:7], v[4:5], off
	s_branch .LBB112_24
.LBB112_29:
	s_endpgm
	.section	.rodata,"a",@progbits
	.p2align	6, 0x0
	.amdhsa_kernel _ZN9rocsparseL19gtsv_LBM_rhs_kernelILj256ELj4ELj2EdEEviiiPKT2_S3_S3_PS1_S3_PKi
		.amdhsa_group_segment_fixed_size 0
		.amdhsa_private_segment_fixed_size 0
		.amdhsa_kernarg_size 64
		.amdhsa_user_sgpr_count 2
		.amdhsa_user_sgpr_dispatch_ptr 0
		.amdhsa_user_sgpr_queue_ptr 0
		.amdhsa_user_sgpr_kernarg_segment_ptr 1
		.amdhsa_user_sgpr_dispatch_id 0
		.amdhsa_user_sgpr_kernarg_preload_length 0
		.amdhsa_user_sgpr_kernarg_preload_offset 0
		.amdhsa_user_sgpr_private_segment_size 0
		.amdhsa_uses_dynamic_stack 0
		.amdhsa_enable_private_segment 0
		.amdhsa_system_sgpr_workgroup_id_x 1
		.amdhsa_system_sgpr_workgroup_id_y 1
		.amdhsa_system_sgpr_workgroup_id_z 0
		.amdhsa_system_sgpr_workgroup_info 0
		.amdhsa_system_vgpr_workitem_id 0
		.amdhsa_next_free_vgpr 44
		.amdhsa_next_free_sgpr 29
		.amdhsa_accum_offset 44
		.amdhsa_reserve_vcc 1
		.amdhsa_float_round_mode_32 0
		.amdhsa_float_round_mode_16_64 0
		.amdhsa_float_denorm_mode_32 3
		.amdhsa_float_denorm_mode_16_64 3
		.amdhsa_dx10_clamp 1
		.amdhsa_ieee_mode 1
		.amdhsa_fp16_overflow 0
		.amdhsa_tg_split 0
		.amdhsa_exception_fp_ieee_invalid_op 0
		.amdhsa_exception_fp_denorm_src 0
		.amdhsa_exception_fp_ieee_div_zero 0
		.amdhsa_exception_fp_ieee_overflow 0
		.amdhsa_exception_fp_ieee_underflow 0
		.amdhsa_exception_fp_ieee_inexact 0
		.amdhsa_exception_int_div_zero 0
	.end_amdhsa_kernel
	.section	.text._ZN9rocsparseL19gtsv_LBM_rhs_kernelILj256ELj4ELj2EdEEviiiPKT2_S3_S3_PS1_S3_PKi,"axG",@progbits,_ZN9rocsparseL19gtsv_LBM_rhs_kernelILj256ELj4ELj2EdEEviiiPKT2_S3_S3_PS1_S3_PKi,comdat
.Lfunc_end112:
	.size	_ZN9rocsparseL19gtsv_LBM_rhs_kernelILj256ELj4ELj2EdEEviiiPKT2_S3_S3_PS1_S3_PKi, .Lfunc_end112-_ZN9rocsparseL19gtsv_LBM_rhs_kernelILj256ELj4ELj2EdEEviiiPKT2_S3_S3_PS1_S3_PKi
                                        ; -- End function
	.set _ZN9rocsparseL19gtsv_LBM_rhs_kernelILj256ELj4ELj2EdEEviiiPKT2_S3_S3_PS1_S3_PKi.num_vgpr, 44
	.set _ZN9rocsparseL19gtsv_LBM_rhs_kernelILj256ELj4ELj2EdEEviiiPKT2_S3_S3_PS1_S3_PKi.num_agpr, 0
	.set _ZN9rocsparseL19gtsv_LBM_rhs_kernelILj256ELj4ELj2EdEEviiiPKT2_S3_S3_PS1_S3_PKi.numbered_sgpr, 29
	.set _ZN9rocsparseL19gtsv_LBM_rhs_kernelILj256ELj4ELj2EdEEviiiPKT2_S3_S3_PS1_S3_PKi.num_named_barrier, 0
	.set _ZN9rocsparseL19gtsv_LBM_rhs_kernelILj256ELj4ELj2EdEEviiiPKT2_S3_S3_PS1_S3_PKi.private_seg_size, 0
	.set _ZN9rocsparseL19gtsv_LBM_rhs_kernelILj256ELj4ELj2EdEEviiiPKT2_S3_S3_PS1_S3_PKi.uses_vcc, 1
	.set _ZN9rocsparseL19gtsv_LBM_rhs_kernelILj256ELj4ELj2EdEEviiiPKT2_S3_S3_PS1_S3_PKi.uses_flat_scratch, 0
	.set _ZN9rocsparseL19gtsv_LBM_rhs_kernelILj256ELj4ELj2EdEEviiiPKT2_S3_S3_PS1_S3_PKi.has_dyn_sized_stack, 0
	.set _ZN9rocsparseL19gtsv_LBM_rhs_kernelILj256ELj4ELj2EdEEviiiPKT2_S3_S3_PS1_S3_PKi.has_recursion, 0
	.set _ZN9rocsparseL19gtsv_LBM_rhs_kernelILj256ELj4ELj2EdEEviiiPKT2_S3_S3_PS1_S3_PKi.has_indirect_call, 0
	.section	.AMDGPU.csdata,"",@progbits
; Kernel info:
; codeLenInByte = 1764
; TotalNumSgprs: 35
; NumVgprs: 44
; NumAgprs: 0
; TotalNumVgprs: 44
; ScratchSize: 0
; MemoryBound: 0
; FloatMode: 240
; IeeeMode: 1
; LDSByteSize: 0 bytes/workgroup (compile time only)
; SGPRBlocks: 4
; VGPRBlocks: 5
; NumSGPRsForWavesPerEU: 35
; NumVGPRsForWavesPerEU: 44
; AccumOffset: 44
; Occupancy: 8
; WaveLimiterHint : 0
; COMPUTE_PGM_RSRC2:SCRATCH_EN: 0
; COMPUTE_PGM_RSRC2:USER_SGPR: 2
; COMPUTE_PGM_RSRC2:TRAP_HANDLER: 0
; COMPUTE_PGM_RSRC2:TGID_X_EN: 1
; COMPUTE_PGM_RSRC2:TGID_Y_EN: 1
; COMPUTE_PGM_RSRC2:TGID_Z_EN: 0
; COMPUTE_PGM_RSRC2:TIDIG_COMP_CNT: 0
; COMPUTE_PGM_RSRC3_GFX90A:ACCUM_OFFSET: 10
; COMPUTE_PGM_RSRC3_GFX90A:TG_SPLIT: 0
	.section	.text._ZN9rocsparseL19gtsv_LBM_rhs_kernelILj256ELj4ELj1EdEEviiiPKT2_S3_S3_PS1_S3_PKi,"axG",@progbits,_ZN9rocsparseL19gtsv_LBM_rhs_kernelILj256ELj4ELj1EdEEviiiPKT2_S3_S3_PS1_S3_PKi,comdat
	.globl	_ZN9rocsparseL19gtsv_LBM_rhs_kernelILj256ELj4ELj1EdEEviiiPKT2_S3_S3_PS1_S3_PKi ; -- Begin function _ZN9rocsparseL19gtsv_LBM_rhs_kernelILj256ELj4ELj1EdEEviiiPKT2_S3_S3_PS1_S3_PKi
	.p2align	8
	.type	_ZN9rocsparseL19gtsv_LBM_rhs_kernelILj256ELj4ELj1EdEEviiiPKT2_S3_S3_PS1_S3_PKi,@function
_ZN9rocsparseL19gtsv_LBM_rhs_kernelILj256ELj4ELj1EdEEviiiPKT2_S3_S3_PS1_S3_PKi: ; @_ZN9rocsparseL19gtsv_LBM_rhs_kernelILj256ELj4ELj1EdEEviiiPKT2_S3_S3_PS1_S3_PKi
; %bb.0:
	s_load_dword s24, s[0:1], 0x0
	v_lshl_or_b32 v0, s2, 8, v0
	s_waitcnt lgkmcnt(0)
	s_lshr_b32 s22, s24, 2
	v_cmp_gt_i32_e32 vcc, s22, v0
	s_and_saveexec_b64 s[4:5], vcc
	s_cbranch_execz .LBB113_29
; %bb.1:
	s_load_dwordx4 s[8:11], s[0:1], 0x28
	s_load_dwordx2 s[6:7], s[0:1], 0x38
	s_cmp_lt_i32 s24, 1
	s_mul_i32 s23, s24, s3
	s_cbranch_scc1 .LBB113_21
; %bb.2:
	s_load_dwordx4 s[12:15], s[0:1], 0x10
	s_load_dwordx2 s[16:17], s[0:1], 0x20
	v_ashrrev_i32_e32 v1, 31, v0
	v_add_u32_e32 v24, s22, v0
	s_mul_i32 s25, s22, 3
	s_waitcnt lgkmcnt(0)
	v_lshl_add_u64 v[2:3], v[0:1], 3, s[14:15]
	global_load_dwordx2 v[4:5], v[2:3], off
	s_lshl_b32 s26, s22, 1
	v_add_u32_e32 v25, s22, v24
	v_add_u32_e32 v26, s23, v24
	v_mov_b32_e32 v3, 0
	s_mov_b64 s[18:19], 0
	v_mov_b32_e32 v1, 0
	s_branch .LBB113_5
.LBB113_3:                              ;   in Loop: Header=BB113_5 Depth=1
	s_or_b64 exec, exec, s[4:5]
	v_fma_f64 v[4:5], -v[4:5], v[18:19], v[8:9]
	v_mov_b32_e32 v2, s22
.LBB113_4:                              ;   in Loop: Header=BB113_5 Depth=1
	s_or_b64 exec, exec, s[2:3]
	v_add_u32_e32 v1, v2, v1
	v_cmp_le_i32_e32 vcc, s24, v1
	s_or_b64 s[18:19], vcc, s[18:19]
	s_andn2_b64 exec, exec, s[18:19]
	s_cbranch_execz .LBB113_20
.LBB113_5:                              ; =>This Inner Loop Header: Depth=1
	v_add_u32_e32 v16, v1, v0
	v_ashrrev_i32_e32 v17, 31, v16
	v_lshl_add_u64 v[6:7], v[16:17], 3, s[16:17]
	global_load_dwordx2 v[10:11], v[6:7], off
	v_cmp_gt_u32_e64 s[0:1], s25, v1
	v_mov_b64_e32 v[8:9], 0
	v_add_u32_e32 v18, v24, v1
	v_mov_b64_e32 v[6:7], 0
	s_and_saveexec_b64 s[2:3], s[0:1]
	s_cbranch_execz .LBB113_7
; %bb.6:                                ;   in Loop: Header=BB113_5 Depth=1
	v_ashrrev_i32_e32 v19, 31, v18
	v_lshl_add_u64 v[6:7], v[18:19], 3, s[12:13]
	global_load_dwordx2 v[6:7], v[6:7], off
.LBB113_7:                              ;   in Loop: Header=BB113_5 Depth=1
	s_or_b64 exec, exec, s[2:3]
	s_and_saveexec_b64 s[2:3], s[0:1]
	s_cbranch_execz .LBB113_9
; %bb.8:                                ;   in Loop: Header=BB113_5 Depth=1
	v_ashrrev_i32_e32 v19, 31, v18
	v_lshl_add_u64 v[8:9], v[18:19], 3, s[14:15]
	global_load_dwordx2 v[8:9], v[8:9], off
.LBB113_9:                              ;   in Loop: Header=BB113_5 Depth=1
	s_or_b64 exec, exec, s[2:3]
	v_mov_b64_e32 v[14:15], 0
	v_mov_b64_e32 v[12:13], 0
	s_and_saveexec_b64 s[2:3], s[0:1]
	s_cbranch_execz .LBB113_11
; %bb.10:                               ;   in Loop: Header=BB113_5 Depth=1
	v_ashrrev_i32_e32 v19, 31, v18
	v_lshl_add_u64 v[12:13], v[18:19], 3, s[16:17]
	global_load_dwordx2 v[12:13], v[12:13], off
.LBB113_11:                             ;   in Loop: Header=BB113_5 Depth=1
	s_or_b64 exec, exec, s[2:3]
	v_cmp_gt_u32_e64 s[2:3], s26, v1
	s_and_saveexec_b64 s[4:5], s[2:3]
	s_cbranch_execz .LBB113_13
; %bb.12:                               ;   in Loop: Header=BB113_5 Depth=1
	v_add_u32_e32 v14, v25, v1
	v_ashrrev_i32_e32 v15, 31, v14
	v_lshl_add_u64 v[14:15], v[14:15], 3, s[12:13]
	global_load_dwordx2 v[14:15], v[14:15], off
.LBB113_13:                             ;   in Loop: Header=BB113_5 Depth=1
	s_or_b64 exec, exec, s[4:5]
	v_lshl_add_u64 v[18:19], v[16:17], 2, s[6:7]
	global_load_dword v18, v[18:19], off
	v_add_u32_e32 v2, s23, v16
	v_lshl_add_u64 v[16:17], v[2:3], 3, s[8:9]
	global_load_dwordx2 v[20:21], v[16:17], off
	v_cmp_ne_u32_e32 vcc, s25, v1
	s_waitcnt vmcnt(1)
	v_cmp_ne_u32_e64 s[4:5], 1, v18
	s_and_b64 s[4:5], vcc, s[4:5]
	v_mul_f64 v[18:19], v[10:11], v[6:7]
	s_and_saveexec_b64 s[20:21], s[4:5]
	s_xor_b64 s[4:5], exec, s[20:21]
	s_cbranch_execz .LBB113_17
; %bb.14:                               ;   in Loop: Header=BB113_5 Depth=1
	v_add_u32_e32 v2, v26, v1
	v_lshl_add_u64 v[28:29], v[2:3], 3, s[8:9]
	global_load_dwordx2 v[22:23], v[28:29], off
	v_fma_f64 v[18:19], v[4:5], v[8:9], -v[18:19]
	v_div_scale_f64 v[30:31], s[20:21], v[18:19], v[18:19], 1.0
	v_rcp_f64_e32 v[32:33], v[30:31]
	v_div_scale_f64 v[34:35], vcc, 1.0, v[18:19], 1.0
	v_fma_f64 v[36:37], -v[30:31], v[32:33], 1.0
	v_fmac_f64_e32 v[32:33], v[32:33], v[36:37]
	v_fma_f64 v[36:37], -v[30:31], v[32:33], 1.0
	v_fmac_f64_e32 v[32:33], v[32:33], v[36:37]
	v_mul_f64 v[36:37], v[34:35], v[32:33]
	v_fma_f64 v[30:31], -v[30:31], v[36:37], v[34:35]
	v_div_fmas_f64 v[30:31], v[30:31], v[32:33], v[36:37]
	v_div_fixup_f64 v[18:19], v[30:31], v[18:19], 1.0
	s_waitcnt vmcnt(1)
	v_mul_f64 v[20:21], v[18:19], v[20:21]
	v_mul_f64 v[30:31], v[6:7], v[20:21]
	s_waitcnt vmcnt(0)
	v_mul_f64 v[22:23], v[18:19], v[22:23]
	v_mul_f64 v[10:11], v[10:11], v[22:23]
	v_fma_f64 v[8:9], v[8:9], v[20:21], -v[10:11]
	v_fma_f64 v[30:31], v[4:5], v[22:23], -v[30:31]
	global_store_dwordx2 v[16:17], v[8:9], off
	global_store_dwordx2 v[28:29], v[30:31], off
	v_mov_b64_e32 v[8:9], 0
	s_and_saveexec_b64 s[20:21], s[2:3]
	s_cbranch_execz .LBB113_16
; %bb.15:                               ;   in Loop: Header=BB113_5 Depth=1
	v_add_u32_e32 v8, v25, v1
	v_add_u32_e32 v2, s23, v8
	v_ashrrev_i32_e32 v9, 31, v8
	v_lshl_add_u64 v[10:11], v[2:3], 3, s[8:9]
	v_lshl_add_u64 v[8:9], v[8:9], 3, s[14:15]
	global_load_dwordx2 v[16:17], v[10:11], off
	v_mul_f64 v[4:5], v[4:5], v[14:15]
	global_load_dwordx2 v[8:9], v[8:9], off
	v_mul_f64 v[6:7], v[6:7], v[14:15]
	v_mul_f64 v[14:15], v[4:5], v[22:23]
	;; [unrolled: 1-line block ×3, first 2 shown]
	v_fma_f64 v[6:7], v[6:7], v[20:21], -v[14:15]
	s_waitcnt vmcnt(1)
	v_add_f64 v[6:7], v[6:7], v[16:17]
	global_store_dwordx2 v[10:11], v[6:7], off
	s_waitcnt vmcnt(1)
	v_fma_f64 v[8:9], -v[18:19], v[4:5], v[8:9]
.LBB113_16:                             ;   in Loop: Header=BB113_5 Depth=1
	s_or_b64 exec, exec, s[20:21]
	v_mov_b64_e32 v[4:5], v[8:9]
                                        ; implicit-def: $vgpr18_vgpr19
                                        ; implicit-def: $vgpr8_vgpr9
                                        ; implicit-def: $vgpr20_vgpr21
                                        ; implicit-def: $vgpr16_vgpr17
                                        ; implicit-def: $vgpr6_vgpr7
.LBB113_17:                             ;   in Loop: Header=BB113_5 Depth=1
	s_or_saveexec_b64 s[2:3], s[4:5]
	v_mov_b32_e32 v2, s26
	s_xor_b64 exec, exec, s[2:3]
	s_cbranch_execz .LBB113_4
; %bb.18:                               ;   in Loop: Header=BB113_5 Depth=1
	v_div_scale_f64 v[10:11], s[4:5], v[4:5], v[4:5], 1.0
	v_rcp_f64_e32 v[12:13], v[10:11]
	v_div_scale_f64 v[14:15], vcc, 1.0, v[4:5], 1.0
	v_fma_f64 v[22:23], -v[10:11], v[12:13], 1.0
	v_fmac_f64_e32 v[12:13], v[12:13], v[22:23]
	v_fma_f64 v[22:23], -v[10:11], v[12:13], 1.0
	v_fmac_f64_e32 v[12:13], v[12:13], v[22:23]
	v_mul_f64 v[22:23], v[14:15], v[12:13]
	v_fma_f64 v[10:11], -v[10:11], v[22:23], v[14:15]
	v_div_fmas_f64 v[10:11], v[10:11], v[12:13], v[22:23]
	v_div_fixup_f64 v[4:5], v[10:11], v[4:5], 1.0
	s_waitcnt vmcnt(0)
	v_mul_f64 v[10:11], v[4:5], v[20:21]
	global_store_dwordx2 v[16:17], v[10:11], off
	s_and_saveexec_b64 s[4:5], s[0:1]
	s_cbranch_execz .LBB113_3
; %bb.19:                               ;   in Loop: Header=BB113_5 Depth=1
	v_add_u32_e32 v2, v26, v1
	v_lshl_add_u64 v[12:13], v[2:3], 3, s[8:9]
	global_load_dwordx2 v[14:15], v[12:13], off
	s_waitcnt vmcnt(0)
	v_fma_f64 v[6:7], -v[6:7], v[10:11], v[14:15]
	global_store_dwordx2 v[12:13], v[6:7], off
	s_branch .LBB113_3
.LBB113_20:
	s_or_b64 exec, exec, s[18:19]
	s_branch .LBB113_22
.LBB113_21:
	v_mov_b32_e32 v1, 0
.LBB113_22:
	v_subrev_u32_e32 v1, s22, v1
	v_add_u32_e32 v2, v1, v0
	v_ashrrev_i32_e32 v3, 31, v2
	s_waitcnt lgkmcnt(0)
	v_lshl_add_u64 v[2:3], v[2:3], 2, s[6:7]
	buffer_wbl2 sc1
	s_waitcnt vmcnt(0)
	buffer_inv sc1
	global_load_dword v2, v[2:3], off
	s_waitcnt vmcnt(0)
	v_mul_lo_u32 v2, v2, s22
	v_sub_u32_e32 v1, v1, v2
	v_cmp_lt_i32_e32 vcc, -1, v1
	s_and_b64 exec, exec, vcc
	s_cbranch_execz .LBB113_29
; %bb.23:
	s_add_i32 s0, s23, s22
	v_add_u32_e32 v8, s0, v0
	s_lshl_b32 s4, s22, 1
	s_mov_b64 s[0:1], 0
	v_mov_b32_e32 v3, 0
	s_branch .LBB113_25
.LBB113_24:                             ;   in Loop: Header=BB113_25 Depth=1
	s_or_b64 exec, exec, s[2:3]
	v_sub_u32_e32 v1, v1, v2
	v_cmp_gt_i32_e32 vcc, 0, v1
	s_or_b64 s[0:1], vcc, s[0:1]
	s_andn2_b64 exec, exec, s[0:1]
	s_cbranch_execz .LBB113_29
.LBB113_25:                             ; =>This Inner Loop Header: Depth=1
	v_add_u32_e32 v6, v1, v0
	v_ashrrev_i32_e32 v7, 31, v6
	s_waitcnt vmcnt(0)
	v_lshl_add_u64 v[4:5], v[6:7], 2, s[6:7]
	global_load_dword v2, v[4:5], off
	v_lshl_add_u64 v[4:5], v[6:7], 3, s[10:11]
	global_load_dwordx2 v[4:5], v[4:5], off
	s_waitcnt vmcnt(1)
	v_cmp_ne_u32_e32 vcc, 1, v2
	s_and_saveexec_b64 s[2:3], vcc
	s_xor_b64 s[2:3], exec, s[2:3]
	s_cbranch_execz .LBB113_27
; %bb.26:                               ;   in Loop: Header=BB113_25 Depth=1
	v_add_u32_e32 v2, v8, v1
	v_lshl_add_u64 v[10:11], v[2:3], 3, s[8:9]
	v_add_u32_e32 v2, s23, v6
	v_lshl_add_u64 v[6:7], v[2:3], 3, s[8:9]
	global_load_dwordx2 v[12:13], v[10:11], off
	global_load_dwordx2 v[14:15], v[6:7], off
	v_subrev_u32_e32 v2, s22, v1
	v_add_u32_e32 v10, v2, v0
	v_ashrrev_i32_e32 v11, 31, v10
	v_add_u32_e32 v2, s23, v10
	v_lshl_add_u64 v[10:11], v[10:11], 3, s[10:11]
	global_load_dwordx2 v[10:11], v[10:11], off
	s_waitcnt vmcnt(1)
	v_fma_f64 v[4:5], -v[4:5], v[12:13], v[14:15]
	global_store_dwordx2 v[6:7], v[4:5], off
	v_lshl_add_u64 v[4:5], v[2:3], 3, s[8:9]
	global_load_dwordx2 v[6:7], v[4:5], off
	s_waitcnt vmcnt(0)
	v_fma_f64 v[6:7], -v[10:11], v[12:13], v[6:7]
	global_store_dwordx2 v[4:5], v[6:7], off
                                        ; implicit-def: $vgpr6
                                        ; implicit-def: $vgpr4_vgpr5
.LBB113_27:                             ;   in Loop: Header=BB113_25 Depth=1
	s_or_saveexec_b64 s[2:3], s[2:3]
	v_mov_b32_e32 v2, s4
	s_xor_b64 exec, exec, s[2:3]
	s_cbranch_execz .LBB113_24
; %bb.28:                               ;   in Loop: Header=BB113_25 Depth=1
	v_add_u32_e32 v2, v8, v1
	v_lshl_add_u64 v[10:11], v[2:3], 3, s[8:9]
	v_add_u32_e32 v2, s23, v6
	v_lshl_add_u64 v[6:7], v[2:3], 3, s[8:9]
	global_load_dwordx2 v[12:13], v[10:11], off
	global_load_dwordx2 v[14:15], v[6:7], off
	v_mov_b32_e32 v2, s22
	s_waitcnt vmcnt(0)
	v_fma_f64 v[4:5], -v[4:5], v[12:13], v[14:15]
	global_store_dwordx2 v[6:7], v[4:5], off
	s_branch .LBB113_24
.LBB113_29:
	s_endpgm
	.section	.rodata,"a",@progbits
	.p2align	6, 0x0
	.amdhsa_kernel _ZN9rocsparseL19gtsv_LBM_rhs_kernelILj256ELj4ELj1EdEEviiiPKT2_S3_S3_PS1_S3_PKi
		.amdhsa_group_segment_fixed_size 0
		.amdhsa_private_segment_fixed_size 0
		.amdhsa_kernarg_size 64
		.amdhsa_user_sgpr_count 2
		.amdhsa_user_sgpr_dispatch_ptr 0
		.amdhsa_user_sgpr_queue_ptr 0
		.amdhsa_user_sgpr_kernarg_segment_ptr 1
		.amdhsa_user_sgpr_dispatch_id 0
		.amdhsa_user_sgpr_kernarg_preload_length 0
		.amdhsa_user_sgpr_kernarg_preload_offset 0
		.amdhsa_user_sgpr_private_segment_size 0
		.amdhsa_uses_dynamic_stack 0
		.amdhsa_enable_private_segment 0
		.amdhsa_system_sgpr_workgroup_id_x 1
		.amdhsa_system_sgpr_workgroup_id_y 1
		.amdhsa_system_sgpr_workgroup_id_z 0
		.amdhsa_system_sgpr_workgroup_info 0
		.amdhsa_system_vgpr_workitem_id 0
		.amdhsa_next_free_vgpr 38
		.amdhsa_next_free_sgpr 27
		.amdhsa_accum_offset 40
		.amdhsa_reserve_vcc 1
		.amdhsa_float_round_mode_32 0
		.amdhsa_float_round_mode_16_64 0
		.amdhsa_float_denorm_mode_32 3
		.amdhsa_float_denorm_mode_16_64 3
		.amdhsa_dx10_clamp 1
		.amdhsa_ieee_mode 1
		.amdhsa_fp16_overflow 0
		.amdhsa_tg_split 0
		.amdhsa_exception_fp_ieee_invalid_op 0
		.amdhsa_exception_fp_denorm_src 0
		.amdhsa_exception_fp_ieee_div_zero 0
		.amdhsa_exception_fp_ieee_overflow 0
		.amdhsa_exception_fp_ieee_underflow 0
		.amdhsa_exception_fp_ieee_inexact 0
		.amdhsa_exception_int_div_zero 0
	.end_amdhsa_kernel
	.section	.text._ZN9rocsparseL19gtsv_LBM_rhs_kernelILj256ELj4ELj1EdEEviiiPKT2_S3_S3_PS1_S3_PKi,"axG",@progbits,_ZN9rocsparseL19gtsv_LBM_rhs_kernelILj256ELj4ELj1EdEEviiiPKT2_S3_S3_PS1_S3_PKi,comdat
.Lfunc_end113:
	.size	_ZN9rocsparseL19gtsv_LBM_rhs_kernelILj256ELj4ELj1EdEEviiiPKT2_S3_S3_PS1_S3_PKi, .Lfunc_end113-_ZN9rocsparseL19gtsv_LBM_rhs_kernelILj256ELj4ELj1EdEEviiiPKT2_S3_S3_PS1_S3_PKi
                                        ; -- End function
	.set _ZN9rocsparseL19gtsv_LBM_rhs_kernelILj256ELj4ELj1EdEEviiiPKT2_S3_S3_PS1_S3_PKi.num_vgpr, 38
	.set _ZN9rocsparseL19gtsv_LBM_rhs_kernelILj256ELj4ELj1EdEEviiiPKT2_S3_S3_PS1_S3_PKi.num_agpr, 0
	.set _ZN9rocsparseL19gtsv_LBM_rhs_kernelILj256ELj4ELj1EdEEviiiPKT2_S3_S3_PS1_S3_PKi.numbered_sgpr, 27
	.set _ZN9rocsparseL19gtsv_LBM_rhs_kernelILj256ELj4ELj1EdEEviiiPKT2_S3_S3_PS1_S3_PKi.num_named_barrier, 0
	.set _ZN9rocsparseL19gtsv_LBM_rhs_kernelILj256ELj4ELj1EdEEviiiPKT2_S3_S3_PS1_S3_PKi.private_seg_size, 0
	.set _ZN9rocsparseL19gtsv_LBM_rhs_kernelILj256ELj4ELj1EdEEviiiPKT2_S3_S3_PS1_S3_PKi.uses_vcc, 1
	.set _ZN9rocsparseL19gtsv_LBM_rhs_kernelILj256ELj4ELj1EdEEviiiPKT2_S3_S3_PS1_S3_PKi.uses_flat_scratch, 0
	.set _ZN9rocsparseL19gtsv_LBM_rhs_kernelILj256ELj4ELj1EdEEviiiPKT2_S3_S3_PS1_S3_PKi.has_dyn_sized_stack, 0
	.set _ZN9rocsparseL19gtsv_LBM_rhs_kernelILj256ELj4ELj1EdEEviiiPKT2_S3_S3_PS1_S3_PKi.has_recursion, 0
	.set _ZN9rocsparseL19gtsv_LBM_rhs_kernelILj256ELj4ELj1EdEEviiiPKT2_S3_S3_PS1_S3_PKi.has_indirect_call, 0
	.section	.AMDGPU.csdata,"",@progbits
; Kernel info:
; codeLenInByte = 1344
; TotalNumSgprs: 33
; NumVgprs: 38
; NumAgprs: 0
; TotalNumVgprs: 38
; ScratchSize: 0
; MemoryBound: 0
; FloatMode: 240
; IeeeMode: 1
; LDSByteSize: 0 bytes/workgroup (compile time only)
; SGPRBlocks: 4
; VGPRBlocks: 4
; NumSGPRsForWavesPerEU: 33
; NumVGPRsForWavesPerEU: 38
; AccumOffset: 40
; Occupancy: 8
; WaveLimiterHint : 0
; COMPUTE_PGM_RSRC2:SCRATCH_EN: 0
; COMPUTE_PGM_RSRC2:USER_SGPR: 2
; COMPUTE_PGM_RSRC2:TRAP_HANDLER: 0
; COMPUTE_PGM_RSRC2:TGID_X_EN: 1
; COMPUTE_PGM_RSRC2:TGID_Y_EN: 1
; COMPUTE_PGM_RSRC2:TGID_Z_EN: 0
; COMPUTE_PGM_RSRC2:TIDIG_COMP_CNT: 0
; COMPUTE_PGM_RSRC3_GFX90A:ACCUM_OFFSET: 9
; COMPUTE_PGM_RSRC3_GFX90A:TG_SPLIT: 0
	.section	.text._ZN9rocsparseL29gtsv_spike_block_level_kernelILj256ELj4EdEEviiiPT1_PKS1_S4_S2_S2_S2_S2_S2_,"axG",@progbits,_ZN9rocsparseL29gtsv_spike_block_level_kernelILj256ELj4EdEEviiiPT1_PKS1_S4_S2_S2_S2_S2_S2_,comdat
	.globl	_ZN9rocsparseL29gtsv_spike_block_level_kernelILj256ELj4EdEEviiiPT1_PKS1_S4_S2_S2_S2_S2_S2_ ; -- Begin function _ZN9rocsparseL29gtsv_spike_block_level_kernelILj256ELj4EdEEviiiPT1_PKS1_S4_S2_S2_S2_S2_S2_
	.p2align	8
	.type	_ZN9rocsparseL29gtsv_spike_block_level_kernelILj256ELj4EdEEviiiPT1_PKS1_S4_S2_S2_S2_S2_S2_,@function
_ZN9rocsparseL29gtsv_spike_block_level_kernelILj256ELj4EdEEviiiPT1_PKS1_S4_S2_S2_S2_S2_S2_: ; @_ZN9rocsparseL29gtsv_spike_block_level_kernelILj256ELj4EdEEviiiPT1_PKS1_S4_S2_S2_S2_S2_S2_
; %bb.0:
	s_load_dword s14, s[0:1], 0x0
	s_load_dwordx2 s[8:9], s[0:1], 0x18
	v_lshl_or_b32 v2, s2, 8, v0
	v_mov_b64_e32 v[4:5], 0
	v_mov_b64_e32 v[8:9], 0
	s_waitcnt lgkmcnt(0)
	s_lshr_b32 s18, s14, 2
	v_cmp_gt_i32_e64 s[4:5], s18, v2
	s_and_saveexec_b64 s[6:7], s[4:5]
	s_cbranch_execz .LBB114_2
; %bb.1:
	v_ashrrev_i32_e32 v3, 31, v2
	v_lshl_add_u64 v[6:7], v[2:3], 3, s[8:9]
	global_load_dwordx2 v[8:9], v[6:7], off
.LBB114_2:
	s_or_b64 exec, exec, s[6:7]
	s_load_dwordx2 s[6:7], s[0:1], 0x20
	v_lshlrev_b32_e32 v1, 3, v0
	v_or_b32_e32 v6, 0x1000, v1
	s_waitcnt vmcnt(0)
	ds_write_b64 v1, v[8:9] offset:4096
	s_and_saveexec_b64 s[10:11], s[4:5]
	s_cbranch_execz .LBB114_4
; %bb.3:
	v_mad_u64_u32 v[4:5], s[12:13], s18, 3, v[2:3]
	v_mov_b32_e32 v5, 0
	v_lshl_add_u64 v[4:5], v[4:5], 3, s[8:9]
	global_load_dwordx2 v[4:5], v[4:5], off
.LBB114_4:
	s_or_b64 exec, exec, s[10:11]
	s_waitcnt vmcnt(0)
	ds_write_b64 v6, v[4:5] offset:2048
	v_mov_b64_e32 v[4:5], 0
	v_mov_b64_e32 v[8:9], 0
	s_and_saveexec_b64 s[8:9], s[4:5]
	s_cbranch_execz .LBB114_6
; %bb.5:
	v_ashrrev_i32_e32 v3, 31, v2
	s_waitcnt lgkmcnt(0)
	v_lshl_add_u64 v[8:9], v[2:3], 3, s[6:7]
	global_load_dwordx2 v[8:9], v[8:9], off
.LBB114_6:
	s_or_b64 exec, exec, s[8:9]
	s_load_dwordx2 s[12:13], s[0:1], 0x10
	s_waitcnt vmcnt(0)
	ds_write_b64 v1, v[8:9]
	s_and_saveexec_b64 s[8:9], s[4:5]
	s_cbranch_execz .LBB114_8
; %bb.7:
	v_mad_u64_u32 v[4:5], s[10:11], s18, 3, v[2:3]
	v_mov_b32_e32 v5, 0
	s_waitcnt lgkmcnt(0)
	v_lshl_add_u64 v[4:5], v[4:5], 3, s[6:7]
	global_load_dwordx2 v[4:5], v[4:5], off
.LBB114_8:
	s_or_b64 exec, exec, s[8:9]
	s_mul_i32 s14, s14, s3
	s_waitcnt vmcnt(0)
	ds_write_b64 v1, v[4:5] offset:2048
	v_mov_b64_e32 v[8:9], 0
	v_add_u32_e32 v4, s14, v2
	v_mov_b64_e32 v[10:11], 0
	s_waitcnt lgkmcnt(0)
	s_and_saveexec_b64 s[6:7], s[4:5]
	s_cbranch_execz .LBB114_10
; %bb.9:
	v_ashrrev_i32_e32 v5, 31, v4
	v_lshl_add_u64 v[10:11], v[4:5], 3, s[12:13]
	global_load_dwordx2 v[10:11], v[10:11], off
.LBB114_10:
	s_or_b64 exec, exec, s[6:7]
	v_or_b32_e32 v5, 0x2000, v1
	s_mul_i32 s19, s18, 3
	s_waitcnt vmcnt(0)
	ds_write_b64 v1, v[10:11] offset:8192
	s_and_saveexec_b64 s[6:7], s[4:5]
	s_cbranch_execz .LBB114_12
; %bb.11:
	s_mul_i32 s8, s18, 3
	s_add_i32 s8, s8, s14
	v_add_u32_e32 v8, s8, v2
	v_mov_b32_e32 v9, 0
	v_lshl_add_u64 v[8:9], v[8:9], 3, s[12:13]
	global_load_dwordx2 v[8:9], v[8:9], off
.LBB114_12:
	s_or_b64 exec, exec, s[6:7]
	s_movk_i32 s6, 0x80
	v_cmp_gt_u32_e32 vcc, s6, v0
	s_waitcnt vmcnt(0)
	ds_write_b64 v5, v[8:9] offset:2048
	s_waitcnt lgkmcnt(0)
	s_barrier
	s_and_saveexec_b64 s[6:7], vcc
	s_cbranch_execz .LBB114_14
; %bb.13:
	v_add_u32_e32 v3, v6, v1
	ds_read_b128 v[8:11], v3
	v_add_u32_e32 v7, v1, v1
	ds_read_b128 v[12:15], v7 offset:2048
	ds_read_b128 v[16:19], v7
	ds_read_b128 v[20:23], v3 offset:2048
	v_add_u32_e32 v42, v5, v1
	s_waitcnt lgkmcnt(2)
	v_fma_f64 v[32:33], -v[10:11], v[12:13], 1.0
	v_div_scale_f64 v[34:35], s[8:9], v[32:33], v[32:33], 1.0
	v_rcp_f64_e32 v[36:37], v[34:35]
	v_div_scale_f64 v[38:39], vcc, 1.0, v[32:33], 1.0
	v_fma_f64 v[24:25], -v[34:35], v[36:37], 1.0
	v_fmac_f64_e32 v[36:37], v[36:37], v[24:25]
	v_fma_f64 v[24:25], -v[34:35], v[36:37], 1.0
	v_fmac_f64_e32 v[36:37], v[36:37], v[24:25]
	ds_read_b128 v[24:27], v42 offset:2048
	ds_read_b128 v[28:31], v42
	v_mul_f64 v[40:41], v[38:39], v[36:37]
	v_fma_f64 v[34:35], -v[34:35], v[40:41], v[38:39]
	v_div_fmas_f64 v[34:35], v[34:35], v[36:37], v[40:41]
	v_div_fixup_f64 v[36:37], v[34:35], v[32:33], 1.0
	s_waitcnt lgkmcnt(0)
	v_fma_f64 v[32:33], -v[12:13], v[30:31], v[24:25]
	v_fma_f64 v[24:25], -v[10:11], v[24:25], v[30:31]
	v_mul_f64 v[12:13], v[12:13], v[18:19]
	v_mul_f64 v[10:11], v[10:11], v[20:21]
	;; [unrolled: 1-line block ×4, first 2 shown]
	v_mul_f64 v[12:13], v[12:13], -v[36:37]
	v_mul_f64 v[18:19], v[36:37], v[18:19]
	v_mul_f64 v[10:11], v[10:11], -v[36:37]
	v_mul_f64 v[20:21], v[36:37], v[20:21]
	v_fma_f64 v[28:29], -v[30:31], v[16:17], v[28:29]
	v_fma_f64 v[34:35], -v[22:23], v[32:33], v[26:27]
	;; [unrolled: 1-line block ×3, first 2 shown]
	v_mul_f64 v[16:17], v[18:19], -v[16:17]
	v_fma_f64 v[14:15], -v[12:13], v[22:23], v[14:15]
	v_mul_f64 v[22:23], v[20:21], -v[22:23]
	ds_write_b128 v42, v[28:31]
	ds_write_b128 v42, v[32:35] offset:2048
	ds_write_b128 v3, v[8:11]
	ds_write_b128 v7, v[16:19]
	ds_write_b128 v7, v[12:15] offset:2048
	ds_write_b128 v3, v[20:23] offset:2048
.LBB114_14:
	s_or_b64 exec, exec, s[6:7]
	v_cmp_gt_u32_e32 vcc, 64, v0
	s_waitcnt lgkmcnt(0)
	s_barrier
	s_and_saveexec_b64 s[6:7], vcc
	s_cbranch_execz .LBB114_16
; %bb.15:
	v_lshlrev_b32_e32 v3, 5, v0
	v_add_u32_e32 v7, 0x1000, v3
	v_add_u32_e32 v36, 0x800, v3
	ds_read2_b64 v[8:11], v7 offset1:2
	ds_read2_b64 v[12:15], v36 offset0:1 offset1:3
	v_mad_u32_u24 v37, v0, 24, v5
	v_add_u32_e32 v38, 0x800, v37
	v_add_u32_e32 v39, 0x1800, v3
	s_waitcnt lgkmcnt(0)
	v_fma_f64 v[24:25], -v[10:11], v[12:13], 1.0
	v_div_scale_f64 v[26:27], s[8:9], v[24:25], v[24:25], 1.0
	v_rcp_f64_e32 v[28:29], v[26:27]
	v_div_scale_f64 v[30:31], vcc, 1.0, v[24:25], 1.0
	v_fma_f64 v[16:17], -v[26:27], v[28:29], 1.0
	v_fmac_f64_e32 v[28:29], v[28:29], v[16:17]
	v_fma_f64 v[16:17], -v[26:27], v[28:29], 1.0
	v_fmac_f64_e32 v[28:29], v[28:29], v[16:17]
	ds_read2_b64 v[16:19], v38 offset0:1 offset1:3
	ds_read2_b64 v[20:23], v37 offset1:2
	v_mul_f64 v[32:33], v[30:31], v[28:29]
	v_fma_f64 v[26:27], -v[26:27], v[32:33], v[30:31]
	v_div_fmas_f64 v[26:27], v[26:27], v[28:29], v[32:33]
	v_div_fixup_f64 v[32:33], v[26:27], v[24:25], 1.0
	s_waitcnt lgkmcnt(0)
	v_fma_f64 v[24:25], -v[12:13], v[22:23], v[16:17]
	v_mul_f64 v[34:35], v[32:33], v[24:25]
	ds_read2_b64 v[24:27], v3 offset1:2
	ds_read2_b64 v[28:31], v39 offset0:1 offset1:3
	v_fma_f64 v[16:17], -v[10:11], v[16:17], v[22:23]
	v_mul_f64 v[16:17], v[16:17], v[32:33]
	s_waitcnt lgkmcnt(1)
	v_fma_f64 v[20:21], -v[16:17], v[24:25], v[20:21]
	s_waitcnt lgkmcnt(0)
	v_mul_f64 v[10:11], v[10:11], v[28:29]
	ds_write2_b64 v37, v[20:21], v[16:17] offset1:2
	v_fma_f64 v[16:17], -v[30:31], v[34:35], v[18:19]
	v_mul_f64 v[10:11], v[10:11], -v[32:33]
	ds_write2_b64 v38, v[34:35], v[16:17] offset0:1 offset1:3
	v_mul_f64 v[12:13], v[12:13], v[26:27]
	v_mul_f64 v[16:17], v[32:33], v[26:27]
	v_fma_f64 v[8:9], -v[10:11], v[24:25], v[8:9]
	v_mul_f64 v[12:13], v[12:13], -v[32:33]
	ds_write2_b64 v7, v[8:9], v[10:11] offset1:2
	v_mul_f64 v[8:9], v[16:17], -v[24:25]
	v_mul_f64 v[18:19], v[32:33], v[28:29]
	ds_write2_b64 v3, v[8:9], v[16:17] offset1:2
	v_fma_f64 v[8:9], -v[12:13], v[30:31], v[14:15]
	ds_write2_b64 v36, v[12:13], v[8:9] offset0:1 offset1:3
	v_mul_f64 v[8:9], v[18:19], -v[30:31]
	ds_write2_b64 v39, v[18:19], v[8:9] offset0:1 offset1:3
.LBB114_16:
	s_or_b64 exec, exec, s[6:7]
	v_cmp_gt_u32_e32 vcc, 32, v0
	s_waitcnt lgkmcnt(0)
	s_barrier
	s_and_saveexec_b64 s[6:7], vcc
	s_cbranch_execz .LBB114_18
; %bb.17:
	v_lshlrev_b32_e32 v3, 6, v0
	v_add_u32_e32 v7, 0x1000, v3
	v_add_u32_e32 v36, 0x800, v3
	ds_read2_b64 v[8:11], v7 offset1:4
	ds_read2_b64 v[12:15], v36 offset0:3 offset1:7
	v_add_u32_e32 v37, 0x2800, v3
	v_add_u32_e32 v38, 0x2000, v3
	ds_read2_b64 v[16:19], v37 offset0:3 offset1:7
	v_add_u32_e32 v39, 0x1800, v3
	s_waitcnt lgkmcnt(1)
	v_fma_f64 v[24:25], -v[10:11], v[12:13], 1.0
	v_div_scale_f64 v[26:27], s[8:9], v[24:25], v[24:25], 1.0
	v_rcp_f64_e32 v[28:29], v[26:27]
	v_div_scale_f64 v[30:31], vcc, 1.0, v[24:25], 1.0
	v_fma_f64 v[20:21], -v[26:27], v[28:29], 1.0
	v_fmac_f64_e32 v[28:29], v[28:29], v[20:21]
	v_fma_f64 v[20:21], -v[26:27], v[28:29], 1.0
	v_fmac_f64_e32 v[28:29], v[28:29], v[20:21]
	ds_read2_b64 v[20:23], v38 offset1:4
	v_mul_f64 v[32:33], v[30:31], v[28:29]
	v_fma_f64 v[26:27], -v[26:27], v[32:33], v[30:31]
	v_div_fmas_f64 v[26:27], v[26:27], v[28:29], v[32:33]
	v_div_fixup_f64 v[32:33], v[26:27], v[24:25], 1.0
	s_waitcnt lgkmcnt(0)
	v_fma_f64 v[24:25], -v[12:13], v[22:23], v[16:17]
	v_mul_f64 v[34:35], v[32:33], v[24:25]
	ds_read2_b64 v[24:27], v3 offset1:4
	ds_read2_b64 v[28:31], v39 offset0:3 offset1:7
	v_fma_f64 v[16:17], -v[10:11], v[16:17], v[22:23]
	v_mul_f64 v[16:17], v[16:17], v[32:33]
	s_waitcnt lgkmcnt(1)
	v_fma_f64 v[20:21], -v[16:17], v[24:25], v[20:21]
	s_waitcnt lgkmcnt(0)
	v_mul_f64 v[10:11], v[10:11], v[28:29]
	ds_write2_b64 v38, v[20:21], v[16:17] offset1:4
	v_fma_f64 v[16:17], -v[30:31], v[34:35], v[18:19]
	v_mul_f64 v[10:11], v[10:11], -v[32:33]
	ds_write2_b64 v37, v[34:35], v[16:17] offset0:3 offset1:7
	v_mul_f64 v[12:13], v[12:13], v[26:27]
	v_mul_f64 v[16:17], v[32:33], v[26:27]
	v_fma_f64 v[8:9], -v[10:11], v[24:25], v[8:9]
	v_mul_f64 v[12:13], v[12:13], -v[32:33]
	ds_write2_b64 v7, v[8:9], v[10:11] offset1:4
	v_mul_f64 v[8:9], v[16:17], -v[24:25]
	v_mul_f64 v[18:19], v[32:33], v[28:29]
	ds_write2_b64 v3, v[8:9], v[16:17] offset1:4
	v_fma_f64 v[8:9], -v[12:13], v[30:31], v[14:15]
	ds_write2_b64 v36, v[12:13], v[8:9] offset0:3 offset1:7
	v_mul_f64 v[8:9], v[18:19], -v[30:31]
	ds_write2_b64 v39, v[18:19], v[8:9] offset0:3 offset1:7
.LBB114_18:
	s_or_b64 exec, exec, s[6:7]
	v_cmp_gt_u32_e32 vcc, 16, v0
	s_waitcnt lgkmcnt(0)
	s_barrier
	s_and_saveexec_b64 s[6:7], vcc
	s_cbranch_execz .LBB114_20
; %bb.19:
	v_lshlrev_b32_e32 v3, 7, v0
	v_add_u32_e32 v7, 0x1000, v3
	v_add_u32_e32 v36, 0x800, v3
	ds_read2_b64 v[8:11], v7 offset1:8
	ds_read2_b64 v[12:15], v36 offset0:7 offset1:15
	v_add_u32_e32 v37, 0x2800, v3
	v_add_u32_e32 v38, 0x2000, v3
	ds_read2_b64 v[16:19], v37 offset0:7 offset1:15
	v_add_u32_e32 v39, 0x1800, v3
	s_waitcnt lgkmcnt(1)
	v_fma_f64 v[24:25], -v[10:11], v[12:13], 1.0
	v_div_scale_f64 v[26:27], s[8:9], v[24:25], v[24:25], 1.0
	v_rcp_f64_e32 v[28:29], v[26:27]
	v_div_scale_f64 v[30:31], vcc, 1.0, v[24:25], 1.0
	v_fma_f64 v[20:21], -v[26:27], v[28:29], 1.0
	v_fmac_f64_e32 v[28:29], v[28:29], v[20:21]
	v_fma_f64 v[20:21], -v[26:27], v[28:29], 1.0
	v_fmac_f64_e32 v[28:29], v[28:29], v[20:21]
	ds_read2_b64 v[20:23], v38 offset1:8
	v_mul_f64 v[32:33], v[30:31], v[28:29]
	v_fma_f64 v[26:27], -v[26:27], v[32:33], v[30:31]
	v_div_fmas_f64 v[26:27], v[26:27], v[28:29], v[32:33]
	v_div_fixup_f64 v[32:33], v[26:27], v[24:25], 1.0
	s_waitcnt lgkmcnt(0)
	v_fma_f64 v[24:25], -v[12:13], v[22:23], v[16:17]
	v_mul_f64 v[34:35], v[32:33], v[24:25]
	ds_read2_b64 v[24:27], v3 offset1:8
	ds_read2_b64 v[28:31], v39 offset0:7 offset1:15
	v_fma_f64 v[16:17], -v[10:11], v[16:17], v[22:23]
	v_mul_f64 v[16:17], v[16:17], v[32:33]
	s_waitcnt lgkmcnt(1)
	v_fma_f64 v[20:21], -v[16:17], v[24:25], v[20:21]
	s_waitcnt lgkmcnt(0)
	v_mul_f64 v[10:11], v[10:11], v[28:29]
	ds_write2_b64 v38, v[20:21], v[16:17] offset1:8
	v_fma_f64 v[16:17], -v[30:31], v[34:35], v[18:19]
	v_mul_f64 v[10:11], v[10:11], -v[32:33]
	ds_write2_b64 v37, v[34:35], v[16:17] offset0:7 offset1:15
	v_mul_f64 v[12:13], v[12:13], v[26:27]
	v_mul_f64 v[16:17], v[32:33], v[26:27]
	v_fma_f64 v[8:9], -v[10:11], v[24:25], v[8:9]
	v_mul_f64 v[12:13], v[12:13], -v[32:33]
	ds_write2_b64 v7, v[8:9], v[10:11] offset1:8
	v_mul_f64 v[8:9], v[16:17], -v[24:25]
	v_mul_f64 v[18:19], v[32:33], v[28:29]
	ds_write2_b64 v3, v[8:9], v[16:17] offset1:8
	v_fma_f64 v[8:9], -v[12:13], v[30:31], v[14:15]
	ds_write2_b64 v36, v[12:13], v[8:9] offset0:7 offset1:15
	v_mul_f64 v[8:9], v[18:19], -v[30:31]
	ds_write2_b64 v39, v[18:19], v[8:9] offset0:7 offset1:15
.LBB114_20:
	;; [unrolled: 58-line block ×4, first 2 shown]
	s_or_b64 exec, exec, s[6:7]
	v_cmp_gt_u32_e32 vcc, 2, v0
	s_waitcnt lgkmcnt(0)
	s_barrier
	s_and_saveexec_b64 s[6:7], vcc
	s_cbranch_execz .LBB114_26
; %bb.25:
	v_lshlrev_b32_e32 v3, 10, v0
	v_add_u32_e32 v7, 0x1f8, v3
	ds_read2st64_b64 v[8:11], v7 offset0:4 offset1:5
	ds_read2st64_b64 v[12:15], v3 offset0:8 offset1:9
	ds_read2st64_b64 v[16:19], v3 offset1:1
	ds_read2st64_b64 v[20:23], v7 offset0:12 offset1:13
	ds_read2st64_b64 v[24:27], v7 offset0:20 offset1:21
	s_waitcnt lgkmcnt(3)
	v_fma_f64 v[32:33], -v[14:15], v[8:9], 1.0
	v_div_scale_f64 v[34:35], s[8:9], v[32:33], v[32:33], 1.0
	v_rcp_f64_e32 v[36:37], v[34:35]
	v_div_scale_f64 v[38:39], vcc, 1.0, v[32:33], 1.0
	v_fma_f64 v[28:29], -v[34:35], v[36:37], 1.0
	v_fmac_f64_e32 v[36:37], v[36:37], v[28:29]
	v_fma_f64 v[28:29], -v[34:35], v[36:37], 1.0
	v_fmac_f64_e32 v[36:37], v[36:37], v[28:29]
	ds_read2st64_b64 v[28:31], v3 offset0:16 offset1:17
	v_mul_f64 v[40:41], v[38:39], v[36:37]
	v_fma_f64 v[34:35], -v[34:35], v[40:41], v[38:39]
	v_div_fmas_f64 v[34:35], v[34:35], v[36:37], v[40:41]
	v_div_fixup_f64 v[32:33], v[34:35], v[32:33], 1.0
	s_waitcnt lgkmcnt(0)
	v_fma_f64 v[34:35], -v[8:9], v[30:31], v[24:25]
	v_fma_f64 v[24:25], -v[14:15], v[24:25], v[30:31]
	v_mul_f64 v[8:9], v[8:9], v[18:19]
	v_mul_f64 v[14:15], v[14:15], v[20:21]
	;; [unrolled: 1-line block ×3, first 2 shown]
	v_mul_f64 v[8:9], v[8:9], -v[32:33]
	v_mul_f64 v[14:15], v[14:15], -v[32:33]
	v_mul_f64 v[34:35], v[32:33], v[34:35]
	v_fma_f64 v[28:29], -v[24:25], v[16:17], v[28:29]
	v_mul_f64 v[18:19], v[32:33], v[18:19]
	v_mul_f64 v[20:21], v[32:33], v[20:21]
	v_fma_f64 v[12:13], -v[14:15], v[16:17], v[12:13]
	v_fma_f64 v[10:11], -v[8:9], v[22:23], v[10:11]
	ds_write2st64_b64 v3, v[28:29], v[24:25] offset0:16 offset1:17
	v_fma_f64 v[24:25], -v[22:23], v[34:35], v[26:27]
	ds_write2st64_b64 v3, v[12:13], v[14:15] offset0:8 offset1:9
	v_mul_f64 v[12:13], v[18:19], -v[16:17]
	ds_write2st64_b64 v7, v[8:9], v[10:11] offset0:4 offset1:5
	v_mul_f64 v[8:9], v[20:21], -v[22:23]
	ds_write2st64_b64 v7, v[34:35], v[24:25] offset0:20 offset1:21
	ds_write2st64_b64 v3, v[12:13], v[18:19] offset1:1
	ds_write2st64_b64 v7, v[20:21], v[8:9] offset0:12 offset1:13
.LBB114_26:
	s_or_b64 exec, exec, s[6:7]
	v_cmp_eq_u32_e64 s[6:7], 0, v0
	s_waitcnt lgkmcnt(0)
	s_barrier
	s_and_saveexec_b64 s[8:9], s[6:7]
	s_cbranch_execz .LBB114_28
; %bb.27:
	s_movk_i32 s10, 0x1400
	v_add_u32_e64 v3, s10, 0
	v_mov_b32_e32 v0, 0
	ds_read2_b64 v[8:11], v3 offset1:255
	ds_read_b64 v[24:25], v0 offset:3064
	ds_read_b64 v[26:27], v0 offset:12280
	v_mov_b32_e32 v34, 0x1ff8
	s_waitcnt lgkmcnt(1)
	v_fma_f64 v[16:17], -v[8:9], v[24:25], 1.0
	v_div_scale_f64 v[18:19], s[10:11], v[16:17], v[16:17], 1.0
	v_rcp_f64_e32 v[20:21], v[18:19]
	s_movk_i32 s10, 0x2400
	v_add_u32_e64 v7, s10, 0
	v_div_scale_f64 v[22:23], vcc, 1.0, v[16:17], 1.0
	v_fma_f64 v[12:13], -v[18:19], v[20:21], 1.0
	v_fmac_f64_e32 v[20:21], v[20:21], v[12:13]
	v_fma_f64 v[12:13], -v[18:19], v[20:21], 1.0
	v_fmac_f64_e32 v[20:21], v[20:21], v[12:13]
	ds_read2_b64 v[12:15], v7 offset1:255
	v_mul_f64 v[28:29], v[22:23], v[20:21]
	v_fma_f64 v[18:19], -v[18:19], v[28:29], v[22:23]
	v_div_fmas_f64 v[18:19], v[18:19], v[20:21], v[28:29]
	v_div_fixup_f64 v[28:29], v[18:19], v[16:17], 1.0
	s_waitcnt lgkmcnt(0)
	v_fma_f64 v[16:17], -v[24:25], v[12:13], v[14:15]
	v_fma_f64 v[20:21], -v[8:9], v[14:15], v[12:13]
	v_mul_f64 v[30:31], v[28:29], v[16:17]
	v_mul_f64 v[32:33], v[20:21], v[28:29]
	ds_read2_b64 v[12:15], v34 offset1:1
	ds_read2st64_b64 v[16:19], v0 offset1:2
	ds_write2_b64 v7, v[32:33], v[30:31] offset1:255
	v_mov_b32_e32 v7, 0xff8
	ds_read2_b64 v[20:23], v7 offset1:1
	v_mul_f64 v[8:9], v[8:9], v[10:11]
	s_waitcnt lgkmcnt(2)
	v_mul_f64 v[24:25], v[24:25], v[18:19]
	v_mul_f64 v[18:19], v[28:29], v[18:19]
	v_mul_f64 v[8:9], v[8:9], -v[28:29]
	v_mul_f64 v[10:11], v[28:29], v[10:11]
	v_fma_f64 v[14:15], -v[32:33], v[16:17], v[14:15]
	v_mul_f64 v[24:25], v[24:25], -v[28:29]
	ds_write2_b64 v3, v[8:9], v[10:11] offset1:255
	s_waitcnt lgkmcnt(1)
	v_fma_f64 v[8:9], -v[8:9], v[16:17], v[22:23]
	v_mul_f64 v[16:17], v[18:19], -v[16:17]
	ds_write2st64_b64 v0, v[16:17], v[18:19] offset1:2
	v_fma_f64 v[16:17], -v[24:25], v[12:13], v[20:21]
	v_fma_f64 v[26:27], -v[12:13], v[30:31], v[26:27]
	ds_write2_b64 v7, v[16:17], v[8:9] offset1:1
	v_mul_f64 v[8:9], v[10:11], -v[12:13]
	ds_write_b64 v0, v[26:27] offset:12280
	ds_write_b64 v0, v[24:25] offset:3064
	ds_write2_b64 v34, v[8:9], v[14:15] offset1:1
.LBB114_28:
	s_or_b64 exec, exec, s[8:9]
	s_load_dwordx2 s[14:15], s[0:1], 0x48
	s_load_dwordx4 s[8:11], s[0:1], 0x38
	s_waitcnt lgkmcnt(0)
	s_barrier
	s_and_saveexec_b64 s[16:17], s[4:5]
	s_cbranch_execnz .LBB114_31
; %bb.29:
	s_or_b64 exec, exec, s[16:17]
	s_and_saveexec_b64 s[4:5], s[6:7]
	s_cbranch_execnz .LBB114_35
.LBB114_30:
	s_endpgm
.LBB114_31:
	s_cmp_eq_u32 s3, 0
	s_cbranch_scc1 .LBB114_39
; %bb.32:
	s_mul_i32 s18, s18, 3
	s_cbranch_execnz .LBB114_34
.LBB114_33:
	s_load_dwordx4 s[20:23], s[0:1], 0x28
	ds_read2st64_b64 v[6:9], v6 offset1:4
	v_ashrrev_i32_e32 v3, 31, v2
	v_lshlrev_b64 v[12:13], 3, v[2:3]
	v_add_u32_e32 v10, s19, v2
	s_waitcnt lgkmcnt(0)
	v_lshl_add_u64 v[2:3], s[20:21], 0, v[12:13]
	global_store_dwordx2 v[2:3], v[6:7], off
	ds_read2st64_b64 v[0:3], v1 offset1:4
	v_mov_b32_e32 v11, 0
	v_lshlrev_b64 v[6:7], 3, v[10:11]
	v_lshl_add_u64 v[10:11], s[20:21], 0, v[6:7]
	global_store_dwordx2 v[10:11], v[8:9], off
	v_lshl_add_u64 v[8:9], s[22:23], 0, v[12:13]
	s_waitcnt lgkmcnt(0)
	global_store_dwordx2 v[8:9], v[0:1], off
	v_lshl_add_u64 v[0:1], s[22:23], 0, v[6:7]
	s_mov_b32 s18, s19
	global_store_dwordx2 v[0:1], v[2:3], off
.LBB114_34:
	ds_read2st64_b64 v[0:3], v5 offset1:4
	v_ashrrev_i32_e32 v5, 31, v4
	v_add_u32_e32 v6, s18, v4
	v_mov_b32_e32 v7, 0
	v_lshl_add_u64 v[4:5], v[4:5], 3, s[12:13]
	s_waitcnt lgkmcnt(0)
	global_store_dwordx2 v[4:5], v[0:1], off
	v_lshl_add_u64 v[0:1], v[6:7], 3, s[12:13]
	global_store_dwordx2 v[0:1], v[2:3], off
	s_or_b64 exec, exec, s[16:17]
	s_and_saveexec_b64 s[4:5], s[6:7]
	s_cbranch_execz .LBB114_30
.LBB114_35:
	s_cmp_eq_u32 s3, 0
	s_cbranch_scc1 .LBB114_40
; %bb.36:
	s_load_dword s6, s[0:1], 0x50
	s_cbranch_execnz .LBB114_38
.LBB114_37:
	s_waitcnt lgkmcnt(0)
	s_load_dword s6, s[0:1], 0x50
	v_mov_b32_e32 v0, 0xff8
	ds_read2_b64 v[6:9], v0 offset1:1
	s_mov_b32 s4, s3
	s_ashr_i32 s3, s2, 31
	s_lshl_b64 s[12:13], s[2:3], 3
	v_mov_b32_e32 v4, 0
	s_mov_b32 s3, s4
	s_add_u32 s4, s10, s12
	ds_read_b64 v[2:3], v4 offset:8184
	s_addc_u32 s5, s11, s13
	s_waitcnt lgkmcnt(0)
	s_add_i32 s0, s6, s2
	s_mov_b32 s1, 0
	s_lshl_b64 s[0:1], s[0:1], 3
	global_store_dwordx2 v4, v[8:9], s[4:5]
	s_add_u32 s4, s10, s0
	ds_read_b64 v[0:1], v4
	s_addc_u32 s5, s11, s1
	global_store_dwordx2 v4, v[2:3], s[4:5]
	s_add_u32 s4, s14, s12
	s_addc_u32 s5, s15, s13
	s_add_u32 s0, s14, s0
	s_addc_u32 s1, s15, s1
	s_waitcnt lgkmcnt(0)
	global_store_dwordx2 v4, v[0:1], s[4:5]
	global_store_dwordx2 v4, v[6:7], s[0:1]
.LBB114_38:
	s_waitcnt lgkmcnt(0)
	s_mul_i32 s0, s6, s3
	s_lshl_b32 s0, s0, 1
	s_add_i32 s0, s0, s2
	s_mov_b32 s1, 0
	v_mov_b32_e32 v4, 0
	s_lshl_b64 s[2:3], s[0:1], 3
	ds_read_b64 v[0:1], v4 offset:8192
	ds_read_b64 v[2:3], v4 offset:12280
	s_add_u32 s2, s8, s2
	s_addc_u32 s3, s9, s3
	s_add_i32 s0, s0, s6
	s_lshl_b64 s[0:1], s[0:1], 3
	s_add_u32 s0, s8, s0
	s_addc_u32 s1, s9, s1
	s_waitcnt lgkmcnt(1)
	global_store_dwordx2 v4, v[0:1], s[2:3]
	s_waitcnt lgkmcnt(0)
	global_store_dwordx2 v4, v[2:3], s[0:1]
	s_endpgm
.LBB114_39:
                                        ; implicit-def: $sgpr18
	s_branch .LBB114_33
.LBB114_40:
                                        ; implicit-def: $sgpr6
	s_branch .LBB114_37
	.section	.rodata,"a",@progbits
	.p2align	6, 0x0
	.amdhsa_kernel _ZN9rocsparseL29gtsv_spike_block_level_kernelILj256ELj4EdEEviiiPT1_PKS1_S4_S2_S2_S2_S2_S2_
		.amdhsa_group_segment_fixed_size 12288
		.amdhsa_private_segment_fixed_size 0
		.amdhsa_kernarg_size 336
		.amdhsa_user_sgpr_count 2
		.amdhsa_user_sgpr_dispatch_ptr 0
		.amdhsa_user_sgpr_queue_ptr 0
		.amdhsa_user_sgpr_kernarg_segment_ptr 1
		.amdhsa_user_sgpr_dispatch_id 0
		.amdhsa_user_sgpr_kernarg_preload_length 0
		.amdhsa_user_sgpr_kernarg_preload_offset 0
		.amdhsa_user_sgpr_private_segment_size 0
		.amdhsa_uses_dynamic_stack 0
		.amdhsa_enable_private_segment 0
		.amdhsa_system_sgpr_workgroup_id_x 1
		.amdhsa_system_sgpr_workgroup_id_y 1
		.amdhsa_system_sgpr_workgroup_id_z 0
		.amdhsa_system_sgpr_workgroup_info 0
		.amdhsa_system_vgpr_workitem_id 0
		.amdhsa_next_free_vgpr 43
		.amdhsa_next_free_sgpr 24
		.amdhsa_accum_offset 44
		.amdhsa_reserve_vcc 1
		.amdhsa_float_round_mode_32 0
		.amdhsa_float_round_mode_16_64 0
		.amdhsa_float_denorm_mode_32 3
		.amdhsa_float_denorm_mode_16_64 3
		.amdhsa_dx10_clamp 1
		.amdhsa_ieee_mode 1
		.amdhsa_fp16_overflow 0
		.amdhsa_tg_split 0
		.amdhsa_exception_fp_ieee_invalid_op 0
		.amdhsa_exception_fp_denorm_src 0
		.amdhsa_exception_fp_ieee_div_zero 0
		.amdhsa_exception_fp_ieee_overflow 0
		.amdhsa_exception_fp_ieee_underflow 0
		.amdhsa_exception_fp_ieee_inexact 0
		.amdhsa_exception_int_div_zero 0
	.end_amdhsa_kernel
	.section	.text._ZN9rocsparseL29gtsv_spike_block_level_kernelILj256ELj4EdEEviiiPT1_PKS1_S4_S2_S2_S2_S2_S2_,"axG",@progbits,_ZN9rocsparseL29gtsv_spike_block_level_kernelILj256ELj4EdEEviiiPT1_PKS1_S4_S2_S2_S2_S2_S2_,comdat
.Lfunc_end114:
	.size	_ZN9rocsparseL29gtsv_spike_block_level_kernelILj256ELj4EdEEviiiPT1_PKS1_S4_S2_S2_S2_S2_S2_, .Lfunc_end114-_ZN9rocsparseL29gtsv_spike_block_level_kernelILj256ELj4EdEEviiiPT1_PKS1_S4_S2_S2_S2_S2_S2_
                                        ; -- End function
	.set _ZN9rocsparseL29gtsv_spike_block_level_kernelILj256ELj4EdEEviiiPT1_PKS1_S4_S2_S2_S2_S2_S2_.num_vgpr, 43
	.set _ZN9rocsparseL29gtsv_spike_block_level_kernelILj256ELj4EdEEviiiPT1_PKS1_S4_S2_S2_S2_S2_S2_.num_agpr, 0
	.set _ZN9rocsparseL29gtsv_spike_block_level_kernelILj256ELj4EdEEviiiPT1_PKS1_S4_S2_S2_S2_S2_S2_.numbered_sgpr, 24
	.set _ZN9rocsparseL29gtsv_spike_block_level_kernelILj256ELj4EdEEviiiPT1_PKS1_S4_S2_S2_S2_S2_S2_.num_named_barrier, 0
	.set _ZN9rocsparseL29gtsv_spike_block_level_kernelILj256ELj4EdEEviiiPT1_PKS1_S4_S2_S2_S2_S2_S2_.private_seg_size, 0
	.set _ZN9rocsparseL29gtsv_spike_block_level_kernelILj256ELj4EdEEviiiPT1_PKS1_S4_S2_S2_S2_S2_S2_.uses_vcc, 1
	.set _ZN9rocsparseL29gtsv_spike_block_level_kernelILj256ELj4EdEEviiiPT1_PKS1_S4_S2_S2_S2_S2_S2_.uses_flat_scratch, 0
	.set _ZN9rocsparseL29gtsv_spike_block_level_kernelILj256ELj4EdEEviiiPT1_PKS1_S4_S2_S2_S2_S2_S2_.has_dyn_sized_stack, 0
	.set _ZN9rocsparseL29gtsv_spike_block_level_kernelILj256ELj4EdEEviiiPT1_PKS1_S4_S2_S2_S2_S2_S2_.has_recursion, 0
	.set _ZN9rocsparseL29gtsv_spike_block_level_kernelILj256ELj4EdEEviiiPT1_PKS1_S4_S2_S2_S2_S2_S2_.has_indirect_call, 0
	.section	.AMDGPU.csdata,"",@progbits
; Kernel info:
; codeLenInByte = 4028
; TotalNumSgprs: 30
; NumVgprs: 43
; NumAgprs: 0
; TotalNumVgprs: 43
; ScratchSize: 0
; MemoryBound: 0
; FloatMode: 240
; IeeeMode: 1
; LDSByteSize: 12288 bytes/workgroup (compile time only)
; SGPRBlocks: 3
; VGPRBlocks: 5
; NumSGPRsForWavesPerEU: 30
; NumVGPRsForWavesPerEU: 43
; AccumOffset: 44
; Occupancy: 8
; WaveLimiterHint : 0
; COMPUTE_PGM_RSRC2:SCRATCH_EN: 0
; COMPUTE_PGM_RSRC2:USER_SGPR: 2
; COMPUTE_PGM_RSRC2:TRAP_HANDLER: 0
; COMPUTE_PGM_RSRC2:TGID_X_EN: 1
; COMPUTE_PGM_RSRC2:TGID_Y_EN: 1
; COMPUTE_PGM_RSRC2:TGID_Z_EN: 0
; COMPUTE_PGM_RSRC2:TIDIG_COMP_CNT: 0
; COMPUTE_PGM_RSRC3_GFX90A:ACCUM_OFFSET: 10
; COMPUTE_PGM_RSRC3_GFX90A:TG_SPLIT: 0
	.section	.text._ZN9rocsparseL33gtsv_solve_spike_propagate_kernelILj256ELj4EdEEviiiPT1_PKS1_S4_S4_,"axG",@progbits,_ZN9rocsparseL33gtsv_solve_spike_propagate_kernelILj256ELj4EdEEviiiPT1_PKS1_S4_S4_,comdat
	.globl	_ZN9rocsparseL33gtsv_solve_spike_propagate_kernelILj256ELj4EdEEviiiPT1_PKS1_S4_S4_ ; -- Begin function _ZN9rocsparseL33gtsv_solve_spike_propagate_kernelILj256ELj4EdEEviiiPT1_PKS1_S4_S4_
	.p2align	8
	.type	_ZN9rocsparseL33gtsv_solve_spike_propagate_kernelILj256ELj4EdEEviiiPT1_PKS1_S4_S4_,@function
_ZN9rocsparseL33gtsv_solve_spike_propagate_kernelILj256ELj4EdEEviiiPT1_PKS1_S4_S4_: ; @_ZN9rocsparseL33gtsv_solve_spike_propagate_kernelILj256ELj4EdEEviiiPT1_PKS1_S4_S4_
; %bb.0:
	s_load_dword s8, s[0:1], 0x0
	v_lshl_or_b32 v2, s2, 8, v0
	v_mov_b64_e32 v[4:5], 0
	v_ashrrev_i32_e32 v3, 31, v2
	v_mov_b64_e32 v[6:7], 0
	s_waitcnt lgkmcnt(0)
	s_lshr_b32 s14, s8, 2
	v_cmp_le_i32_e64 s[4:5], s14, v2
	v_cmp_gt_i32_e32 vcc, s14, v2
	s_and_saveexec_b64 s[6:7], vcc
	s_cbranch_execz .LBB115_2
; %bb.1:
	s_load_dwordx2 s[10:11], s[0:1], 0x18
	v_mad_u64_u32 v[4:5], s[12:13], s14, 3, v[2:3]
	v_mov_b32_e32 v5, 0
	s_waitcnt lgkmcnt(0)
	v_lshl_add_u64 v[8:9], v[2:3], 3, s[10:11]
	v_lshl_add_u64 v[10:11], v[4:5], 3, s[10:11]
	global_load_dwordx2 v[4:5], v[8:9], off
	global_load_dwordx2 v[6:7], v[10:11], off
.LBB115_2:
	s_or_b64 exec, exec, s[6:7]
	s_load_dwordx2 s[6:7], s[0:1], 0x10
	v_lshlrev_b32_e32 v1, 3, v0
	v_add_u32_e32 v8, 16, v1
	s_waitcnt vmcnt(0)
	ds_write2st64_b64 v8, v[4:5], v[6:7] offset0:16 offset1:20
	s_and_saveexec_b64 s[10:11], s[4:5]
	s_xor_b64 s[4:5], exec, s[10:11]
; %bb.3:
	s_mov_b32 s10, 0
	s_mov_b32 s11, s10
	v_mov_b64_e32 v[4:5], s[10:11]
	ds_write2st64_b64 v8, v[4:5], v[4:5] offset0:8 offset1:12
; %bb.4:
	s_or_saveexec_b64 s[4:5], s[4:5]
	v_mov_b64_e32 v[4:5], 0
	s_mul_i32 s8, s8, s3
	v_mov_b64_e32 v[6:7], 0
	s_xor_b64 exec, exec, s[4:5]
	s_cbranch_execz .LBB115_6
; %bb.5:
	s_load_dwordx2 s[10:11], s[0:1], 0x20
	v_mad_u64_u32 v[6:7], s[12:13], s14, 3, v[2:3]
	v_mov_b32_e32 v7, 0
	s_waitcnt lgkmcnt(0)
	v_lshl_add_u64 v[10:11], v[6:7], 3, s[10:11]
	v_add_u32_e32 v6, s8, v6
	v_lshl_add_u64 v[8:9], v[2:3], 3, s[10:11]
	v_lshl_add_u64 v[6:7], v[6:7], 3, s[6:7]
	global_load_dwordx2 v[12:13], v[8:9], off
	global_load_dwordx2 v[14:15], v[10:11], off
	v_add_u32_e32 v3, 16, v1
	global_load_dwordx2 v[6:7], v[6:7], off
	s_waitcnt vmcnt(1)
	ds_write2st64_b64 v3, v[12:13], v[14:15] offset0:8 offset1:12
.LBB115_6:
	s_or_b64 exec, exec, s[4:5]
	v_add_u32_e32 v2, s8, v2
	s_waitcnt vmcnt(0)
	ds_write_b64 v1, v[6:7] offset:8
	s_and_saveexec_b64 s[4:5], vcc
	s_cbranch_execz .LBB115_8
; %bb.7:
	v_ashrrev_i32_e32 v3, 31, v2
	s_waitcnt lgkmcnt(0)
	v_lshl_add_u64 v[4:5], v[2:3], 3, s[6:7]
	global_load_dwordx2 v[4:5], v[4:5], off
.LBB115_8:
	s_or_b64 exec, exec, s[4:5]
	v_cmp_eq_u32_e64 s[4:5], 0, v0
	s_waitcnt vmcnt(0)
	ds_write_b64 v1, v[4:5] offset:2056
	s_waitcnt lgkmcnt(0)
	s_barrier
	s_and_saveexec_b64 s[8:9], s[4:5]
	s_cbranch_execz .LBB115_14
; %bb.9:
	s_load_dword s15, s[0:1], 0x30
	s_load_dwordx2 s[10:11], s[0:1], 0x28
	s_cmp_lt_i32 s2, 1
	s_mov_b64 s[0:1], 0
	s_mov_b64 s[12:13], 0
	s_waitcnt lgkmcnt(0)
	s_mul_i32 s3, s3, s15
	s_cbranch_scc1 .LBB115_11
; %bb.10:
	s_lshl_b32 s12, s3, 1
	s_add_i32 s13, s2, s15
	s_add_i32 s12, s13, s12
	s_add_i32 s12, s12, -1
	s_mov_b32 s13, 0
	s_lshl_b64 s[12:13], s[12:13], 3
	s_add_u32 s12, s10, s12
	s_addc_u32 s13, s11, s13
	s_load_dwordx2 s[12:13], s[12:13], 0x0
.LBB115_11:
	s_waitcnt lgkmcnt(0)
	v_mov_b64_e32 v[4:5], s[12:13]
	s_add_i32 s12, s15, -1
	v_mov_b32_e32 v3, 0
	s_cmp_ge_u32 s2, s12
	ds_write_b64 v3, v[4:5]
	s_cbranch_scc1 .LBB115_13
; %bb.12:
	s_lshl_b32 s0, s3, 1
	s_add_i32 s0, s2, s0
	s_add_i32 s0, s0, 1
	s_mov_b32 s1, 0
	s_lshl_b64 s[0:1], s[0:1], 3
	s_add_u32 s0, s10, s0
	s_addc_u32 s1, s11, s1
	s_load_dwordx2 s[0:1], s[0:1], 0x0
.LBB115_13:
	s_lshl_b32 s3, s3, 1
	s_add_i32 s2, s3, s2
	s_mov_b32 s3, 0
	s_lshl_b64 s[12:13], s[2:3], 3
	s_add_u32 s12, s10, s12
	s_addc_u32 s13, s11, s13
	s_add_i32 s2, s2, s15
	s_lshl_b64 s[2:3], s[2:3], 3
	s_add_u32 s2, s10, s2
	s_addc_u32 s3, s11, s3
	s_load_dwordx2 s[10:11], s[2:3], 0x0
	s_load_dwordx2 s[16:17], s[12:13], 0x0
	s_waitcnt lgkmcnt(0)
	v_mov_b64_e32 v[4:5], s[0:1]
	ds_write_b64 v3, v[4:5] offset:4104
	v_mov_b32_e32 v4, s10
	v_mov_b32_e32 v5, s11
	;; [unrolled: 1-line block ×4, first 2 shown]
	ds_write_b128 v3, v[4:7] offset:2048
.LBB115_14:
	s_or_b64 exec, exec, s[8:9]
	s_waitcnt lgkmcnt(0)
	s_barrier
	s_and_saveexec_b64 s[0:1], s[4:5]
	s_cbranch_execz .LBB115_16
; %bb.15:
	s_movk_i32 s2, 0x1410
	v_mov_b32_e32 v3, 0
	v_add_u32_e64 v8, s2, 0
	v_add_u32_e64 v12, 8, 0
	s_movk_i32 s2, 0x2410
	ds_read2st64_b64 v[4:7], v3 offset1:2
	ds_read2_b64 v[8:11], v8 offset1:255
	ds_read2st64_b64 v[12:15], v12 offset0:6 offset1:8
	v_add_u32_e64 v16, s2, 0
	ds_read2_b64 v[16:19], v16 offset1:255
	s_waitcnt lgkmcnt(1)
	v_fma_f64 v[6:7], -v[10:11], v[14:15], v[6:7]
	s_waitcnt lgkmcnt(0)
	v_fma_f64 v[6:7], -v[18:19], v[4:5], v[6:7]
	ds_write_b64 v3, v[6:7] offset:1024
	v_fma_f64 v[6:7], -v[8:9], v[14:15], v[12:13]
	v_fma_f64 v[4:5], -v[16:17], v[4:5], v[6:7]
	ds_write_b64 v3, v[4:5] offset:3080
.LBB115_16:
	s_or_b64 exec, exec, s[0:1]
	v_cmp_gt_u32_e64 s[0:1], 2, v0
	s_waitcnt lgkmcnt(0)
	s_barrier
	s_and_saveexec_b64 s[2:3], s[0:1]
	s_cbranch_execz .LBB115_18
; %bb.17:
	s_movk_i32 s0, 0x3f8
	v_mad_u32_u24 v3, v0, s0, v1
	v_lshlrev_b32_e32 v16, 10, v0
	v_add_u32_e32 v8, 0x1210, v16
	v_add_u32_e32 v12, 8, v3
	ds_read2st64_b64 v[4:7], v3 offset1:1
	ds_read2_b64 v[8:11], v8 offset1:255
	ds_read2st64_b64 v[12:15], v12 offset0:5 offset1:6
	v_add_u32_e32 v16, 0x2210, v16
	ds_read2_b64 v[16:19], v16 offset1:255
	s_waitcnt lgkmcnt(1)
	v_fma_f64 v[6:7], -v[10:11], v[14:15], v[6:7]
	s_waitcnt lgkmcnt(0)
	v_fma_f64 v[6:7], -v[18:19], v[4:5], v[6:7]
	ds_write_b64 v3, v[6:7] offset:512
	v_fma_f64 v[6:7], -v[8:9], v[14:15], v[12:13]
	v_fma_f64 v[4:5], -v[16:17], v[4:5], v[6:7]
	ds_write_b64 v3, v[4:5] offset:2568
.LBB115_18:
	s_or_b64 exec, exec, s[2:3]
	v_cmp_gt_u32_e64 s[0:1], 4, v0
	s_waitcnt lgkmcnt(0)
	s_barrier
	s_and_saveexec_b64 s[2:3], s[0:1]
	s_cbranch_execz .LBB115_20
; %bb.19:
	v_lshlrev_b32_e32 v3, 9, v0
	v_add_u32_e32 v8, 0x1110, v3
	v_add_u32_e32 v12, 0x800, v3
	ds_read2_b64 v[4:7], v3 offset1:32
	ds_read2_b64 v[8:11], v8 offset1:255
	ds_read2_b64 v[12:15], v12 offset0:33 offset1:65
	v_add_u32_e32 v16, 0x2110, v3
	ds_read2_b64 v[16:19], v16 offset1:255
	s_waitcnt lgkmcnt(1)
	v_fma_f64 v[6:7], -v[10:11], v[14:15], v[6:7]
	s_waitcnt lgkmcnt(0)
	v_fma_f64 v[6:7], -v[18:19], v[4:5], v[6:7]
	ds_write_b64 v3, v[6:7] offset:256
	v_fma_f64 v[6:7], -v[8:9], v[14:15], v[12:13]
	v_fma_f64 v[4:5], -v[16:17], v[4:5], v[6:7]
	ds_write_b64 v3, v[4:5] offset:2312
.LBB115_20:
	s_or_b64 exec, exec, s[2:3]
	v_cmp_gt_u32_e64 s[0:1], 8, v0
	s_waitcnt lgkmcnt(0)
	s_barrier
	s_and_saveexec_b64 s[2:3], s[0:1]
	s_cbranch_execz .LBB115_22
; %bb.21:
	v_lshlrev_b32_e32 v3, 8, v0
	v_add_u32_e32 v8, 0x1090, v3
	v_add_u32_e32 v12, 0x800, v3
	ds_read2_b64 v[4:7], v3 offset1:16
	ds_read2_b64 v[8:11], v8 offset1:255
	ds_read2_b64 v[12:15], v12 offset0:17 offset1:33
	v_add_u32_e32 v16, 0x2090, v3
	ds_read2_b64 v[16:19], v16 offset1:255
	s_waitcnt lgkmcnt(1)
	v_fma_f64 v[6:7], -v[10:11], v[14:15], v[6:7]
	s_waitcnt lgkmcnt(0)
	v_fma_f64 v[6:7], -v[18:19], v[4:5], v[6:7]
	ds_write_b64 v3, v[6:7] offset:128
	v_fma_f64 v[6:7], -v[8:9], v[14:15], v[12:13]
	v_fma_f64 v[4:5], -v[16:17], v[4:5], v[6:7]
	ds_write_b64 v3, v[4:5] offset:2184
.LBB115_22:
	;; [unrolled: 24-line block ×5, first 2 shown]
	s_or_b64 exec, exec, s[2:3]
	s_movk_i32 s0, 0x80
	v_cmp_gt_u32_e64 s[0:1], s0, v0
	s_waitcnt lgkmcnt(0)
	s_barrier
	s_and_saveexec_b64 s[2:3], s[0:1]
	s_cbranch_execz .LBB115_30
; %bb.29:
	v_lshlrev_b32_e32 v0, 4, v0
	v_add_u32_e32 v3, 0x1018, v0
	ds_read2_b64 v[4:7], v3 offset1:255
	ds_read_b128 v[8:11], v0
	ds_read_b128 v[12:15], v0 offset:2064
	v_add_u32_e32 v3, 0x2018, v0
	ds_read2_b64 v[16:19], v3 offset1:255
	s_waitcnt lgkmcnt(1)
	v_fma_f64 v[6:7], -v[6:7], v[14:15], v[10:11]
	v_fma_f64 v[4:5], -v[4:5], v[14:15], v[12:13]
	s_waitcnt lgkmcnt(0)
	v_fma_f64 v[6:7], -v[18:19], v[8:9], v[6:7]
	v_fma_f64 v[4:5], -v[16:17], v[8:9], v[4:5]
	ds_write_b64 v0, v[6:7] offset:8
	ds_write_b64 v0, v[4:5] offset:2064
.LBB115_30:
	s_or_b64 exec, exec, s[2:3]
	s_waitcnt lgkmcnt(0)
	s_barrier
	s_and_saveexec_b64 s[0:1], vcc
	s_cbranch_execz .LBB115_32
; %bb.31:
	v_add_u32_e32 v0, 8, v1
	ds_read2st64_b64 v[4:7], v0 offset1:4
	v_ashrrev_i32_e32 v3, 31, v2
	v_lshl_add_u64 v[0:1], v[2:3], 3, s[6:7]
	v_mad_u64_u32 v[2:3], s[0:1], s14, 3, v[2:3]
	v_mov_b32_e32 v3, 0
	s_waitcnt lgkmcnt(0)
	global_store_dwordx2 v[0:1], v[6:7], off
	v_lshl_add_u64 v[0:1], v[2:3], 3, s[6:7]
	global_store_dwordx2 v[0:1], v[4:5], off
.LBB115_32:
	s_endpgm
	.section	.rodata,"a",@progbits
	.p2align	6, 0x0
	.amdhsa_kernel _ZN9rocsparseL33gtsv_solve_spike_propagate_kernelILj256ELj4EdEEviiiPT1_PKS1_S4_S4_
		.amdhsa_group_segment_fixed_size 12304
		.amdhsa_private_segment_fixed_size 0
		.amdhsa_kernarg_size 304
		.amdhsa_user_sgpr_count 2
		.amdhsa_user_sgpr_dispatch_ptr 0
		.amdhsa_user_sgpr_queue_ptr 0
		.amdhsa_user_sgpr_kernarg_segment_ptr 1
		.amdhsa_user_sgpr_dispatch_id 0
		.amdhsa_user_sgpr_kernarg_preload_length 0
		.amdhsa_user_sgpr_kernarg_preload_offset 0
		.amdhsa_user_sgpr_private_segment_size 0
		.amdhsa_uses_dynamic_stack 0
		.amdhsa_enable_private_segment 0
		.amdhsa_system_sgpr_workgroup_id_x 1
		.amdhsa_system_sgpr_workgroup_id_y 1
		.amdhsa_system_sgpr_workgroup_id_z 0
		.amdhsa_system_sgpr_workgroup_info 0
		.amdhsa_system_vgpr_workitem_id 0
		.amdhsa_next_free_vgpr 20
		.amdhsa_next_free_sgpr 18
		.amdhsa_accum_offset 20
		.amdhsa_reserve_vcc 1
		.amdhsa_float_round_mode_32 0
		.amdhsa_float_round_mode_16_64 0
		.amdhsa_float_denorm_mode_32 3
		.amdhsa_float_denorm_mode_16_64 3
		.amdhsa_dx10_clamp 1
		.amdhsa_ieee_mode 1
		.amdhsa_fp16_overflow 0
		.amdhsa_tg_split 0
		.amdhsa_exception_fp_ieee_invalid_op 0
		.amdhsa_exception_fp_denorm_src 0
		.amdhsa_exception_fp_ieee_div_zero 0
		.amdhsa_exception_fp_ieee_overflow 0
		.amdhsa_exception_fp_ieee_underflow 0
		.amdhsa_exception_fp_ieee_inexact 0
		.amdhsa_exception_int_div_zero 0
	.end_amdhsa_kernel
	.section	.text._ZN9rocsparseL33gtsv_solve_spike_propagate_kernelILj256ELj4EdEEviiiPT1_PKS1_S4_S4_,"axG",@progbits,_ZN9rocsparseL33gtsv_solve_spike_propagate_kernelILj256ELj4EdEEviiiPT1_PKS1_S4_S4_,comdat
.Lfunc_end115:
	.size	_ZN9rocsparseL33gtsv_solve_spike_propagate_kernelILj256ELj4EdEEviiiPT1_PKS1_S4_S4_, .Lfunc_end115-_ZN9rocsparseL33gtsv_solve_spike_propagate_kernelILj256ELj4EdEEviiiPT1_PKS1_S4_S4_
                                        ; -- End function
	.set _ZN9rocsparseL33gtsv_solve_spike_propagate_kernelILj256ELj4EdEEviiiPT1_PKS1_S4_S4_.num_vgpr, 20
	.set _ZN9rocsparseL33gtsv_solve_spike_propagate_kernelILj256ELj4EdEEviiiPT1_PKS1_S4_S4_.num_agpr, 0
	.set _ZN9rocsparseL33gtsv_solve_spike_propagate_kernelILj256ELj4EdEEviiiPT1_PKS1_S4_S4_.numbered_sgpr, 18
	.set _ZN9rocsparseL33gtsv_solve_spike_propagate_kernelILj256ELj4EdEEviiiPT1_PKS1_S4_S4_.num_named_barrier, 0
	.set _ZN9rocsparseL33gtsv_solve_spike_propagate_kernelILj256ELj4EdEEviiiPT1_PKS1_S4_S4_.private_seg_size, 0
	.set _ZN9rocsparseL33gtsv_solve_spike_propagate_kernelILj256ELj4EdEEviiiPT1_PKS1_S4_S4_.uses_vcc, 1
	.set _ZN9rocsparseL33gtsv_solve_spike_propagate_kernelILj256ELj4EdEEviiiPT1_PKS1_S4_S4_.uses_flat_scratch, 0
	.set _ZN9rocsparseL33gtsv_solve_spike_propagate_kernelILj256ELj4EdEEviiiPT1_PKS1_S4_S4_.has_dyn_sized_stack, 0
	.set _ZN9rocsparseL33gtsv_solve_spike_propagate_kernelILj256ELj4EdEEviiiPT1_PKS1_S4_S4_.has_recursion, 0
	.set _ZN9rocsparseL33gtsv_solve_spike_propagate_kernelILj256ELj4EdEEviiiPT1_PKS1_S4_S4_.has_indirect_call, 0
	.section	.AMDGPU.csdata,"",@progbits
; Kernel info:
; codeLenInByte = 1868
; TotalNumSgprs: 24
; NumVgprs: 20
; NumAgprs: 0
; TotalNumVgprs: 20
; ScratchSize: 0
; MemoryBound: 0
; FloatMode: 240
; IeeeMode: 1
; LDSByteSize: 12304 bytes/workgroup (compile time only)
; SGPRBlocks: 2
; VGPRBlocks: 2
; NumSGPRsForWavesPerEU: 24
; NumVGPRsForWavesPerEU: 20
; AccumOffset: 20
; Occupancy: 8
; WaveLimiterHint : 0
; COMPUTE_PGM_RSRC2:SCRATCH_EN: 0
; COMPUTE_PGM_RSRC2:USER_SGPR: 2
; COMPUTE_PGM_RSRC2:TRAP_HANDLER: 0
; COMPUTE_PGM_RSRC2:TGID_X_EN: 1
; COMPUTE_PGM_RSRC2:TGID_Y_EN: 1
; COMPUTE_PGM_RSRC2:TGID_Z_EN: 0
; COMPUTE_PGM_RSRC2:TIDIG_COMP_CNT: 0
; COMPUTE_PGM_RSRC3_GFX90A:ACCUM_OFFSET: 4
; COMPUTE_PGM_RSRC3_GFX90A:TG_SPLIT: 0
	.section	.text._ZN9rocsparseL39gtsv_spike_backward_substitution_kernelILj256ELj4EdEEviiiPT1_PKS1_S4_,"axG",@progbits,_ZN9rocsparseL39gtsv_spike_backward_substitution_kernelILj256ELj4EdEEviiiPT1_PKS1_S4_,comdat
	.globl	_ZN9rocsparseL39gtsv_spike_backward_substitution_kernelILj256ELj4EdEEviiiPT1_PKS1_S4_ ; -- Begin function _ZN9rocsparseL39gtsv_spike_backward_substitution_kernelILj256ELj4EdEEviiiPT1_PKS1_S4_
	.p2align	8
	.type	_ZN9rocsparseL39gtsv_spike_backward_substitution_kernelILj256ELj4EdEEviiiPT1_PKS1_S4_,@function
_ZN9rocsparseL39gtsv_spike_backward_substitution_kernelILj256ELj4EdEEviiiPT1_PKS1_S4_: ; @_ZN9rocsparseL39gtsv_spike_backward_substitution_kernelILj256ELj4EdEEviiiPT1_PKS1_S4_
; %bb.0:
	s_load_dword s6, s[0:1], 0x0
	v_lshl_or_b32 v2, s2, 8, v0
	s_waitcnt lgkmcnt(0)
	s_lshr_b32 s12, s6, 2
	v_cmp_gt_i32_e32 vcc, s12, v2
	s_and_saveexec_b64 s[4:5], vcc
	s_cbranch_execz .LBB116_6
; %bb.1:
	s_load_dwordx2 s[8:9], s[0:1], 0x10
	v_cmp_lt_i32_e32 vcc, 0, v2
	v_mov_b64_e32 v[0:1], 0
	s_mul_i32 s2, s6, s3
	s_and_saveexec_b64 s[4:5], vcc
	s_cbranch_execz .LBB116_3
; %bb.2:
	s_mul_i32 s7, s12, 3
	s_mul_i32 s3, s6, s3
	s_add_i32 s7, s7, s3
	v_add3_u32 v0, v2, s7, -1
	v_mov_b32_e32 v1, 0
	s_waitcnt lgkmcnt(0)
	v_lshl_add_u64 v[0:1], v[0:1], 3, s[8:9]
	global_load_dwordx2 v[0:1], v[0:1], off
.LBB116_3:
	s_or_b64 exec, exec, s[4:5]
	v_add_u32_e32 v3, 4, v2
	v_cmp_le_u32_e32 vcc, s6, v3
	s_and_saveexec_b64 s[4:5], vcc
	s_xor_b64 s[4:5], exec, s[4:5]
	s_or_saveexec_b64 s[10:11], s[4:5]
	s_load_dwordx4 s[4:7], s[0:1], 0x18
	v_mov_b64_e32 v[4:5], 0
	v_mov_b32_e32 v3, s2
	s_xor_b64 exec, exec, s[10:11]
	s_cbranch_execz .LBB116_5
; %bb.4:
	s_ashr_i32 s3, s2, 31
	v_ashrrev_i32_e32 v3, 31, v2
	v_lshl_add_u64 v[4:5], v[2:3], 0, s[2:3]
	s_waitcnt lgkmcnt(0)
	v_lshl_add_u64 v[4:5], v[4:5], 3, s[8:9]
	global_load_dwordx2 v[4:5], v[4:5], off offset:8
	v_mov_b32_e32 v3, s2
.LBB116_5:
	s_or_b64 exec, exec, s[10:11]
	v_add_u32_e32 v6, s12, v2
	v_add_u32_e32 v8, v6, v3
	v_ashrrev_i32_e32 v7, 31, v6
	v_ashrrev_i32_e32 v9, 31, v8
	v_lshlrev_b64 v[12:13], 3, v[6:7]
	s_waitcnt lgkmcnt(0)
	v_lshl_add_u64 v[8:9], v[8:9], 3, s[8:9]
	v_lshl_add_u64 v[14:15], s[4:5], 0, v[12:13]
	global_load_dwordx2 v[10:11], v[8:9], off
	v_lshl_add_u64 v[12:13], s[6:7], 0, v[12:13]
	global_load_dwordx2 v[14:15], v[14:15], off
	v_add_u32_e32 v2, s12, v6
	global_load_dwordx2 v[12:13], v[12:13], off
	v_add_u32_e32 v6, v2, v3
	v_ashrrev_i32_e32 v3, 31, v2
	v_lshlrev_b64 v[2:3], 3, v[2:3]
	v_lshl_add_u64 v[16:17], s[4:5], 0, v[2:3]
	global_load_dwordx2 v[16:17], v[16:17], off
	v_ashrrev_i32_e32 v7, 31, v6
	v_lshl_add_u64 v[6:7], v[6:7], 3, s[8:9]
	v_lshl_add_u64 v[2:3], s[6:7], 0, v[2:3]
	global_load_dwordx2 v[2:3], v[2:3], off
	s_waitcnt vmcnt(3)
	v_fma_f64 v[10:11], -v[0:1], v[14:15], v[10:11]
	s_waitcnt vmcnt(2)
	v_fma_f64 v[10:11], -v[4:5], v[12:13], v[10:11]
	global_store_dwordx2 v[8:9], v[10:11], off
	global_load_dwordx2 v[8:9], v[6:7], off
	s_waitcnt vmcnt(0)
	v_fma_f64 v[0:1], -v[0:1], v[16:17], v[8:9]
	v_fma_f64 v[0:1], -v[4:5], v[2:3], v[0:1]
	global_store_dwordx2 v[6:7], v[0:1], off
.LBB116_6:
	s_endpgm
	.section	.rodata,"a",@progbits
	.p2align	6, 0x0
	.amdhsa_kernel _ZN9rocsparseL39gtsv_spike_backward_substitution_kernelILj256ELj4EdEEviiiPT1_PKS1_S4_
		.amdhsa_group_segment_fixed_size 0
		.amdhsa_private_segment_fixed_size 0
		.amdhsa_kernarg_size 40
		.amdhsa_user_sgpr_count 2
		.amdhsa_user_sgpr_dispatch_ptr 0
		.amdhsa_user_sgpr_queue_ptr 0
		.amdhsa_user_sgpr_kernarg_segment_ptr 1
		.amdhsa_user_sgpr_dispatch_id 0
		.amdhsa_user_sgpr_kernarg_preload_length 0
		.amdhsa_user_sgpr_kernarg_preload_offset 0
		.amdhsa_user_sgpr_private_segment_size 0
		.amdhsa_uses_dynamic_stack 0
		.amdhsa_enable_private_segment 0
		.amdhsa_system_sgpr_workgroup_id_x 1
		.amdhsa_system_sgpr_workgroup_id_y 1
		.amdhsa_system_sgpr_workgroup_id_z 0
		.amdhsa_system_sgpr_workgroup_info 0
		.amdhsa_system_vgpr_workitem_id 0
		.amdhsa_next_free_vgpr 18
		.amdhsa_next_free_sgpr 13
		.amdhsa_accum_offset 20
		.amdhsa_reserve_vcc 1
		.amdhsa_float_round_mode_32 0
		.amdhsa_float_round_mode_16_64 0
		.amdhsa_float_denorm_mode_32 3
		.amdhsa_float_denorm_mode_16_64 3
		.amdhsa_dx10_clamp 1
		.amdhsa_ieee_mode 1
		.amdhsa_fp16_overflow 0
		.amdhsa_tg_split 0
		.amdhsa_exception_fp_ieee_invalid_op 0
		.amdhsa_exception_fp_denorm_src 0
		.amdhsa_exception_fp_ieee_div_zero 0
		.amdhsa_exception_fp_ieee_overflow 0
		.amdhsa_exception_fp_ieee_underflow 0
		.amdhsa_exception_fp_ieee_inexact 0
		.amdhsa_exception_int_div_zero 0
	.end_amdhsa_kernel
	.section	.text._ZN9rocsparseL39gtsv_spike_backward_substitution_kernelILj256ELj4EdEEviiiPT1_PKS1_S4_,"axG",@progbits,_ZN9rocsparseL39gtsv_spike_backward_substitution_kernelILj256ELj4EdEEviiiPT1_PKS1_S4_,comdat
.Lfunc_end116:
	.size	_ZN9rocsparseL39gtsv_spike_backward_substitution_kernelILj256ELj4EdEEviiiPT1_PKS1_S4_, .Lfunc_end116-_ZN9rocsparseL39gtsv_spike_backward_substitution_kernelILj256ELj4EdEEviiiPT1_PKS1_S4_
                                        ; -- End function
	.set _ZN9rocsparseL39gtsv_spike_backward_substitution_kernelILj256ELj4EdEEviiiPT1_PKS1_S4_.num_vgpr, 18
	.set _ZN9rocsparseL39gtsv_spike_backward_substitution_kernelILj256ELj4EdEEviiiPT1_PKS1_S4_.num_agpr, 0
	.set _ZN9rocsparseL39gtsv_spike_backward_substitution_kernelILj256ELj4EdEEviiiPT1_PKS1_S4_.numbered_sgpr, 13
	.set _ZN9rocsparseL39gtsv_spike_backward_substitution_kernelILj256ELj4EdEEviiiPT1_PKS1_S4_.num_named_barrier, 0
	.set _ZN9rocsparseL39gtsv_spike_backward_substitution_kernelILj256ELj4EdEEviiiPT1_PKS1_S4_.private_seg_size, 0
	.set _ZN9rocsparseL39gtsv_spike_backward_substitution_kernelILj256ELj4EdEEviiiPT1_PKS1_S4_.uses_vcc, 1
	.set _ZN9rocsparseL39gtsv_spike_backward_substitution_kernelILj256ELj4EdEEviiiPT1_PKS1_S4_.uses_flat_scratch, 0
	.set _ZN9rocsparseL39gtsv_spike_backward_substitution_kernelILj256ELj4EdEEviiiPT1_PKS1_S4_.has_dyn_sized_stack, 0
	.set _ZN9rocsparseL39gtsv_spike_backward_substitution_kernelILj256ELj4EdEEviiiPT1_PKS1_S4_.has_recursion, 0
	.set _ZN9rocsparseL39gtsv_spike_backward_substitution_kernelILj256ELj4EdEEviiiPT1_PKS1_S4_.has_indirect_call, 0
	.section	.AMDGPU.csdata,"",@progbits
; Kernel info:
; codeLenInByte = 412
; TotalNumSgprs: 19
; NumVgprs: 18
; NumAgprs: 0
; TotalNumVgprs: 18
; ScratchSize: 0
; MemoryBound: 0
; FloatMode: 240
; IeeeMode: 1
; LDSByteSize: 0 bytes/workgroup (compile time only)
; SGPRBlocks: 2
; VGPRBlocks: 2
; NumSGPRsForWavesPerEU: 19
; NumVGPRsForWavesPerEU: 18
; AccumOffset: 20
; Occupancy: 8
; WaveLimiterHint : 0
; COMPUTE_PGM_RSRC2:SCRATCH_EN: 0
; COMPUTE_PGM_RSRC2:USER_SGPR: 2
; COMPUTE_PGM_RSRC2:TRAP_HANDLER: 0
; COMPUTE_PGM_RSRC2:TGID_X_EN: 1
; COMPUTE_PGM_RSRC2:TGID_Y_EN: 1
; COMPUTE_PGM_RSRC2:TGID_Z_EN: 0
; COMPUTE_PGM_RSRC2:TIDIG_COMP_CNT: 0
; COMPUTE_PGM_RSRC3_GFX90A:ACCUM_OFFSET: 4
; COMPUTE_PGM_RSRC3_GFX90A:TG_SPLIT: 0
	.section	.text._ZN9rocsparseL32gtsv_transpose_back_array_kernelILj256ELj4EdEEviiiPKT1_PS1_,"axG",@progbits,_ZN9rocsparseL32gtsv_transpose_back_array_kernelILj256ELj4EdEEviiiPKT1_PS1_,comdat
	.globl	_ZN9rocsparseL32gtsv_transpose_back_array_kernelILj256ELj4EdEEviiiPKT1_PS1_ ; -- Begin function _ZN9rocsparseL32gtsv_transpose_back_array_kernelILj256ELj4EdEEviiiPKT1_PS1_
	.p2align	8
	.type	_ZN9rocsparseL32gtsv_transpose_back_array_kernelILj256ELj4EdEEviiiPKT1_PS1_,@function
_ZN9rocsparseL32gtsv_transpose_back_array_kernelILj256ELj4EdEEviiiPKT1_PS1_: ; @_ZN9rocsparseL32gtsv_transpose_back_array_kernelILj256ELj4EdEEviiiPKT1_PS1_
; %bb.0:
	s_load_dwordx4 s[4:7], s[0:1], 0x0
	v_lshl_or_b32 v0, s2, 8, v0
	v_lshlrev_b32_e32 v2, 2, v0
	s_waitcnt lgkmcnt(0)
	v_cvt_f32_u32_e32 v1, s5
	s_sub_i32 s2, 0, s5
	v_rcp_iflag_f32_e32 v1, v1
	s_nop 0
	v_mul_f32_e32 v1, 0x4f7ffffe, v1
	v_cvt_u32_f32_e32 v1, v1
	v_mul_lo_u32 v3, s2, v1
	v_mul_hi_u32 v3, v1, v3
	v_add_u32_e32 v1, v1, v3
	v_mul_hi_u32 v1, v2, v1
	v_mul_lo_u32 v3, v1, s5
	v_sub_u32_e32 v3, v2, v3
	v_add_u32_e32 v4, 1, v1
	v_cmp_le_u32_e32 vcc, s5, v3
	s_nop 1
	v_cndmask_b32_e32 v1, v1, v4, vcc
	v_subrev_u32_e32 v4, s5, v3
	v_cndmask_b32_e32 v3, v3, v4, vcc
	v_add_u32_e32 v4, 1, v1
	v_cmp_le_u32_e32 vcc, s5, v3
	s_nop 1
	v_cndmask_b32_e32 v1, v1, v4, vcc
	v_mul_lo_u32 v3, v1, s5
	v_sub_u32_e32 v2, v2, v3
	v_add_u32_e32 v1, v1, v2
	v_cmp_gt_i32_e32 vcc, s4, v1
	s_and_saveexec_b64 s[8:9], vcc
	s_cbranch_execz .LBB117_2
; %bb.1:
	s_load_dwordx4 s[8:11], s[0:1], 0x10
	s_mul_i32 s0, s5, s3
	v_add_u32_e32 v2, s0, v0
	v_ashrrev_i32_e32 v3, 31, v2
	s_mul_i32 s0, s6, s3
	s_waitcnt lgkmcnt(0)
	v_lshl_add_u64 v[2:3], v[2:3], 3, s[8:9]
	global_load_dwordx2 v[2:3], v[2:3], off
	v_add_u32_e32 v0, s0, v1
	v_ashrrev_i32_e32 v1, 31, v0
	v_lshl_add_u64 v[0:1], v[0:1], 3, s[10:11]
	s_waitcnt vmcnt(0)
	global_store_dwordx2 v[0:1], v[2:3], off
.LBB117_2:
	s_endpgm
	.section	.rodata,"a",@progbits
	.p2align	6, 0x0
	.amdhsa_kernel _ZN9rocsparseL32gtsv_transpose_back_array_kernelILj256ELj4EdEEviiiPKT1_PS1_
		.amdhsa_group_segment_fixed_size 0
		.amdhsa_private_segment_fixed_size 0
		.amdhsa_kernarg_size 32
		.amdhsa_user_sgpr_count 2
		.amdhsa_user_sgpr_dispatch_ptr 0
		.amdhsa_user_sgpr_queue_ptr 0
		.amdhsa_user_sgpr_kernarg_segment_ptr 1
		.amdhsa_user_sgpr_dispatch_id 0
		.amdhsa_user_sgpr_kernarg_preload_length 0
		.amdhsa_user_sgpr_kernarg_preload_offset 0
		.amdhsa_user_sgpr_private_segment_size 0
		.amdhsa_uses_dynamic_stack 0
		.amdhsa_enable_private_segment 0
		.amdhsa_system_sgpr_workgroup_id_x 1
		.amdhsa_system_sgpr_workgroup_id_y 1
		.amdhsa_system_sgpr_workgroup_id_z 0
		.amdhsa_system_sgpr_workgroup_info 0
		.amdhsa_system_vgpr_workitem_id 0
		.amdhsa_next_free_vgpr 5
		.amdhsa_next_free_sgpr 12
		.amdhsa_accum_offset 8
		.amdhsa_reserve_vcc 1
		.amdhsa_float_round_mode_32 0
		.amdhsa_float_round_mode_16_64 0
		.amdhsa_float_denorm_mode_32 3
		.amdhsa_float_denorm_mode_16_64 3
		.amdhsa_dx10_clamp 1
		.amdhsa_ieee_mode 1
		.amdhsa_fp16_overflow 0
		.amdhsa_tg_split 0
		.amdhsa_exception_fp_ieee_invalid_op 0
		.amdhsa_exception_fp_denorm_src 0
		.amdhsa_exception_fp_ieee_div_zero 0
		.amdhsa_exception_fp_ieee_overflow 0
		.amdhsa_exception_fp_ieee_underflow 0
		.amdhsa_exception_fp_ieee_inexact 0
		.amdhsa_exception_int_div_zero 0
	.end_amdhsa_kernel
	.section	.text._ZN9rocsparseL32gtsv_transpose_back_array_kernelILj256ELj4EdEEviiiPKT1_PS1_,"axG",@progbits,_ZN9rocsparseL32gtsv_transpose_back_array_kernelILj256ELj4EdEEviiiPKT1_PS1_,comdat
.Lfunc_end117:
	.size	_ZN9rocsparseL32gtsv_transpose_back_array_kernelILj256ELj4EdEEviiiPKT1_PS1_, .Lfunc_end117-_ZN9rocsparseL32gtsv_transpose_back_array_kernelILj256ELj4EdEEviiiPKT1_PS1_
                                        ; -- End function
	.set _ZN9rocsparseL32gtsv_transpose_back_array_kernelILj256ELj4EdEEviiiPKT1_PS1_.num_vgpr, 5
	.set _ZN9rocsparseL32gtsv_transpose_back_array_kernelILj256ELj4EdEEviiiPKT1_PS1_.num_agpr, 0
	.set _ZN9rocsparseL32gtsv_transpose_back_array_kernelILj256ELj4EdEEviiiPKT1_PS1_.numbered_sgpr, 12
	.set _ZN9rocsparseL32gtsv_transpose_back_array_kernelILj256ELj4EdEEviiiPKT1_PS1_.num_named_barrier, 0
	.set _ZN9rocsparseL32gtsv_transpose_back_array_kernelILj256ELj4EdEEviiiPKT1_PS1_.private_seg_size, 0
	.set _ZN9rocsparseL32gtsv_transpose_back_array_kernelILj256ELj4EdEEviiiPKT1_PS1_.uses_vcc, 1
	.set _ZN9rocsparseL32gtsv_transpose_back_array_kernelILj256ELj4EdEEviiiPKT1_PS1_.uses_flat_scratch, 0
	.set _ZN9rocsparseL32gtsv_transpose_back_array_kernelILj256ELj4EdEEviiiPKT1_PS1_.has_dyn_sized_stack, 0
	.set _ZN9rocsparseL32gtsv_transpose_back_array_kernelILj256ELj4EdEEviiiPKT1_PS1_.has_recursion, 0
	.set _ZN9rocsparseL32gtsv_transpose_back_array_kernelILj256ELj4EdEEviiiPKT1_PS1_.has_indirect_call, 0
	.section	.AMDGPU.csdata,"",@progbits
; Kernel info:
; codeLenInByte = 236
; TotalNumSgprs: 18
; NumVgprs: 5
; NumAgprs: 0
; TotalNumVgprs: 5
; ScratchSize: 0
; MemoryBound: 0
; FloatMode: 240
; IeeeMode: 1
; LDSByteSize: 0 bytes/workgroup (compile time only)
; SGPRBlocks: 2
; VGPRBlocks: 0
; NumSGPRsForWavesPerEU: 18
; NumVGPRsForWavesPerEU: 5
; AccumOffset: 8
; Occupancy: 8
; WaveLimiterHint : 0
; COMPUTE_PGM_RSRC2:SCRATCH_EN: 0
; COMPUTE_PGM_RSRC2:USER_SGPR: 2
; COMPUTE_PGM_RSRC2:TRAP_HANDLER: 0
; COMPUTE_PGM_RSRC2:TGID_X_EN: 1
; COMPUTE_PGM_RSRC2:TGID_Y_EN: 1
; COMPUTE_PGM_RSRC2:TGID_Z_EN: 0
; COMPUTE_PGM_RSRC2:TIDIG_COMP_CNT: 0
; COMPUTE_PGM_RSRC3_GFX90A:ACCUM_OFFSET: 1
; COMPUTE_PGM_RSRC3_GFX90A:TG_SPLIT: 0
	.section	.text._ZN9rocsparseL42gtsv_transpose_and_pad_array_shared_kernelILj256ELj8EdEEviiiPKT1_PS1_S1_,"axG",@progbits,_ZN9rocsparseL42gtsv_transpose_and_pad_array_shared_kernelILj256ELj8EdEEviiiPKT1_PS1_S1_,comdat
	.globl	_ZN9rocsparseL42gtsv_transpose_and_pad_array_shared_kernelILj256ELj8EdEEviiiPKT1_PS1_S1_ ; -- Begin function _ZN9rocsparseL42gtsv_transpose_and_pad_array_shared_kernelILj256ELj8EdEEviiiPKT1_PS1_S1_
	.p2align	8
	.type	_ZN9rocsparseL42gtsv_transpose_and_pad_array_shared_kernelILj256ELj8EdEEviiiPKT1_PS1_S1_,@function
_ZN9rocsparseL42gtsv_transpose_and_pad_array_shared_kernelILj256ELj8EdEEviiiPKT1_PS1_S1_: ; @_ZN9rocsparseL42gtsv_transpose_and_pad_array_shared_kernelILj256ELj8EdEEviiiPKT1_PS1_S1_
; %bb.0:
	s_load_dwordx4 s[4:7], s[0:1], 0x0
	s_load_dwordx2 s[8:9], s[0:1], 0x20
	v_lshl_or_b32 v1, s2, 8, v0
	s_waitcnt lgkmcnt(0)
	v_cmp_gt_i32_e32 vcc, s4, v1
	v_mov_b64_e32 v[4:5], s[8:9]
	s_and_saveexec_b64 s[8:9], vcc
	s_cbranch_execz .LBB118_2
; %bb.1:
	s_load_dwordx2 s[10:11], s[0:1], 0x10
	s_mul_i32 s4, s6, s3
	v_add_u32_e32 v2, s4, v1
	v_ashrrev_i32_e32 v3, 31, v2
	s_waitcnt lgkmcnt(0)
	v_lshl_add_u64 v[2:3], v[2:3], 3, s[10:11]
	global_load_dwordx2 v[4:5], v[2:3], off
.LBB118_2:
	s_or_b64 exec, exec, s[8:9]
	v_lshrrev_b32_e32 v2, 5, v0
	v_and_b32_e32 v3, 31, v0
	v_lshlrev_b32_e32 v0, 3, v0
	s_waitcnt vmcnt(0)
	ds_write_b64 v0, v[4:5]
	s_lshr_b32 s4, s5, 3
	v_lshl_or_b32 v0, s2, 5, v3
	v_mad_u64_u32 v[0:1], s[6:7], s4, v2, v[0:1]
	v_cmp_gt_i32_e32 vcc, s5, v0
	s_waitcnt lgkmcnt(0)
	s_barrier
	s_and_saveexec_b64 s[6:7], vcc
	s_cbranch_execz .LBB118_4
; %bb.3:
	v_lshlrev_b32_e32 v1, 3, v2
	s_load_dwordx2 s[0:1], s[0:1], 0x18
	v_lshl_or_b32 v1, v3, 6, v1
	ds_read_b64 v[2:3], v1
	s_mul_i32 s2, s5, s3
	v_add_u32_e32 v0, s2, v0
	v_ashrrev_i32_e32 v1, 31, v0
	s_waitcnt lgkmcnt(0)
	v_lshl_add_u64 v[0:1], v[0:1], 3, s[0:1]
	global_store_dwordx2 v[0:1], v[2:3], off
.LBB118_4:
	s_endpgm
	.section	.rodata,"a",@progbits
	.p2align	6, 0x0
	.amdhsa_kernel _ZN9rocsparseL42gtsv_transpose_and_pad_array_shared_kernelILj256ELj8EdEEviiiPKT1_PS1_S1_
		.amdhsa_group_segment_fixed_size 2048
		.amdhsa_private_segment_fixed_size 0
		.amdhsa_kernarg_size 40
		.amdhsa_user_sgpr_count 2
		.amdhsa_user_sgpr_dispatch_ptr 0
		.amdhsa_user_sgpr_queue_ptr 0
		.amdhsa_user_sgpr_kernarg_segment_ptr 1
		.amdhsa_user_sgpr_dispatch_id 0
		.amdhsa_user_sgpr_kernarg_preload_length 0
		.amdhsa_user_sgpr_kernarg_preload_offset 0
		.amdhsa_user_sgpr_private_segment_size 0
		.amdhsa_uses_dynamic_stack 0
		.amdhsa_enable_private_segment 0
		.amdhsa_system_sgpr_workgroup_id_x 1
		.amdhsa_system_sgpr_workgroup_id_y 1
		.amdhsa_system_sgpr_workgroup_id_z 0
		.amdhsa_system_sgpr_workgroup_info 0
		.amdhsa_system_vgpr_workitem_id 0
		.amdhsa_next_free_vgpr 6
		.amdhsa_next_free_sgpr 12
		.amdhsa_accum_offset 8
		.amdhsa_reserve_vcc 1
		.amdhsa_float_round_mode_32 0
		.amdhsa_float_round_mode_16_64 0
		.amdhsa_float_denorm_mode_32 3
		.amdhsa_float_denorm_mode_16_64 3
		.amdhsa_dx10_clamp 1
		.amdhsa_ieee_mode 1
		.amdhsa_fp16_overflow 0
		.amdhsa_tg_split 0
		.amdhsa_exception_fp_ieee_invalid_op 0
		.amdhsa_exception_fp_denorm_src 0
		.amdhsa_exception_fp_ieee_div_zero 0
		.amdhsa_exception_fp_ieee_overflow 0
		.amdhsa_exception_fp_ieee_underflow 0
		.amdhsa_exception_fp_ieee_inexact 0
		.amdhsa_exception_int_div_zero 0
	.end_amdhsa_kernel
	.section	.text._ZN9rocsparseL42gtsv_transpose_and_pad_array_shared_kernelILj256ELj8EdEEviiiPKT1_PS1_S1_,"axG",@progbits,_ZN9rocsparseL42gtsv_transpose_and_pad_array_shared_kernelILj256ELj8EdEEviiiPKT1_PS1_S1_,comdat
.Lfunc_end118:
	.size	_ZN9rocsparseL42gtsv_transpose_and_pad_array_shared_kernelILj256ELj8EdEEviiiPKT1_PS1_S1_, .Lfunc_end118-_ZN9rocsparseL42gtsv_transpose_and_pad_array_shared_kernelILj256ELj8EdEEviiiPKT1_PS1_S1_
                                        ; -- End function
	.set _ZN9rocsparseL42gtsv_transpose_and_pad_array_shared_kernelILj256ELj8EdEEviiiPKT1_PS1_S1_.num_vgpr, 6
	.set _ZN9rocsparseL42gtsv_transpose_and_pad_array_shared_kernelILj256ELj8EdEEviiiPKT1_PS1_S1_.num_agpr, 0
	.set _ZN9rocsparseL42gtsv_transpose_and_pad_array_shared_kernelILj256ELj8EdEEviiiPKT1_PS1_S1_.numbered_sgpr, 12
	.set _ZN9rocsparseL42gtsv_transpose_and_pad_array_shared_kernelILj256ELj8EdEEviiiPKT1_PS1_S1_.num_named_barrier, 0
	.set _ZN9rocsparseL42gtsv_transpose_and_pad_array_shared_kernelILj256ELj8EdEEviiiPKT1_PS1_S1_.private_seg_size, 0
	.set _ZN9rocsparseL42gtsv_transpose_and_pad_array_shared_kernelILj256ELj8EdEEviiiPKT1_PS1_S1_.uses_vcc, 1
	.set _ZN9rocsparseL42gtsv_transpose_and_pad_array_shared_kernelILj256ELj8EdEEviiiPKT1_PS1_S1_.uses_flat_scratch, 0
	.set _ZN9rocsparseL42gtsv_transpose_and_pad_array_shared_kernelILj256ELj8EdEEviiiPKT1_PS1_S1_.has_dyn_sized_stack, 0
	.set _ZN9rocsparseL42gtsv_transpose_and_pad_array_shared_kernelILj256ELj8EdEEviiiPKT1_PS1_S1_.has_recursion, 0
	.set _ZN9rocsparseL42gtsv_transpose_and_pad_array_shared_kernelILj256ELj8EdEEviiiPKT1_PS1_S1_.has_indirect_call, 0
	.section	.AMDGPU.csdata,"",@progbits
; Kernel info:
; codeLenInByte = 216
; TotalNumSgprs: 18
; NumVgprs: 6
; NumAgprs: 0
; TotalNumVgprs: 6
; ScratchSize: 0
; MemoryBound: 0
; FloatMode: 240
; IeeeMode: 1
; LDSByteSize: 2048 bytes/workgroup (compile time only)
; SGPRBlocks: 2
; VGPRBlocks: 0
; NumSGPRsForWavesPerEU: 18
; NumVGPRsForWavesPerEU: 6
; AccumOffset: 8
; Occupancy: 8
; WaveLimiterHint : 0
; COMPUTE_PGM_RSRC2:SCRATCH_EN: 0
; COMPUTE_PGM_RSRC2:USER_SGPR: 2
; COMPUTE_PGM_RSRC2:TRAP_HANDLER: 0
; COMPUTE_PGM_RSRC2:TGID_X_EN: 1
; COMPUTE_PGM_RSRC2:TGID_Y_EN: 1
; COMPUTE_PGM_RSRC2:TGID_Z_EN: 0
; COMPUTE_PGM_RSRC2:TIDIG_COMP_CNT: 0
; COMPUTE_PGM_RSRC3_GFX90A:ACCUM_OFFSET: 1
; COMPUTE_PGM_RSRC3_GFX90A:TG_SPLIT: 0
	.section	.text._ZN9rocsparseL18gtsv_LBM_wv_kernelILj256ELj8EdEEviiiPKT1_S3_S3_PS1_S4_S4_Pi,"axG",@progbits,_ZN9rocsparseL18gtsv_LBM_wv_kernelILj256ELj8EdEEviiiPKT1_S3_S3_PS1_S4_S4_Pi,comdat
	.globl	_ZN9rocsparseL18gtsv_LBM_wv_kernelILj256ELj8EdEEviiiPKT1_S3_S3_PS1_S4_S4_Pi ; -- Begin function _ZN9rocsparseL18gtsv_LBM_wv_kernelILj256ELj8EdEEviiiPKT1_S3_S3_PS1_S4_S4_Pi
	.p2align	8
	.type	_ZN9rocsparseL18gtsv_LBM_wv_kernelILj256ELj8EdEEviiiPKT1_S3_S3_PS1_S4_S4_Pi,@function
_ZN9rocsparseL18gtsv_LBM_wv_kernelILj256ELj8EdEEviiiPKT1_S3_S3_PS1_S4_S4_Pi: ; @_ZN9rocsparseL18gtsv_LBM_wv_kernelILj256ELj8EdEEviiiPKT1_S3_S3_PS1_S4_S4_Pi
; %bb.0:
	s_load_dword s27, s[0:1], 0x0
	v_lshl_or_b32 v0, s2, 8, v0
	s_waitcnt lgkmcnt(0)
	s_lshr_b32 s26, s27, 3
	v_cmp_gt_i32_e32 vcc, s26, v0
	s_and_saveexec_b64 s[2:3], vcc
	s_cbranch_execz .LBB119_30
; %bb.1:
	s_load_dwordx2 s[16:17], s[0:1], 0x10
	s_load_dwordx8 s[8:15], s[0:1], 0x20
	v_ashrrev_i32_e32 v1, 31, v0
	s_mul_i32 s28, s26, 7
	v_lshlrev_b64 v[2:3], 3, v[0:1]
	v_add_u32_e32 v6, s28, v0
	v_mov_b32_e32 v7, 0
	s_waitcnt lgkmcnt(0)
	v_lshl_add_u64 v[4:5], s[16:17], 0, v[2:3]
	v_lshlrev_b64 v[8:9], 3, v[6:7]
	global_load_dwordx2 v[4:5], v[4:5], off
	v_lshl_add_u64 v[10:11], s[8:9], 0, v[8:9]
	global_load_dwordx2 v[10:11], v[10:11], off
	s_load_dwordx2 s[6:7], s[0:1], 0x40
	v_lshl_add_u64 v[2:3], s[10:11], 0, v[2:3]
	s_cmp_lt_i32 s27, 1
	v_add_u32_e32 v36, s26, v0
	v_lshl_add_u64 v[8:9], s[12:13], 0, v[8:9]
	s_waitcnt vmcnt(1)
	global_store_dwordx2 v[2:3], v[4:5], off
	s_waitcnt vmcnt(1)
	global_store_dwordx2 v[8:9], v[10:11], off
	v_mov_b32_e32 v4, v7
	s_cbranch_scc1 .LBB119_23
; %bb.2:
	s_load_dwordx2 s[18:19], s[0:1], 0x18
	s_mov_b32 s22, 0x372fe950
	s_mul_i32 s29, s26, 6
	s_lshl_b32 s30, s26, 1
	s_mov_b64 s[20:21], 0
	s_waitcnt lgkmcnt(0)
	v_lshl_add_u64 v[4:5], v[0:1], 3, s[18:19]
	global_load_dwordx2 v[6:7], v[4:5], off
	v_add_u32_e32 v1, s26, v36
	v_mov_b32_e32 v4, 0
	s_mov_b32 s23, 0x3fe3c6ef
	v_mov_b32_e32 v37, 2
	v_mov_b32_e32 v38, 1
	s_branch .LBB119_5
.LBB119_3:                              ;   in Loop: Header=BB119_5 Depth=1
	s_or_b64 exec, exec, s[4:5]
	v_fma_f64 v[6:7], -v[6:7], v[20:21], v[10:11]
	v_mov_b32_e32 v5, s26
.LBB119_4:                              ;   in Loop: Header=BB119_5 Depth=1
	s_or_b64 exec, exec, s[2:3]
	v_add_u32_e32 v4, v5, v4
	v_cmp_le_i32_e32 vcc, s27, v4
	s_or_b64 s[20:21], vcc, s[20:21]
	s_andn2_b64 exec, exec, s[20:21]
	s_cbranch_execz .LBB119_22
.LBB119_5:                              ; =>This Inner Loop Header: Depth=1
	v_add_u32_e32 v14, v4, v0
	v_ashrrev_i32_e32 v15, 31, v14
	v_lshl_add_u64 v[8:9], v[14:15], 3, s[8:9]
	global_load_dwordx2 v[12:13], v[8:9], off
	v_cmp_gt_u32_e64 s[0:1], s28, v4
	v_mov_b64_e32 v[10:11], 0
	v_mov_b64_e32 v[8:9], 0
	s_and_saveexec_b64 s[2:3], s[0:1]
	s_cbranch_execz .LBB119_7
; %bb.6:                                ;   in Loop: Header=BB119_5 Depth=1
	v_add_u32_e32 v8, v36, v4
	v_ashrrev_i32_e32 v9, 31, v8
	v_lshl_add_u64 v[8:9], v[8:9], 3, s[16:17]
	global_load_dwordx2 v[8:9], v[8:9], off
.LBB119_7:                              ;   in Loop: Header=BB119_5 Depth=1
	s_or_b64 exec, exec, s[2:3]
	s_and_saveexec_b64 s[2:3], s[0:1]
	s_cbranch_execz .LBB119_9
; %bb.8:                                ;   in Loop: Header=BB119_5 Depth=1
	v_add_u32_e32 v10, v36, v4
	v_ashrrev_i32_e32 v11, 31, v10
	v_lshl_add_u64 v[10:11], v[10:11], 3, s[18:19]
	global_load_dwordx2 v[10:11], v[10:11], off
.LBB119_9:                              ;   in Loop: Header=BB119_5 Depth=1
	s_or_b64 exec, exec, s[2:3]
	v_mov_b64_e32 v[18:19], 0
	v_mov_b64_e32 v[16:17], 0
	s_and_saveexec_b64 s[2:3], s[0:1]
	s_cbranch_execz .LBB119_11
; %bb.10:                               ;   in Loop: Header=BB119_5 Depth=1
	v_add_u32_e32 v16, v36, v4
	v_ashrrev_i32_e32 v17, 31, v16
	v_lshl_add_u64 v[16:17], v[16:17], 3, s[8:9]
	global_load_dwordx2 v[16:17], v[16:17], off
.LBB119_11:                             ;   in Loop: Header=BB119_5 Depth=1
	s_or_b64 exec, exec, s[2:3]
	v_cmp_gt_u32_e64 s[2:3], s29, v4
	s_and_saveexec_b64 s[4:5], s[2:3]
	s_cbranch_execz .LBB119_13
; %bb.12:                               ;   in Loop: Header=BB119_5 Depth=1
	v_add_u32_e32 v18, v1, v4
	v_ashrrev_i32_e32 v19, 31, v18
	v_lshl_add_u64 v[18:19], v[18:19], 3, s[16:17]
	global_load_dwordx2 v[18:19], v[18:19], off
.LBB119_13:                             ;   in Loop: Header=BB119_5 Depth=1
	s_or_b64 exec, exec, s[4:5]
	s_waitcnt vmcnt(0)
	v_xor_b32_e32 v5, 0x80000000, v9
	v_cmp_gt_f64_e32 vcc, 0, v[8:9]
	v_mov_b32_e32 v20, v8
	v_mov_b32_e32 v22, v18
	v_cndmask_b32_e32 v21, v9, v5, vcc
	v_xor_b32_e32 v5, 0x80000000, v19
	v_cmp_gt_f64_e32 vcc, 0, v[18:19]
	v_cmp_ne_u32_e64 s[4:5], s28, v4
	s_nop 0
	v_cndmask_b32_e32 v23, v19, v5, vcc
	v_cmp_lt_f64_e32 vcc, v[20:21], v[22:23]
	v_xor_b32_e32 v5, 0x80000000, v11
	v_mov_b32_e32 v22, v10
	v_cndmask_b32_e32 v21, v21, v23, vcc
	v_cndmask_b32_e32 v20, v8, v18, vcc
	v_cmp_gt_f64_e32 vcc, 0, v[10:11]
	s_nop 1
	v_cndmask_b32_e32 v23, v11, v5, vcc
	v_cmp_lt_f64_e32 vcc, v[22:23], v[20:21]
	v_xor_b32_e32 v5, 0x80000000, v13
	v_mov_b32_e32 v22, v12
	v_cndmask_b32_e32 v21, v23, v21, vcc
	v_cndmask_b32_e32 v20, v10, v20, vcc
	v_cmp_gt_f64_e32 vcc, 0, v[12:13]
	;; [unrolled: 8-line block ×4, first 2 shown]
	s_nop 1
	v_cndmask_b32_e32 v23, v7, v5, vcc
	v_mul_f64 v[22:23], v[22:23], v[20:21]
	v_mul_f64 v[20:21], v[12:13], v[8:9]
	v_xor_b32_e32 v5, 0x80000000, v21
	v_cmp_gt_f64_e32 vcc, 0, v[20:21]
	v_mov_b32_e32 v24, v20
	s_nop 0
	v_cndmask_b32_e32 v25, v21, v5, vcc
	v_mul_f64 v[24:25], v[24:25], s[22:23]
	v_cmp_nge_f64_e32 vcc, v[22:23], v[24:25]
	s_and_b64 s[4:5], s[4:5], vcc
	s_and_saveexec_b64 s[24:25], s[4:5]
	s_xor_b64 s[4:5], exec, s[24:25]
	s_cbranch_execz .LBB119_19
; %bb.14:                               ;   in Loop: Header=BB119_5 Depth=1
	v_add_u32_e32 v26, v36, v4
	v_ashrrev_i32_e32 v27, 31, v26
	v_lshlrev_b64 v[30:31], 3, v[26:27]
	v_ashrrev_i32_e32 v5, 31, v4
	v_lshl_add_u64 v[28:29], s[10:11], 0, v[30:31]
	v_lshl_add_u64 v[40:41], v[4:5], 3, v[2:3]
	global_load_dwordx2 v[24:25], v[28:29], off
	v_lshlrev_b64 v[42:43], 3, v[14:15]
	v_lshl_add_u64 v[30:31], s[12:13], 0, v[30:31]
	global_load_dwordx2 v[22:23], v[40:41], off
	global_load_dwordx2 v[32:33], v[30:31], off
	v_lshl_add_u64 v[44:45], s[12:13], 0, v[42:43]
	global_load_dwordx2 v[34:35], v[44:45], off
	v_fma_f64 v[20:21], v[6:7], v[10:11], -v[20:21]
	v_lshl_add_u64 v[48:49], v[14:15], 2, s[6:7]
	v_div_scale_f64 v[14:15], s[24:25], v[20:21], v[20:21], 1.0
	v_rcp_f64_e32 v[50:51], v[14:15]
	v_div_scale_f64 v[52:53], vcc, 1.0, v[20:21], 1.0
	v_mul_f64 v[46:47], v[16:17], -v[12:13]
	v_fma_f64 v[54:55], -v[14:15], v[50:51], 1.0
	v_fmac_f64_e32 v[50:51], v[50:51], v[54:55]
	v_fma_f64 v[54:55], -v[14:15], v[50:51], 1.0
	v_fmac_f64_e32 v[50:51], v[50:51], v[54:55]
	v_mul_f64 v[54:55], v[52:53], v[50:51]
	v_fma_f64 v[14:15], -v[14:15], v[54:55], v[52:53]
	v_div_fmas_f64 v[14:15], v[14:15], v[50:51], v[54:55]
	v_div_fixup_f64 v[14:15], v[14:15], v[20:21], 1.0
	v_lshl_add_u64 v[42:43], s[14:15], 0, v[42:43]
	v_mul_f64 v[20:21], v[14:15], v[46:47]
	global_store_dwordx2 v[42:43], v[20:21], off
	s_waitcnt vmcnt(4)
	v_mul_f64 v[20:21], v[12:13], v[24:25]
	s_waitcnt vmcnt(3)
	v_fma_f64 v[20:21], v[10:11], v[22:23], -v[20:21]
	s_waitcnt vmcnt(2)
	v_mul_f64 v[12:13], v[12:13], v[32:33]
	s_waitcnt vmcnt(1)
	v_fma_f64 v[10:11], v[10:11], v[34:35], -v[12:13]
	v_mul_f64 v[12:13], v[14:15], v[20:21]
	v_mul_f64 v[10:11], v[14:15], v[10:11]
	global_store_dwordx2 v[40:41], v[12:13], off
	global_store_dwordx2 v[44:45], v[10:11], off
	global_store_dword v[48:49], v37, off
	s_and_saveexec_b64 s[24:25], s[0:1]
	s_cbranch_execz .LBB119_16
; %bb.15:                               ;   in Loop: Header=BB119_5 Depth=1
	v_mul_f64 v[10:11], v[8:9], v[22:23]
	v_fma_f64 v[10:11], v[6:7], v[24:25], -v[10:11]
	v_mul_f64 v[10:11], v[14:15], v[10:11]
	global_store_dwordx2 v[28:29], v[10:11], off
	v_mul_f64 v[10:11], v[8:9], v[34:35]
	v_fma_f64 v[10:11], v[6:7], v[32:33], -v[10:11]
	v_mul_f64 v[10:11], v[14:15], v[10:11]
	global_store_dwordx2 v[30:31], v[10:11], off
	v_mul_f64 v[10:11], v[6:7], v[16:17]
	v_mul_f64 v[10:11], v[14:15], v[10:11]
	v_lshl_add_u64 v[12:13], v[26:27], 3, s[14:15]
	global_store_dwordx2 v[12:13], v[10:11], off
	v_lshl_add_u64 v[10:11], v[26:27], 2, s[6:7]
	global_store_dword v[10:11], v37, off
.LBB119_16:                             ;   in Loop: Header=BB119_5 Depth=1
	s_or_b64 exec, exec, s[24:25]
	v_mov_b64_e32 v[10:11], 0
	s_and_saveexec_b64 s[24:25], s[2:3]
	s_cbranch_execz .LBB119_18
; %bb.17:                               ;   in Loop: Header=BB119_5 Depth=1
	v_add_u32_e32 v10, v1, v4
	v_ashrrev_i32_e32 v11, 31, v10
	v_lshlrev_b64 v[10:11], 3, v[10:11]
	v_lshl_add_u64 v[12:13], s[10:11], 0, v[10:11]
	v_lshl_add_u64 v[10:11], s[18:19], 0, v[10:11]
	global_load_dwordx2 v[20:21], v[12:13], off
	v_mul_f64 v[6:7], v[6:7], v[18:19]
	global_load_dwordx2 v[10:11], v[10:11], off
	v_mul_f64 v[8:9], v[18:19], v[8:9]
	v_mul_f64 v[18:19], v[14:15], v[6:7]
	;; [unrolled: 1-line block ×5, first 2 shown]
	v_fma_f64 v[8:9], v[8:9], v[22:23], -v[16:17]
	s_waitcnt vmcnt(1)
	v_add_f64 v[8:9], v[8:9], v[20:21]
	global_store_dwordx2 v[12:13], v[8:9], off
	s_waitcnt vmcnt(1)
	v_fma_f64 v[10:11], -v[14:15], v[6:7], v[10:11]
.LBB119_18:                             ;   in Loop: Header=BB119_5 Depth=1
	s_or_b64 exec, exec, s[24:25]
	v_mov_b64_e32 v[6:7], v[10:11]
                                        ; implicit-def: $vgpr20_vgpr21
                                        ; implicit-def: $vgpr10_vgpr11
                                        ; implicit-def: $vgpr12_vgpr13
                                        ; implicit-def: $vgpr14_vgpr15
                                        ; implicit-def: $vgpr8_vgpr9
.LBB119_19:                             ;   in Loop: Header=BB119_5 Depth=1
	s_or_saveexec_b64 s[2:3], s[4:5]
	v_mov_b32_e32 v5, s30
	s_xor_b64 exec, exec, s[2:3]
	s_cbranch_execz .LBB119_4
; %bb.20:                               ;   in Loop: Header=BB119_5 Depth=1
	v_ashrrev_i32_e32 v5, 31, v4
	v_lshl_add_u64 v[18:19], v[4:5], 3, v[2:3]
	v_lshlrev_b64 v[22:23], 3, v[14:15]
	global_load_dwordx2 v[16:17], v[18:19], off
	v_lshl_add_u64 v[24:25], s[12:13], 0, v[22:23]
	global_load_dwordx2 v[26:27], v[24:25], off
	v_div_scale_f64 v[28:29], s[4:5], v[6:7], v[6:7], 1.0
	v_rcp_f64_e32 v[30:31], v[28:29]
	v_div_scale_f64 v[32:33], vcc, 1.0, v[6:7], 1.0
	v_lshl_add_u64 v[22:23], s[14:15], 0, v[22:23]
	v_fma_f64 v[34:35], -v[28:29], v[30:31], 1.0
	v_fmac_f64_e32 v[30:31], v[30:31], v[34:35]
	v_fma_f64 v[34:35], -v[28:29], v[30:31], 1.0
	v_fmac_f64_e32 v[30:31], v[30:31], v[34:35]
	v_mul_f64 v[34:35], v[32:33], v[30:31]
	v_fma_f64 v[28:29], -v[28:29], v[34:35], v[32:33]
	v_div_fmas_f64 v[28:29], v[28:29], v[30:31], v[34:35]
	v_div_fixup_f64 v[6:7], v[28:29], v[6:7], 1.0
	v_mul_f64 v[12:13], v[6:7], v[12:13]
	global_store_dwordx2 v[22:23], v[12:13], off
	v_lshl_add_u64 v[14:15], v[14:15], 2, s[6:7]
	s_waitcnt vmcnt(2)
	v_mul_f64 v[12:13], v[6:7], v[16:17]
	s_waitcnt vmcnt(1)
	v_mul_f64 v[22:23], v[6:7], v[26:27]
	global_store_dwordx2 v[18:19], v[12:13], off
	global_store_dwordx2 v[24:25], v[22:23], off
	global_store_dword v[14:15], v38, off
	s_and_saveexec_b64 s[4:5], s[0:1]
	s_cbranch_execz .LBB119_3
; %bb.21:                               ;   in Loop: Header=BB119_5 Depth=1
	v_add_u32_e32 v12, v36, v4
	v_ashrrev_i32_e32 v13, 31, v12
	v_lshl_add_u64 v[12:13], v[12:13], 3, s[10:11]
	global_load_dwordx2 v[14:15], v[12:13], off
	v_mul_f64 v[8:9], v[8:9], v[6:7]
	s_waitcnt vmcnt(0)
	v_fma_f64 v[8:9], -v[8:9], v[16:17], v[14:15]
	global_store_dwordx2 v[12:13], v[8:9], off
	s_branch .LBB119_3
.LBB119_22:
	s_or_b64 exec, exec, s[20:21]
.LBB119_23:
	v_subrev_u32_e32 v1, s26, v4
	v_add_u32_e32 v4, v1, v0
	v_ashrrev_i32_e32 v5, 31, v4
	s_waitcnt lgkmcnt(0)
	v_lshl_add_u64 v[4:5], v[4:5], 2, s[6:7]
	buffer_wbl2 sc1
	s_waitcnt vmcnt(0)
	buffer_inv sc1
	global_load_dword v4, v[4:5], off
	s_waitcnt vmcnt(0)
	v_mul_lo_u32 v4, v4, s26
	v_sub_u32_e32 v4, v1, v4
	v_cmp_lt_i32_e32 vcc, -1, v4
	s_and_b64 exec, exec, vcc
	s_cbranch_execz .LBB119_30
; %bb.24:
	v_subrev_u32_e32 v1, s26, v0
	s_lshl_b32 s4, s26, 1
	s_mov_b64 s[0:1], 0
	s_branch .LBB119_26
.LBB119_25:                             ;   in Loop: Header=BB119_26 Depth=1
	s_or_b64 exec, exec, s[2:3]
	v_sub_u32_e32 v4, v4, v5
	v_cmp_gt_i32_e32 vcc, 0, v4
	s_or_b64 s[0:1], vcc, s[0:1]
	s_andn2_b64 exec, exec, s[0:1]
	s_cbranch_execz .LBB119_30
.LBB119_26:                             ; =>This Inner Loop Header: Depth=1
	v_add_u32_e32 v8, v4, v0
	v_ashrrev_i32_e32 v9, 31, v8
	s_waitcnt vmcnt(0)
	v_lshl_add_u64 v[6:7], v[8:9], 2, s[6:7]
	global_load_dword v5, v[6:7], off
	v_lshl_add_u64 v[6:7], v[8:9], 3, s[14:15]
	global_load_dwordx2 v[6:7], v[6:7], off
	s_waitcnt vmcnt(1)
	v_cmp_ne_u32_e32 vcc, 1, v5
	s_and_saveexec_b64 s[2:3], vcc
	s_xor_b64 s[2:3], exec, s[2:3]
	s_cbranch_execz .LBB119_28
; %bb.27:                               ;   in Loop: Header=BB119_26 Depth=1
	v_add_u32_e32 v10, v36, v4
	v_ashrrev_i32_e32 v11, 31, v10
	v_lshlrev_b64 v[10:11], 3, v[10:11]
	v_lshl_add_u64 v[12:13], s[10:11], 0, v[10:11]
	v_ashrrev_i32_e32 v5, 31, v4
	v_lshl_add_u64 v[14:15], v[4:5], 3, v[2:3]
	global_load_dwordx2 v[16:17], v[12:13], off
	global_load_dwordx2 v[18:19], v[14:15], off
	v_lshl_add_u64 v[10:11], s[12:13], 0, v[10:11]
	v_lshl_add_u64 v[8:9], v[8:9], 3, s[12:13]
	global_load_dwordx2 v[20:21], v[10:11], off
	global_load_dwordx2 v[22:23], v[8:9], off
	v_add_u32_e32 v24, v1, v4
	v_ashrrev_i32_e32 v25, 31, v24
	v_lshlrev_b64 v[24:25], 3, v[24:25]
	v_lshl_add_u64 v[26:27], s[14:15], 0, v[24:25]
	global_load_dwordx2 v[26:27], v[26:27], off
	v_lshl_add_u64 v[28:29], s[10:11], 0, v[24:25]
	v_lshl_add_u64 v[24:25], s[12:13], 0, v[24:25]
	s_waitcnt vmcnt(3)
	v_fma_f64 v[16:17], -v[6:7], v[16:17], v[18:19]
	s_waitcnt vmcnt(1)
	v_fma_f64 v[6:7], -v[6:7], v[20:21], v[22:23]
	global_store_dwordx2 v[14:15], v[16:17], off
	global_store_dwordx2 v[8:9], v[6:7], off
	global_load_dwordx2 v[6:7], v[12:13], off
	s_nop 0
	global_load_dwordx2 v[8:9], v[28:29], off
	global_load_dwordx2 v[14:15], v[10:11], off
	;; [unrolled: 1-line block ×3, first 2 shown]
	s_waitcnt vmcnt(2)
	v_fma_f64 v[6:7], -v[26:27], v[6:7], v[8:9]
	s_waitcnt vmcnt(0)
	v_fma_f64 v[8:9], -v[26:27], v[14:15], v[16:17]
	global_store_dwordx2 v[28:29], v[6:7], off
	global_store_dwordx2 v[24:25], v[8:9], off
                                        ; implicit-def: $vgpr6_vgpr7
                                        ; implicit-def: $vgpr8_vgpr9
.LBB119_28:                             ;   in Loop: Header=BB119_26 Depth=1
	s_or_saveexec_b64 s[2:3], s[2:3]
	v_mov_b32_e32 v5, s4
	s_xor_b64 exec, exec, s[2:3]
	s_cbranch_execz .LBB119_25
; %bb.29:                               ;   in Loop: Header=BB119_26 Depth=1
	v_add_u32_e32 v10, v36, v4
	v_ashrrev_i32_e32 v11, 31, v10
	v_lshlrev_b64 v[10:11], 3, v[10:11]
	v_lshl_add_u64 v[12:13], s[10:11], 0, v[10:11]
	v_ashrrev_i32_e32 v5, 31, v4
	v_lshl_add_u64 v[14:15], v[4:5], 3, v[2:3]
	global_load_dwordx2 v[16:17], v[12:13], off
	global_load_dwordx2 v[18:19], v[14:15], off
	v_lshl_add_u64 v[10:11], s[12:13], 0, v[10:11]
	v_lshl_add_u64 v[8:9], v[8:9], 3, s[12:13]
	global_load_dwordx2 v[12:13], v[10:11], off
	global_load_dwordx2 v[20:21], v[8:9], off
	v_mov_b32_e32 v5, s26
	s_waitcnt vmcnt(2)
	v_fma_f64 v[10:11], -v[6:7], v[16:17], v[18:19]
	s_waitcnt vmcnt(0)
	v_fma_f64 v[6:7], -v[6:7], v[12:13], v[20:21]
	global_store_dwordx2 v[14:15], v[10:11], off
	global_store_dwordx2 v[8:9], v[6:7], off
	s_branch .LBB119_25
.LBB119_30:
	s_endpgm
	.section	.rodata,"a",@progbits
	.p2align	6, 0x0
	.amdhsa_kernel _ZN9rocsparseL18gtsv_LBM_wv_kernelILj256ELj8EdEEviiiPKT1_S3_S3_PS1_S4_S4_Pi
		.amdhsa_group_segment_fixed_size 0
		.amdhsa_private_segment_fixed_size 0
		.amdhsa_kernarg_size 72
		.amdhsa_user_sgpr_count 2
		.amdhsa_user_sgpr_dispatch_ptr 0
		.amdhsa_user_sgpr_queue_ptr 0
		.amdhsa_user_sgpr_kernarg_segment_ptr 1
		.amdhsa_user_sgpr_dispatch_id 0
		.amdhsa_user_sgpr_kernarg_preload_length 0
		.amdhsa_user_sgpr_kernarg_preload_offset 0
		.amdhsa_user_sgpr_private_segment_size 0
		.amdhsa_uses_dynamic_stack 0
		.amdhsa_enable_private_segment 0
		.amdhsa_system_sgpr_workgroup_id_x 1
		.amdhsa_system_sgpr_workgroup_id_y 0
		.amdhsa_system_sgpr_workgroup_id_z 0
		.amdhsa_system_sgpr_workgroup_info 0
		.amdhsa_system_vgpr_workitem_id 0
		.amdhsa_next_free_vgpr 56
		.amdhsa_next_free_sgpr 31
		.amdhsa_accum_offset 56
		.amdhsa_reserve_vcc 1
		.amdhsa_float_round_mode_32 0
		.amdhsa_float_round_mode_16_64 0
		.amdhsa_float_denorm_mode_32 3
		.amdhsa_float_denorm_mode_16_64 3
		.amdhsa_dx10_clamp 1
		.amdhsa_ieee_mode 1
		.amdhsa_fp16_overflow 0
		.amdhsa_tg_split 0
		.amdhsa_exception_fp_ieee_invalid_op 0
		.amdhsa_exception_fp_denorm_src 0
		.amdhsa_exception_fp_ieee_div_zero 0
		.amdhsa_exception_fp_ieee_overflow 0
		.amdhsa_exception_fp_ieee_underflow 0
		.amdhsa_exception_fp_ieee_inexact 0
		.amdhsa_exception_int_div_zero 0
	.end_amdhsa_kernel
	.section	.text._ZN9rocsparseL18gtsv_LBM_wv_kernelILj256ELj8EdEEviiiPKT1_S3_S3_PS1_S4_S4_Pi,"axG",@progbits,_ZN9rocsparseL18gtsv_LBM_wv_kernelILj256ELj8EdEEviiiPKT1_S3_S3_PS1_S4_S4_Pi,comdat
.Lfunc_end119:
	.size	_ZN9rocsparseL18gtsv_LBM_wv_kernelILj256ELj8EdEEviiiPKT1_S3_S3_PS1_S4_S4_Pi, .Lfunc_end119-_ZN9rocsparseL18gtsv_LBM_wv_kernelILj256ELj8EdEEviiiPKT1_S3_S3_PS1_S4_S4_Pi
                                        ; -- End function
	.set _ZN9rocsparseL18gtsv_LBM_wv_kernelILj256ELj8EdEEviiiPKT1_S3_S3_PS1_S4_S4_Pi.num_vgpr, 56
	.set _ZN9rocsparseL18gtsv_LBM_wv_kernelILj256ELj8EdEEviiiPKT1_S3_S3_PS1_S4_S4_Pi.num_agpr, 0
	.set _ZN9rocsparseL18gtsv_LBM_wv_kernelILj256ELj8EdEEviiiPKT1_S3_S3_PS1_S4_S4_Pi.numbered_sgpr, 31
	.set _ZN9rocsparseL18gtsv_LBM_wv_kernelILj256ELj8EdEEviiiPKT1_S3_S3_PS1_S4_S4_Pi.num_named_barrier, 0
	.set _ZN9rocsparseL18gtsv_LBM_wv_kernelILj256ELj8EdEEviiiPKT1_S3_S3_PS1_S4_S4_Pi.private_seg_size, 0
	.set _ZN9rocsparseL18gtsv_LBM_wv_kernelILj256ELj8EdEEviiiPKT1_S3_S3_PS1_S4_S4_Pi.uses_vcc, 1
	.set _ZN9rocsparseL18gtsv_LBM_wv_kernelILj256ELj8EdEEviiiPKT1_S3_S3_PS1_S4_S4_Pi.uses_flat_scratch, 0
	.set _ZN9rocsparseL18gtsv_LBM_wv_kernelILj256ELj8EdEEviiiPKT1_S3_S3_PS1_S4_S4_Pi.has_dyn_sized_stack, 0
	.set _ZN9rocsparseL18gtsv_LBM_wv_kernelILj256ELj8EdEEviiiPKT1_S3_S3_PS1_S4_S4_Pi.has_recursion, 0
	.set _ZN9rocsparseL18gtsv_LBM_wv_kernelILj256ELj8EdEEviiiPKT1_S3_S3_PS1_S4_S4_Pi.has_indirect_call, 0
	.section	.AMDGPU.csdata,"",@progbits
; Kernel info:
; codeLenInByte = 2220
; TotalNumSgprs: 37
; NumVgprs: 56
; NumAgprs: 0
; TotalNumVgprs: 56
; ScratchSize: 0
; MemoryBound: 1
; FloatMode: 240
; IeeeMode: 1
; LDSByteSize: 0 bytes/workgroup (compile time only)
; SGPRBlocks: 4
; VGPRBlocks: 6
; NumSGPRsForWavesPerEU: 37
; NumVGPRsForWavesPerEU: 56
; AccumOffset: 56
; Occupancy: 8
; WaveLimiterHint : 0
; COMPUTE_PGM_RSRC2:SCRATCH_EN: 0
; COMPUTE_PGM_RSRC2:USER_SGPR: 2
; COMPUTE_PGM_RSRC2:TRAP_HANDLER: 0
; COMPUTE_PGM_RSRC2:TGID_X_EN: 1
; COMPUTE_PGM_RSRC2:TGID_Y_EN: 0
; COMPUTE_PGM_RSRC2:TGID_Z_EN: 0
; COMPUTE_PGM_RSRC2:TIDIG_COMP_CNT: 0
; COMPUTE_PGM_RSRC3_GFX90A:ACCUM_OFFSET: 13
; COMPUTE_PGM_RSRC3_GFX90A:TG_SPLIT: 0
	.section	.text._ZN9rocsparseL19gtsv_LBM_rhs_kernelILj256ELj8ELj8EdEEviiiPKT2_S3_S3_PS1_S3_PKi,"axG",@progbits,_ZN9rocsparseL19gtsv_LBM_rhs_kernelILj256ELj8ELj8EdEEviiiPKT2_S3_S3_PS1_S3_PKi,comdat
	.globl	_ZN9rocsparseL19gtsv_LBM_rhs_kernelILj256ELj8ELj8EdEEviiiPKT2_S3_S3_PS1_S3_PKi ; -- Begin function _ZN9rocsparseL19gtsv_LBM_rhs_kernelILj256ELj8ELj8EdEEviiiPKT2_S3_S3_PS1_S3_PKi
	.p2align	8
	.type	_ZN9rocsparseL19gtsv_LBM_rhs_kernelILj256ELj8ELj8EdEEviiiPKT2_S3_S3_PS1_S3_PKi,@function
_ZN9rocsparseL19gtsv_LBM_rhs_kernelILj256ELj8ELj8EdEEviiiPKT2_S3_S3_PS1_S3_PKi: ; @_ZN9rocsparseL19gtsv_LBM_rhs_kernelILj256ELj8ELj8EdEEviiiPKT2_S3_S3_PS1_S3_PKi
; %bb.0:
	s_load_dword s23, s[0:1], 0x0
	v_lshl_or_b32 v0, s2, 8, v0
	s_waitcnt lgkmcnt(0)
	s_lshr_b32 s22, s23, 3
	v_cmp_gt_i32_e32 vcc, s22, v0
	s_and_saveexec_b64 s[4:5], vcc
	s_cbranch_execz .LBB120_29
; %bb.1:
	s_load_dwordx4 s[8:11], s[0:1], 0x28
	s_load_dwordx2 s[6:7], s[0:1], 0x38
	s_cmp_lt_i32 s23, 1
	v_add_u32_e32 v60, s22, v0
	s_mul_i32 s24, s3, s23
	s_cbranch_scc1 .LBB120_21
; %bb.2:
	s_load_dwordx4 s[12:15], s[0:1], 0x10
	s_load_dwordx2 s[16:17], s[0:1], 0x20
	v_ashrrev_i32_e32 v1, 31, v0
	s_lshl_b32 s28, s24, 3
	s_add_i32 s29, s28, s23
	s_waitcnt lgkmcnt(0)
	v_lshl_add_u64 v[2:3], v[0:1], 3, s[14:15]
	global_load_dwordx2 v[6:7], v[2:3], off
	s_add_i32 s30, s29, s23
	s_add_i32 s31, s30, s23
	;; [unrolled: 1-line block ×5, first 2 shown]
	s_mul_i32 s25, s22, 7
	s_mul_i32 s26, s22, 6
	s_lshl_b32 s27, s22, 1
	v_add_u32_e32 v1, s22, v60
	s_add_i32 s36, s35, s23
	v_mov_b32_e32 v3, 0
	s_mov_b64 s[18:19], 0
	v_mov_b32_e32 v61, 0
	s_branch .LBB120_5
.LBB120_3:                              ;   in Loop: Header=BB120_5 Depth=1
	s_or_b64 exec, exec, s[4:5]
	v_fma_f64 v[6:7], -v[6:7], v[22:23], v[8:9]
	v_mov_b32_e32 v2, s22
.LBB120_4:                              ;   in Loop: Header=BB120_5 Depth=1
	s_or_b64 exec, exec, s[2:3]
	v_add_u32_e32 v61, v2, v61
	v_cmp_le_i32_e32 vcc, s23, v61
	s_or_b64 s[18:19], vcc, s[18:19]
	s_andn2_b64 exec, exec, s[18:19]
	s_cbranch_execz .LBB120_20
.LBB120_5:                              ; =>This Inner Loop Header: Depth=1
	v_add_u32_e32 v16, v61, v0
	v_ashrrev_i32_e32 v17, 31, v16
	v_lshl_add_u64 v[4:5], v[16:17], 3, s[16:17]
	global_load_dwordx2 v[14:15], v[4:5], off
	v_cmp_gt_u32_e64 s[0:1], s25, v61
	v_mov_b64_e32 v[8:9], 0
	v_mov_b64_e32 v[4:5], 0
	s_and_saveexec_b64 s[2:3], s[0:1]
	s_cbranch_execz .LBB120_7
; %bb.6:                                ;   in Loop: Header=BB120_5 Depth=1
	v_add_u32_e32 v4, v60, v61
	v_ashrrev_i32_e32 v5, 31, v4
	v_lshl_add_u64 v[4:5], v[4:5], 3, s[12:13]
	global_load_dwordx2 v[4:5], v[4:5], off
.LBB120_7:                              ;   in Loop: Header=BB120_5 Depth=1
	s_or_b64 exec, exec, s[2:3]
	s_and_saveexec_b64 s[2:3], s[0:1]
	s_cbranch_execz .LBB120_9
; %bb.8:                                ;   in Loop: Header=BB120_5 Depth=1
	v_add_u32_e32 v8, v60, v61
	v_ashrrev_i32_e32 v9, 31, v8
	v_lshl_add_u64 v[8:9], v[8:9], 3, s[14:15]
	global_load_dwordx2 v[8:9], v[8:9], off
.LBB120_9:                              ;   in Loop: Header=BB120_5 Depth=1
	s_or_b64 exec, exec, s[2:3]
	v_mov_b64_e32 v[12:13], 0
	v_mov_b64_e32 v[10:11], 0
	s_and_saveexec_b64 s[2:3], s[0:1]
	s_cbranch_execz .LBB120_11
; %bb.10:                               ;   in Loop: Header=BB120_5 Depth=1
	v_add_u32_e32 v10, v60, v61
	v_ashrrev_i32_e32 v11, 31, v10
	v_lshl_add_u64 v[10:11], v[10:11], 3, s[16:17]
	global_load_dwordx2 v[10:11], v[10:11], off
.LBB120_11:                             ;   in Loop: Header=BB120_5 Depth=1
	s_or_b64 exec, exec, s[2:3]
	v_cmp_gt_u32_e64 s[2:3], s26, v61
	s_and_saveexec_b64 s[4:5], s[2:3]
	s_cbranch_execz .LBB120_13
; %bb.12:                               ;   in Loop: Header=BB120_5 Depth=1
	v_add_u32_e32 v12, v1, v61
	v_ashrrev_i32_e32 v13, 31, v12
	v_lshl_add_u64 v[12:13], v[12:13], 3, s[12:13]
	global_load_dwordx2 v[12:13], v[12:13], off
.LBB120_13:                             ;   in Loop: Header=BB120_5 Depth=1
	s_or_b64 exec, exec, s[4:5]
	v_add_u32_e32 v2, s28, v16
	v_lshl_add_u64 v[38:39], v[2:3], 3, s[8:9]
	v_add_u32_e32 v2, s29, v16
	v_lshl_add_u64 v[30:31], v[2:3], 3, s[8:9]
	;; [unrolled: 2-line block ×6, first 2 shown]
	v_lshl_add_u64 v[20:21], v[2:3], 3, s[8:9]
	v_add_u32_e32 v2, s35, v16
	global_load_dword v22, v[18:19], off
	v_lshl_add_u64 v[18:19], v[2:3], 3, s[8:9]
	v_add_u32_e32 v2, s36, v16
	global_load_dwordx2 v[50:51], v[38:39], off
	global_load_dwordx2 v[46:47], v[30:31], off
	global_load_dwordx2 v[42:43], v[28:29], off
	global_load_dwordx2 v[36:37], v[24:25], off
	v_lshl_add_u64 v[16:17], v[2:3], 3, s[8:9]
	global_load_dwordx2 v[44:45], v[26:27], off
	global_load_dwordx2 v[40:41], v[20:21], off
	global_load_dwordx2 v[34:35], v[18:19], off
	global_load_dwordx2 v[32:33], v[16:17], off
	v_cmp_ne_u32_e64 s[4:5], s25, v61
	s_waitcnt vmcnt(8)
	v_cmp_ne_u32_e32 vcc, 1, v22
	s_and_b64 s[4:5], s[4:5], vcc
	v_mul_f64 v[22:23], v[14:15], v[4:5]
	s_and_saveexec_b64 s[20:21], s[4:5]
	s_xor_b64 s[4:5], exec, s[20:21]
	s_cbranch_execz .LBB120_17
; %bb.14:                               ;   in Loop: Header=BB120_5 Depth=1
	v_add_u32_e32 v78, v60, v61
	v_add_u32_e32 v2, s28, v78
	v_fma_f64 v[22:23], v[6:7], v[8:9], -v[22:23]
	v_lshl_add_u64 v[48:49], v[2:3], 3, s[8:9]
	v_div_scale_f64 v[54:55], s[20:21], v[22:23], v[22:23], 1.0
	global_load_dwordx2 v[52:53], v[48:49], off
	v_rcp_f64_e32 v[58:59], v[54:55]
	v_add_u32_e32 v2, s29, v78
	v_lshl_add_u64 v[62:63], v[2:3], 3, s[8:9]
	v_add_u32_e32 v2, s30, v78
	global_load_dwordx2 v[66:67], v[62:63], off
	v_lshl_add_u64 v[64:65], v[2:3], 3, s[8:9]
	v_fma_f64 v[72:73], -v[54:55], v[58:59], 1.0
	global_load_dwordx2 v[70:71], v[64:65], off
	v_fmac_f64_e32 v[58:59], v[58:59], v[72:73]
	v_fma_f64 v[72:73], -v[54:55], v[58:59], 1.0
	v_div_scale_f64 v[56:57], vcc, 1.0, v[22:23], 1.0
	v_add_u32_e32 v2, s31, v78
	v_fmac_f64_e32 v[58:59], v[58:59], v[72:73]
	v_lshl_add_u64 v[68:69], v[2:3], 3, s[8:9]
	v_add_u32_e32 v2, s33, v78
	v_mul_f64 v[72:73], v[56:57], v[58:59]
	v_fma_f64 v[54:55], -v[54:55], v[72:73], v[56:57]
	v_lshl_add_u64 v[74:75], v[2:3], 3, s[8:9]
	v_add_u32_e32 v2, s34, v78
	v_div_fmas_f64 v[54:55], v[54:55], v[58:59], v[72:73]
	v_lshl_add_u64 v[72:73], v[2:3], 3, s[8:9]
	v_add_u32_e32 v2, s35, v78
	v_lshl_add_u64 v[76:77], v[2:3], 3, s[8:9]
	v_add_u32_e32 v2, s36, v78
	global_load_dwordx2 v[78:79], v[68:69], off
	global_load_dwordx2 v[80:81], v[74:75], off
	global_load_dwordx2 v[82:83], v[72:73], off
	global_load_dwordx2 v[84:85], v[76:77], off
	v_lshl_add_u64 v[86:87], v[2:3], 3, s[8:9]
	global_load_dwordx2 v[88:89], v[86:87], off
	v_div_fixup_f64 v[22:23], v[54:55], v[22:23], 1.0
	s_waitcnt vmcnt(15)
	v_mul_f64 v[50:51], v[22:23], v[50:51]
	s_waitcnt vmcnt(14)
	v_mul_f64 v[46:47], v[22:23], v[46:47]
	;; [unrolled: 2-line block ×4, first 2 shown]
	v_mul_f64 v[54:55], v[14:15], v[52:53]
	v_fma_f64 v[54:55], v[8:9], v[50:51], -v[54:55]
	global_store_dwordx2 v[38:39], v[54:55], off
	s_waitcnt vmcnt(7)
	v_mul_f64 v[54:55], v[22:23], v[66:67]
	v_mul_f64 v[38:39], v[14:15], v[54:55]
	v_fma_f64 v[38:39], v[8:9], v[46:47], -v[38:39]
	s_waitcnt vmcnt(6)
	v_mul_f64 v[58:59], v[22:23], v[70:71]
	global_store_dwordx2 v[30:31], v[38:39], off
	v_mul_f64 v[30:31], v[14:15], v[58:59]
	v_fma_f64 v[30:31], v[8:9], v[56:57], -v[30:31]
	global_store_dwordx2 v[28:29], v[30:31], off
	v_mul_f64 v[28:29], v[22:23], v[36:37]
	v_mul_f64 v[38:39], v[22:23], v[44:45]
	s_waitcnt vmcnt(7)
	v_mul_f64 v[30:31], v[22:23], v[78:79]
	v_mul_f64 v[36:37], v[14:15], v[30:31]
	v_fma_f64 v[36:37], v[8:9], v[28:29], -v[36:37]
	s_waitcnt vmcnt(6)
	v_mul_f64 v[42:43], v[22:23], v[80:81]
	global_store_dwordx2 v[24:25], v[36:37], off
	v_mul_f64 v[24:25], v[14:15], v[42:43]
	v_fma_f64 v[24:25], v[8:9], v[38:39], -v[24:25]
	s_waitcnt vmcnt(6)
	v_mul_f64 v[36:37], v[22:23], v[82:83]
	global_store_dwordx2 v[26:27], v[24:25], off
	v_mul_f64 v[26:27], v[22:23], v[40:41]
	v_mul_f64 v[24:25], v[14:15], v[36:37]
	v_fma_f64 v[24:25], v[8:9], v[26:27], -v[24:25]
	global_store_dwordx2 v[20:21], v[24:25], off
	v_mul_f64 v[20:21], v[22:23], v[32:33]
	s_waitcnt vmcnt(7)
	v_mul_f64 v[32:33], v[22:23], v[84:85]
	v_mul_f64 v[24:25], v[22:23], v[34:35]
	v_mul_f64 v[34:35], v[14:15], v[32:33]
	v_fma_f64 v[34:35], v[8:9], v[24:25], -v[34:35]
	global_store_dwordx2 v[18:19], v[34:35], off
	s_waitcnt vmcnt(7)
	v_mul_f64 v[18:19], v[22:23], v[88:89]
	v_mul_f64 v[14:15], v[14:15], v[18:19]
	v_fma_f64 v[8:9], v[8:9], v[20:21], -v[14:15]
	v_mul_f64 v[34:35], v[4:5], v[50:51]
	global_store_dwordx2 v[16:17], v[8:9], off
	v_mul_f64 v[8:9], v[4:5], v[28:29]
	v_mul_f64 v[40:41], v[4:5], v[46:47]
	;; [unrolled: 1-line block ×4, first 2 shown]
	v_fma_f64 v[34:35], v[6:7], v[52:53], -v[34:35]
	v_fma_f64 v[8:9], v[6:7], v[30:31], -v[8:9]
	;; [unrolled: 1-line block ×5, first 2 shown]
	global_store_dwordx2 v[48:49], v[34:35], off
	global_store_dwordx2 v[62:63], v[40:41], off
	;; [unrolled: 1-line block ×5, first 2 shown]
	v_mul_f64 v[8:9], v[4:5], v[26:27]
	v_fma_f64 v[8:9], v[6:7], v[36:37], -v[8:9]
	global_store_dwordx2 v[72:73], v[8:9], off
	v_mul_f64 v[8:9], v[4:5], v[24:25]
	v_fma_f64 v[8:9], v[6:7], v[32:33], -v[8:9]
	global_store_dwordx2 v[76:77], v[8:9], off
	;; [unrolled: 3-line block ×3, first 2 shown]
	v_mov_b64_e32 v[8:9], 0
	s_and_saveexec_b64 s[20:21], s[2:3]
	s_cbranch_execz .LBB120_16
; %bb.15:                               ;   in Loop: Header=BB120_5 Depth=1
	v_add_u32_e32 v8, v1, v61
	v_add_u32_e32 v2, s28, v8
	v_lshl_add_u64 v[14:15], v[2:3], 3, s[8:9]
	global_load_dwordx2 v[16:17], v[14:15], off
	v_mul_f64 v[6:7], v[6:7], v[12:13]
	v_mul_f64 v[4:5], v[4:5], v[12:13]
	;; [unrolled: 1-line block ×3, first 2 shown]
	v_add_u32_e32 v2, s29, v8
	v_fma_f64 v[12:13], v[4:5], v[50:51], -v[12:13]
	v_lshl_add_u64 v[34:35], v[2:3], 3, s[8:9]
	v_add_u32_e32 v2, s30, v8
	global_load_dwordx2 v[40:41], v[34:35], off
	v_lshl_add_u64 v[44:45], v[2:3], 3, s[8:9]
	v_add_u32_e32 v2, s31, v8
	v_ashrrev_i32_e32 v9, 31, v8
	s_waitcnt vmcnt(1)
	v_add_f64 v[12:13], v[12:13], v[16:17]
	global_store_dwordx2 v[14:15], v[12:13], off
	global_load_dwordx2 v[12:13], v[44:45], off
	v_mul_f64 v[14:15], v[6:7], v[54:55]
	v_fma_f64 v[14:15], v[4:5], v[46:47], -v[14:15]
	v_mul_f64 v[16:17], v[6:7], v[58:59]
	v_fma_f64 v[16:17], v[4:5], v[56:57], -v[16:17]
	v_lshl_add_u64 v[46:47], v[2:3], 3, s[8:9]
	s_waitcnt vmcnt(2)
	v_add_f64 v[14:15], v[14:15], v[40:41]
	global_store_dwordx2 v[34:35], v[14:15], off
	v_add_u32_e32 v2, s33, v8
	global_load_dwordx2 v[14:15], v[46:47], off
	v_lshl_add_u64 v[48:49], v[2:3], 3, s[8:9]
	v_add_u32_e32 v2, s34, v8
	s_waitcnt vmcnt(2)
	v_add_f64 v[12:13], v[16:17], v[12:13]
	global_store_dwordx2 v[44:45], v[12:13], off
	global_load_dwordx2 v[12:13], v[48:49], off
	v_mul_f64 v[16:17], v[6:7], v[30:31]
	v_mul_f64 v[30:31], v[6:7], v[42:43]
	v_fma_f64 v[16:17], v[4:5], v[28:29], -v[16:17]
	v_fma_f64 v[28:29], v[4:5], v[38:39], -v[30:31]
	v_lshl_add_u64 v[30:31], v[2:3], 3, s[8:9]
	v_add_u32_e32 v2, s35, v8
	s_waitcnt vmcnt(2)
	v_add_f64 v[14:15], v[16:17], v[14:15]
	global_store_dwordx2 v[46:47], v[14:15], off
	v_mul_f64 v[14:15], v[6:7], v[36:37]
	v_fma_f64 v[14:15], v[4:5], v[26:27], -v[14:15]
	v_lshl_add_u64 v[16:17], v[2:3], 3, s[8:9]
	v_add_u32_e32 v2, s36, v8
	v_lshl_add_u64 v[8:9], v[8:9], 3, s[14:15]
	global_load_dwordx2 v[8:9], v[8:9], off
	s_waitcnt vmcnt(2)
	v_add_f64 v[12:13], v[28:29], v[12:13]
	global_store_dwordx2 v[48:49], v[12:13], off
	global_load_dwordx2 v[12:13], v[30:31], off
	s_waitcnt vmcnt(0)
	v_add_f64 v[12:13], v[14:15], v[12:13]
	global_store_dwordx2 v[30:31], v[12:13], off
	global_load_dwordx2 v[12:13], v[16:17], off
	v_mul_f64 v[14:15], v[6:7], v[32:33]
	v_fma_f64 v[14:15], v[4:5], v[24:25], -v[14:15]
	v_lshl_add_u64 v[24:25], v[2:3], 3, s[8:9]
	s_waitcnt vmcnt(0)
	v_add_f64 v[12:13], v[14:15], v[12:13]
	global_store_dwordx2 v[16:17], v[12:13], off
	global_load_dwordx2 v[12:13], v[24:25], off
	v_mul_f64 v[14:15], v[6:7], v[18:19]
	v_mul_f64 v[6:7], v[10:11], v[6:7]
	v_fma_f64 v[4:5], v[4:5], v[20:21], -v[14:15]
	v_fma_f64 v[8:9], -v[22:23], v[6:7], v[8:9]
	s_waitcnt vmcnt(0)
	v_add_f64 v[4:5], v[4:5], v[12:13]
	global_store_dwordx2 v[24:25], v[4:5], off
.LBB120_16:                             ;   in Loop: Header=BB120_5 Depth=1
	s_or_b64 exec, exec, s[20:21]
	v_mov_b64_e32 v[6:7], v[8:9]
                                        ; implicit-def: $vgpr4_vgpr5
                                        ; implicit-def: $vgpr8_vgpr9
                                        ; implicit-def: $vgpr22_vgpr23
                                        ; implicit-def: $vgpr38_vgpr39
                                        ; implicit-def: $vgpr50_vgpr51
                                        ; implicit-def: $vgpr30_vgpr31
                                        ; implicit-def: $vgpr46_vgpr47
                                        ; implicit-def: $vgpr28_vgpr29
                                        ; implicit-def: $vgpr42_vgpr43
                                        ; implicit-def: $vgpr24_vgpr25
                                        ; implicit-def: $vgpr36_vgpr37
                                        ; implicit-def: $vgpr26_vgpr27
                                        ; implicit-def: $vgpr44_vgpr45
                                        ; implicit-def: $vgpr20_vgpr21
                                        ; implicit-def: $vgpr40_vgpr41
                                        ; implicit-def: $vgpr18_vgpr19
                                        ; implicit-def: $vgpr34_vgpr35
                                        ; implicit-def: $vgpr16_vgpr17
                                        ; implicit-def: $vgpr32_vgpr33
.LBB120_17:                             ;   in Loop: Header=BB120_5 Depth=1
	s_or_saveexec_b64 s[2:3], s[4:5]
	v_mov_b32_e32 v2, s27
	s_xor_b64 exec, exec, s[2:3]
	s_cbranch_execz .LBB120_4
; %bb.18:                               ;   in Loop: Header=BB120_5 Depth=1
	v_div_scale_f64 v[10:11], s[4:5], v[6:7], v[6:7], 1.0
	v_rcp_f64_e32 v[12:13], v[10:11]
	v_div_scale_f64 v[14:15], vcc, 1.0, v[6:7], 1.0
	v_fma_f64 v[48:49], -v[10:11], v[12:13], 1.0
	v_fmac_f64_e32 v[12:13], v[12:13], v[48:49]
	v_fma_f64 v[48:49], -v[10:11], v[12:13], 1.0
	v_fmac_f64_e32 v[12:13], v[12:13], v[48:49]
	v_mul_f64 v[48:49], v[14:15], v[12:13]
	v_fma_f64 v[10:11], -v[10:11], v[48:49], v[14:15]
	v_div_fmas_f64 v[10:11], v[10:11], v[12:13], v[48:49]
	v_div_fixup_f64 v[6:7], v[10:11], v[6:7], 1.0
	s_waitcnt vmcnt(7)
	v_mul_f64 v[50:51], v[6:7], v[50:51]
	s_waitcnt vmcnt(6)
	v_mul_f64 v[48:49], v[6:7], v[46:47]
	;; [unrolled: 2-line block ×8, first 2 shown]
	global_store_dwordx2 v[38:39], v[50:51], off
	global_store_dwordx2 v[30:31], v[48:49], off
	;; [unrolled: 1-line block ×8, first 2 shown]
	s_and_saveexec_b64 s[4:5], s[0:1]
	s_cbranch_execz .LBB120_3
; %bb.19:                               ;   in Loop: Header=BB120_5 Depth=1
	v_add_u32_e32 v30, v60, v61
	v_add_u32_e32 v2, s28, v30
	v_lshl_add_u64 v[16:17], v[2:3], 3, s[8:9]
	global_load_dwordx2 v[18:19], v[16:17], off
	v_add_u32_e32 v2, s29, v30
	v_lshl_add_u64 v[20:21], v[2:3], 3, s[8:9]
	v_add_u32_e32 v2, s30, v30
	global_load_dwordx2 v[24:25], v[20:21], off
	v_lshl_add_u64 v[26:27], v[2:3], 3, s[8:9]
	v_add_u32_e32 v2, s31, v30
	s_waitcnt vmcnt(1)
	v_fma_f64 v[18:19], -v[4:5], v[50:51], v[18:19]
	global_store_dwordx2 v[16:17], v[18:19], off
	global_load_dwordx2 v[16:17], v[26:27], off
	v_lshl_add_u64 v[18:19], v[2:3], 3, s[8:9]
	s_waitcnt vmcnt(2)
	v_fma_f64 v[24:25], -v[4:5], v[48:49], v[24:25]
	global_store_dwordx2 v[20:21], v[24:25], off
	v_add_u32_e32 v2, s33, v30
	global_load_dwordx2 v[20:21], v[18:19], off
	v_lshl_add_u64 v[28:29], v[2:3], 3, s[8:9]
	v_add_u32_e32 v2, s34, v30
	v_lshl_add_u64 v[24:25], v[2:3], 3, s[8:9]
	v_add_u32_e32 v2, s35, v30
	s_waitcnt vmcnt(2)
	v_fma_f64 v[16:17], -v[4:5], v[46:47], v[16:17]
	global_store_dwordx2 v[26:27], v[16:17], off
	global_load_dwordx2 v[16:17], v[28:29], off
	s_waitcnt vmcnt(2)
	v_fma_f64 v[20:21], -v[4:5], v[42:43], v[20:21]
	global_store_dwordx2 v[18:19], v[20:21], off
	v_lshl_add_u64 v[18:19], v[2:3], 3, s[8:9]
	v_add_u32_e32 v2, s36, v30
	s_waitcnt vmcnt(1)
	v_fma_f64 v[16:17], -v[4:5], v[36:37], v[16:17]
	global_store_dwordx2 v[28:29], v[16:17], off
	global_load_dwordx2 v[16:17], v[24:25], off
	s_waitcnt vmcnt(0)
	v_fma_f64 v[14:15], -v[4:5], v[14:15], v[16:17]
	global_store_dwordx2 v[24:25], v[14:15], off
	global_load_dwordx2 v[14:15], v[18:19], off
	s_waitcnt vmcnt(0)
	v_fma_f64 v[12:13], -v[4:5], v[12:13], v[14:15]
	global_store_dwordx2 v[18:19], v[12:13], off
	v_lshl_add_u64 v[12:13], v[2:3], 3, s[8:9]
	global_load_dwordx2 v[14:15], v[12:13], off
	s_waitcnt vmcnt(0)
	v_fma_f64 v[4:5], -v[4:5], v[10:11], v[14:15]
	global_store_dwordx2 v[12:13], v[4:5], off
	s_branch .LBB120_3
.LBB120_20:
	s_or_b64 exec, exec, s[18:19]
	s_branch .LBB120_22
.LBB120_21:
	v_mov_b32_e32 v61, 0
.LBB120_22:
	v_subrev_u32_e32 v1, s22, v61
	v_add_u32_e32 v2, v1, v0
	v_ashrrev_i32_e32 v3, 31, v2
	s_waitcnt lgkmcnt(0)
	v_lshl_add_u64 v[2:3], v[2:3], 2, s[6:7]
	buffer_wbl2 sc1
	s_waitcnt vmcnt(0)
	buffer_inv sc1
	global_load_dword v2, v[2:3], off
	s_waitcnt vmcnt(0)
	v_mul_lo_u32 v2, v2, s22
	v_sub_u32_e32 v1, v1, v2
	v_cmp_lt_i32_e32 vcc, -1, v1
	s_and_b64 exec, exec, vcc
	s_cbranch_execz .LBB120_29
; %bb.23:
	s_lshl_b32 s4, s24, 3
	s_add_i32 s5, s4, s23
	s_add_i32 s12, s5, s23
	;; [unrolled: 1-line block ×7, first 2 shown]
	s_lshl_b32 s18, s22, 1
	s_mov_b64 s[0:1], 0
	v_mov_b32_e32 v3, 0
	s_branch .LBB120_25
.LBB120_24:                             ;   in Loop: Header=BB120_25 Depth=1
	s_or_b64 exec, exec, s[2:3]
	v_sub_u32_e32 v1, v1, v2
	v_cmp_gt_i32_e32 vcc, 0, v1
	s_or_b64 s[0:1], vcc, s[0:1]
	s_andn2_b64 exec, exec, s[0:1]
	s_cbranch_execz .LBB120_29
.LBB120_25:                             ; =>This Inner Loop Header: Depth=1
	v_add_u32_e32 v6, v1, v0
	v_ashrrev_i32_e32 v7, 31, v6
	s_waitcnt vmcnt(0)
	v_lshl_add_u64 v[4:5], v[6:7], 2, s[6:7]
	global_load_dword v2, v[4:5], off
	v_lshl_add_u64 v[4:5], v[6:7], 3, s[10:11]
	global_load_dwordx2 v[4:5], v[4:5], off
	s_waitcnt vmcnt(1)
	v_cmp_ne_u32_e32 vcc, 1, v2
	s_and_saveexec_b64 s[2:3], vcc
	s_xor_b64 s[2:3], exec, s[2:3]
	s_cbranch_execz .LBB120_27
; %bb.26:                               ;   in Loop: Header=BB120_25 Depth=1
	v_add_u32_e32 v7, v60, v1
	v_add_u32_e32 v2, s4, v7
	v_lshl_add_u64 v[8:9], v[2:3], 3, s[8:9]
	v_add_u32_e32 v2, s5, v7
	v_lshl_add_u64 v[10:11], v[2:3], 3, s[8:9]
	;; [unrolled: 2-line block ×9, first 2 shown]
	global_load_dwordx2 v[26:27], v[24:25], off
	global_load_dwordx2 v[28:29], v[8:9], off
	;; [unrolled: 1-line block ×9, first 2 shown]
	v_add_u32_e32 v2, s5, v6
	v_lshl_add_u64 v[8:9], v[2:3], 3, s[8:9]
	v_add_u32_e32 v2, s12, v6
	v_lshl_add_u64 v[12:13], v[2:3], 3, s[8:9]
	v_add_u32_e32 v2, s13, v6
	s_waitcnt vmcnt(7)
	v_fma_f64 v[10:11], -v[4:5], v[28:29], v[26:27]
	global_store_dwordx2 v[24:25], v[10:11], off
	global_load_dwordx2 v[10:11], v[8:9], off
	s_waitcnt vmcnt(0)
	v_fma_f64 v[10:11], -v[4:5], v[30:31], v[10:11]
	global_store_dwordx2 v[8:9], v[10:11], off
	global_load_dwordx2 v[8:9], v[12:13], off
	v_lshl_add_u64 v[10:11], v[2:3], 3, s[8:9]
	v_add_u32_e32 v2, s14, v6
	s_waitcnt vmcnt(0)
	v_fma_f64 v[8:9], -v[4:5], v[32:33], v[8:9]
	global_store_dwordx2 v[12:13], v[8:9], off
	global_load_dwordx2 v[8:9], v[10:11], off
	v_lshl_add_u64 v[12:13], v[2:3], 3, s[8:9]
	v_add_u32_e32 v2, s15, v6
	s_waitcnt vmcnt(0)
	v_fma_f64 v[8:9], -v[4:5], v[34:35], v[8:9]
	global_store_dwordx2 v[10:11], v[8:9], off
	global_load_dwordx2 v[8:9], v[12:13], off
	v_lshl_add_u64 v[10:11], v[2:3], 3, s[8:9]
	v_add_u32_e32 v2, s16, v6
	s_waitcnt vmcnt(0)
	v_fma_f64 v[8:9], -v[4:5], v[36:37], v[8:9]
	global_store_dwordx2 v[12:13], v[8:9], off
	global_load_dwordx2 v[8:9], v[10:11], off
	v_lshl_add_u64 v[12:13], v[2:3], 3, s[8:9]
	v_add_u32_e32 v2, s17, v6
	v_lshl_add_u64 v[6:7], v[2:3], 3, s[8:9]
	v_subrev_u32_e32 v2, s22, v1
	s_waitcnt vmcnt(0)
	v_fma_f64 v[8:9], -v[4:5], v[38:39], v[8:9]
	global_store_dwordx2 v[10:11], v[8:9], off
	global_load_dwordx2 v[8:9], v[12:13], off
	v_add_u32_e32 v10, v2, v0
	v_ashrrev_i32_e32 v11, 31, v10
	v_add_u32_e32 v2, s4, v10
	v_lshl_add_u64 v[14:15], v[2:3], 3, s[8:9]
	v_add_u32_e32 v2, s5, v10
	s_waitcnt vmcnt(0)
	v_fma_f64 v[8:9], -v[4:5], v[40:41], v[8:9]
	global_store_dwordx2 v[12:13], v[8:9], off
	global_load_dwordx2 v[8:9], v[6:7], off
	v_lshl_add_u64 v[12:13], v[10:11], 3, s[10:11]
	global_load_dwordx2 v[12:13], v[12:13], off
	s_waitcnt vmcnt(1)
	v_fma_f64 v[4:5], -v[4:5], v[42:43], v[8:9]
	global_store_dwordx2 v[6:7], v[4:5], off
	global_load_dwordx2 v[4:5], v[14:15], off
	v_lshl_add_u64 v[6:7], v[2:3], 3, s[8:9]
	v_add_u32_e32 v2, s12, v10
	v_lshl_add_u64 v[8:9], v[2:3], 3, s[8:9]
	v_add_u32_e32 v2, s13, v10
	s_waitcnt vmcnt(0)
	v_fma_f64 v[4:5], -v[12:13], v[28:29], v[4:5]
	global_store_dwordx2 v[14:15], v[4:5], off
	global_load_dwordx2 v[4:5], v[6:7], off
	s_waitcnt vmcnt(0)
	v_fma_f64 v[4:5], -v[12:13], v[30:31], v[4:5]
	global_store_dwordx2 v[6:7], v[4:5], off
	global_load_dwordx2 v[4:5], v[8:9], off
	v_lshl_add_u64 v[6:7], v[2:3], 3, s[8:9]
	v_add_u32_e32 v2, s14, v10
	s_waitcnt vmcnt(0)
	v_fma_f64 v[4:5], -v[12:13], v[32:33], v[4:5]
	global_store_dwordx2 v[8:9], v[4:5], off
	global_load_dwordx2 v[4:5], v[6:7], off
	v_lshl_add_u64 v[8:9], v[2:3], 3, s[8:9]
	v_add_u32_e32 v2, s15, v10
	;; [unrolled: 6-line block ×4, first 2 shown]
	s_waitcnt vmcnt(0)
	v_fma_f64 v[4:5], -v[12:13], v[38:39], v[4:5]
	global_store_dwordx2 v[6:7], v[4:5], off
	global_load_dwordx2 v[4:5], v[8:9], off
	s_waitcnt vmcnt(0)
	v_fma_f64 v[4:5], -v[12:13], v[40:41], v[4:5]
	global_store_dwordx2 v[8:9], v[4:5], off
	v_lshl_add_u64 v[4:5], v[2:3], 3, s[8:9]
	global_load_dwordx2 v[6:7], v[4:5], off
	s_waitcnt vmcnt(0)
	v_fma_f64 v[6:7], -v[12:13], v[42:43], v[6:7]
	global_store_dwordx2 v[4:5], v[6:7], off
                                        ; implicit-def: $vgpr6
                                        ; implicit-def: $vgpr4_vgpr5
.LBB120_27:                             ;   in Loop: Header=BB120_25 Depth=1
	s_or_saveexec_b64 s[2:3], s[2:3]
	v_mov_b32_e32 v2, s18
	s_xor_b64 exec, exec, s[2:3]
	s_cbranch_execz .LBB120_24
; %bb.28:                               ;   in Loop: Header=BB120_25 Depth=1
	v_add_u32_e32 v7, v60, v1
	v_add_u32_e32 v2, s4, v7
	v_lshl_add_u64 v[8:9], v[2:3], 3, s[8:9]
	v_add_u32_e32 v2, s4, v6
	v_lshl_add_u64 v[10:11], v[2:3], 3, s[8:9]
	global_load_dwordx2 v[12:13], v[8:9], off
	global_load_dwordx2 v[14:15], v[10:11], off
	v_add_u32_e32 v2, s5, v7
	v_lshl_add_u64 v[8:9], v[2:3], 3, s[8:9]
	v_add_u32_e32 v2, s5, v6
	v_lshl_add_u64 v[16:17], v[2:3], 3, s[8:9]
	v_add_u32_e32 v2, s12, v7
	s_waitcnt vmcnt(0)
	v_fma_f64 v[12:13], -v[4:5], v[12:13], v[14:15]
	global_store_dwordx2 v[10:11], v[12:13], off
	global_load_dwordx2 v[10:11], v[8:9], off
	s_nop 0
	global_load_dwordx2 v[12:13], v[16:17], off
	v_lshl_add_u64 v[8:9], v[2:3], 3, s[8:9]
	v_add_u32_e32 v2, s12, v6
	v_lshl_add_u64 v[14:15], v[2:3], 3, s[8:9]
	v_add_u32_e32 v2, s13, v7
	s_waitcnt vmcnt(0)
	v_fma_f64 v[10:11], -v[4:5], v[10:11], v[12:13]
	global_store_dwordx2 v[16:17], v[10:11], off
	global_load_dwordx2 v[10:11], v[8:9], off
	s_nop 0
	global_load_dwordx2 v[12:13], v[14:15], off
	;; [unrolled: 10-line block ×6, first 2 shown]
	v_lshl_add_u64 v[8:9], v[2:3], 3, s[8:9]
	v_add_u32_e32 v2, s17, v6
	v_lshl_add_u64 v[6:7], v[2:3], 3, s[8:9]
	v_mov_b32_e32 v2, s22
	s_waitcnt vmcnt(0)
	v_fma_f64 v[10:11], -v[4:5], v[10:11], v[12:13]
	global_store_dwordx2 v[14:15], v[10:11], off
	global_load_dwordx2 v[10:11], v[8:9], off
	s_nop 0
	global_load_dwordx2 v[12:13], v[6:7], off
	s_waitcnt vmcnt(0)
	v_fma_f64 v[4:5], -v[4:5], v[10:11], v[12:13]
	global_store_dwordx2 v[6:7], v[4:5], off
	s_branch .LBB120_24
.LBB120_29:
	s_endpgm
	.section	.rodata,"a",@progbits
	.p2align	6, 0x0
	.amdhsa_kernel _ZN9rocsparseL19gtsv_LBM_rhs_kernelILj256ELj8ELj8EdEEviiiPKT2_S3_S3_PS1_S3_PKi
		.amdhsa_group_segment_fixed_size 0
		.amdhsa_private_segment_fixed_size 0
		.amdhsa_kernarg_size 64
		.amdhsa_user_sgpr_count 2
		.amdhsa_user_sgpr_dispatch_ptr 0
		.amdhsa_user_sgpr_queue_ptr 0
		.amdhsa_user_sgpr_kernarg_segment_ptr 1
		.amdhsa_user_sgpr_dispatch_id 0
		.amdhsa_user_sgpr_kernarg_preload_length 0
		.amdhsa_user_sgpr_kernarg_preload_offset 0
		.amdhsa_user_sgpr_private_segment_size 0
		.amdhsa_uses_dynamic_stack 0
		.amdhsa_enable_private_segment 0
		.amdhsa_system_sgpr_workgroup_id_x 1
		.amdhsa_system_sgpr_workgroup_id_y 1
		.amdhsa_system_sgpr_workgroup_id_z 0
		.amdhsa_system_sgpr_workgroup_info 0
		.amdhsa_system_vgpr_workitem_id 0
		.amdhsa_next_free_vgpr 90
		.amdhsa_next_free_sgpr 37
		.amdhsa_accum_offset 92
		.amdhsa_reserve_vcc 1
		.amdhsa_float_round_mode_32 0
		.amdhsa_float_round_mode_16_64 0
		.amdhsa_float_denorm_mode_32 3
		.amdhsa_float_denorm_mode_16_64 3
		.amdhsa_dx10_clamp 1
		.amdhsa_ieee_mode 1
		.amdhsa_fp16_overflow 0
		.amdhsa_tg_split 0
		.amdhsa_exception_fp_ieee_invalid_op 0
		.amdhsa_exception_fp_denorm_src 0
		.amdhsa_exception_fp_ieee_div_zero 0
		.amdhsa_exception_fp_ieee_overflow 0
		.amdhsa_exception_fp_ieee_underflow 0
		.amdhsa_exception_fp_ieee_inexact 0
		.amdhsa_exception_int_div_zero 0
	.end_amdhsa_kernel
	.section	.text._ZN9rocsparseL19gtsv_LBM_rhs_kernelILj256ELj8ELj8EdEEviiiPKT2_S3_S3_PS1_S3_PKi,"axG",@progbits,_ZN9rocsparseL19gtsv_LBM_rhs_kernelILj256ELj8ELj8EdEEviiiPKT2_S3_S3_PS1_S3_PKi,comdat
.Lfunc_end120:
	.size	_ZN9rocsparseL19gtsv_LBM_rhs_kernelILj256ELj8ELj8EdEEviiiPKT2_S3_S3_PS1_S3_PKi, .Lfunc_end120-_ZN9rocsparseL19gtsv_LBM_rhs_kernelILj256ELj8ELj8EdEEviiiPKT2_S3_S3_PS1_S3_PKi
                                        ; -- End function
	.set _ZN9rocsparseL19gtsv_LBM_rhs_kernelILj256ELj8ELj8EdEEviiiPKT2_S3_S3_PS1_S3_PKi.num_vgpr, 90
	.set _ZN9rocsparseL19gtsv_LBM_rhs_kernelILj256ELj8ELj8EdEEviiiPKT2_S3_S3_PS1_S3_PKi.num_agpr, 0
	.set _ZN9rocsparseL19gtsv_LBM_rhs_kernelILj256ELj8ELj8EdEEviiiPKT2_S3_S3_PS1_S3_PKi.numbered_sgpr, 37
	.set _ZN9rocsparseL19gtsv_LBM_rhs_kernelILj256ELj8ELj8EdEEviiiPKT2_S3_S3_PS1_S3_PKi.num_named_barrier, 0
	.set _ZN9rocsparseL19gtsv_LBM_rhs_kernelILj256ELj8ELj8EdEEviiiPKT2_S3_S3_PS1_S3_PKi.private_seg_size, 0
	.set _ZN9rocsparseL19gtsv_LBM_rhs_kernelILj256ELj8ELj8EdEEviiiPKT2_S3_S3_PS1_S3_PKi.uses_vcc, 1
	.set _ZN9rocsparseL19gtsv_LBM_rhs_kernelILj256ELj8ELj8EdEEviiiPKT2_S3_S3_PS1_S3_PKi.uses_flat_scratch, 0
	.set _ZN9rocsparseL19gtsv_LBM_rhs_kernelILj256ELj8ELj8EdEEviiiPKT2_S3_S3_PS1_S3_PKi.has_dyn_sized_stack, 0
	.set _ZN9rocsparseL19gtsv_LBM_rhs_kernelILj256ELj8ELj8EdEEviiiPKT2_S3_S3_PS1_S3_PKi.has_recursion, 0
	.set _ZN9rocsparseL19gtsv_LBM_rhs_kernelILj256ELj8ELj8EdEEviiiPKT2_S3_S3_PS1_S3_PKi.has_indirect_call, 0
	.section	.AMDGPU.csdata,"",@progbits
; Kernel info:
; codeLenInByte = 4144
; TotalNumSgprs: 43
; NumVgprs: 90
; NumAgprs: 0
; TotalNumVgprs: 90
; ScratchSize: 0
; MemoryBound: 0
; FloatMode: 240
; IeeeMode: 1
; LDSByteSize: 0 bytes/workgroup (compile time only)
; SGPRBlocks: 5
; VGPRBlocks: 11
; NumSGPRsForWavesPerEU: 43
; NumVGPRsForWavesPerEU: 90
; AccumOffset: 92
; Occupancy: 5
; WaveLimiterHint : 0
; COMPUTE_PGM_RSRC2:SCRATCH_EN: 0
; COMPUTE_PGM_RSRC2:USER_SGPR: 2
; COMPUTE_PGM_RSRC2:TRAP_HANDLER: 0
; COMPUTE_PGM_RSRC2:TGID_X_EN: 1
; COMPUTE_PGM_RSRC2:TGID_Y_EN: 1
; COMPUTE_PGM_RSRC2:TGID_Z_EN: 0
; COMPUTE_PGM_RSRC2:TIDIG_COMP_CNT: 0
; COMPUTE_PGM_RSRC3_GFX90A:ACCUM_OFFSET: 22
; COMPUTE_PGM_RSRC3_GFX90A:TG_SPLIT: 0
	.section	.text._ZN9rocsparseL19gtsv_LBM_rhs_kernelILj256ELj8ELj4EdEEviiiPKT2_S3_S3_PS1_S3_PKi,"axG",@progbits,_ZN9rocsparseL19gtsv_LBM_rhs_kernelILj256ELj8ELj4EdEEviiiPKT2_S3_S3_PS1_S3_PKi,comdat
	.globl	_ZN9rocsparseL19gtsv_LBM_rhs_kernelILj256ELj8ELj4EdEEviiiPKT2_S3_S3_PS1_S3_PKi ; -- Begin function _ZN9rocsparseL19gtsv_LBM_rhs_kernelILj256ELj8ELj4EdEEviiiPKT2_S3_S3_PS1_S3_PKi
	.p2align	8
	.type	_ZN9rocsparseL19gtsv_LBM_rhs_kernelILj256ELj8ELj4EdEEviiiPKT2_S3_S3_PS1_S3_PKi,@function
_ZN9rocsparseL19gtsv_LBM_rhs_kernelILj256ELj8ELj4EdEEviiiPKT2_S3_S3_PS1_S3_PKi: ; @_ZN9rocsparseL19gtsv_LBM_rhs_kernelILj256ELj8ELj4EdEEviiiPKT2_S3_S3_PS1_S3_PKi
; %bb.0:
	s_load_dword s23, s[0:1], 0x0
	v_lshl_or_b32 v0, s2, 8, v0
	s_waitcnt lgkmcnt(0)
	s_lshr_b32 s22, s23, 3
	v_cmp_gt_i32_e32 vcc, s22, v0
	s_and_saveexec_b64 s[4:5], vcc
	s_cbranch_execz .LBB121_29
; %bb.1:
	s_load_dwordx4 s[8:11], s[0:1], 0x28
	s_load_dwordx2 s[6:7], s[0:1], 0x38
	s_cmp_lt_i32 s23, 1
	v_add_u32_e32 v42, s22, v0
	s_mul_i32 s24, s3, s23
	s_cbranch_scc1 .LBB121_21
; %bb.2:
	s_load_dwordx4 s[12:15], s[0:1], 0x10
	s_load_dwordx2 s[16:17], s[0:1], 0x20
	v_ashrrev_i32_e32 v1, 31, v0
	s_lshl_b32 s28, s24, 2
	s_add_i32 s29, s28, s23
	s_waitcnt lgkmcnt(0)
	v_lshl_add_u64 v[2:3], v[0:1], 3, s[14:15]
	global_load_dwordx2 v[4:5], v[2:3], off
	s_add_i32 s30, s29, s23
	s_mul_i32 s25, s22, 7
	s_mul_i32 s26, s22, 6
	s_lshl_b32 s27, s22, 1
	v_add_u32_e32 v43, s22, v42
	s_add_i32 s31, s30, s23
	v_mov_b32_e32 v3, 0
	s_mov_b64 s[18:19], 0
	v_mov_b32_e32 v1, 0
	s_branch .LBB121_5
.LBB121_3:                              ;   in Loop: Header=BB121_5 Depth=1
	s_or_b64 exec, exec, s[4:5]
	v_fma_f64 v[4:5], -v[4:5], v[14:15], v[8:9]
	v_mov_b32_e32 v2, s22
.LBB121_4:                              ;   in Loop: Header=BB121_5 Depth=1
	s_or_b64 exec, exec, s[2:3]
	v_add_u32_e32 v1, v2, v1
	v_cmp_le_i32_e32 vcc, s23, v1
	s_or_b64 s[18:19], vcc, s[18:19]
	s_andn2_b64 exec, exec, s[18:19]
	s_cbranch_execz .LBB121_20
.LBB121_5:                              ; =>This Inner Loop Header: Depth=1
	v_add_u32_e32 v14, v1, v0
	v_ashrrev_i32_e32 v15, 31, v14
	v_lshl_add_u64 v[6:7], v[14:15], 3, s[16:17]
	global_load_dwordx2 v[20:21], v[6:7], off
	v_cmp_gt_u32_e64 s[0:1], s25, v1
	v_mov_b64_e32 v[8:9], 0
	v_mov_b64_e32 v[6:7], 0
	s_and_saveexec_b64 s[2:3], s[0:1]
	s_cbranch_execz .LBB121_7
; %bb.6:                                ;   in Loop: Header=BB121_5 Depth=1
	v_add_u32_e32 v6, v42, v1
	v_ashrrev_i32_e32 v7, 31, v6
	v_lshl_add_u64 v[6:7], v[6:7], 3, s[12:13]
	global_load_dwordx2 v[6:7], v[6:7], off
.LBB121_7:                              ;   in Loop: Header=BB121_5 Depth=1
	s_or_b64 exec, exec, s[2:3]
	s_and_saveexec_b64 s[2:3], s[0:1]
	s_cbranch_execz .LBB121_9
; %bb.8:                                ;   in Loop: Header=BB121_5 Depth=1
	v_add_u32_e32 v8, v42, v1
	v_ashrrev_i32_e32 v9, 31, v8
	v_lshl_add_u64 v[8:9], v[8:9], 3, s[14:15]
	global_load_dwordx2 v[8:9], v[8:9], off
.LBB121_9:                              ;   in Loop: Header=BB121_5 Depth=1
	s_or_b64 exec, exec, s[2:3]
	v_mov_b64_e32 v[12:13], 0
	v_mov_b64_e32 v[10:11], 0
	s_and_saveexec_b64 s[2:3], s[0:1]
	s_cbranch_execz .LBB121_11
; %bb.10:                               ;   in Loop: Header=BB121_5 Depth=1
	v_add_u32_e32 v10, v42, v1
	v_ashrrev_i32_e32 v11, 31, v10
	v_lshl_add_u64 v[10:11], v[10:11], 3, s[16:17]
	global_load_dwordx2 v[10:11], v[10:11], off
.LBB121_11:                             ;   in Loop: Header=BB121_5 Depth=1
	s_or_b64 exec, exec, s[2:3]
	v_cmp_gt_u32_e64 s[2:3], s26, v1
	s_and_saveexec_b64 s[4:5], s[2:3]
	s_cbranch_execz .LBB121_13
; %bb.12:                               ;   in Loop: Header=BB121_5 Depth=1
	v_add_u32_e32 v12, v43, v1
	v_ashrrev_i32_e32 v13, 31, v12
	v_lshl_add_u64 v[12:13], v[12:13], 3, s[12:13]
	global_load_dwordx2 v[12:13], v[12:13], off
.LBB121_13:                             ;   in Loop: Header=BB121_5 Depth=1
	s_or_b64 exec, exec, s[4:5]
	v_add_u32_e32 v2, s28, v14
	v_lshl_add_u64 v[26:27], v[2:3], 3, s[8:9]
	v_add_u32_e32 v2, s29, v14
	v_lshl_add_u64 v[28:29], v[2:3], 3, s[8:9]
	v_add_u32_e32 v2, s30, v14
	s_waitcnt vmcnt(4)
	v_lshl_add_u64 v[16:17], v[14:15], 2, s[6:7]
	v_lshl_add_u64 v[30:31], v[2:3], 3, s[8:9]
	v_add_u32_e32 v2, s31, v14
	global_load_dword v15, v[16:17], off
	v_lshl_add_u64 v[34:35], v[2:3], 3, s[8:9]
	global_load_dwordx2 v[16:17], v[26:27], off
	global_load_dwordx2 v[18:19], v[28:29], off
	;; [unrolled: 1-line block ×4, first 2 shown]
	v_cmp_ne_u32_e64 s[4:5], s25, v1
	s_waitcnt vmcnt(4)
	v_cmp_ne_u32_e32 vcc, 1, v15
	s_and_b64 s[4:5], s[4:5], vcc
	v_mul_f64 v[14:15], v[20:21], v[6:7]
	s_and_saveexec_b64 s[20:21], s[4:5]
	s_xor_b64 s[4:5], exec, s[20:21]
	s_cbranch_execz .LBB121_17
; %bb.14:                               ;   in Loop: Header=BB121_5 Depth=1
	v_fma_f64 v[14:15], v[4:5], v[8:9], -v[14:15]
	v_div_scale_f64 v[22:23], s[20:21], v[14:15], v[14:15], 1.0
	v_rcp_f64_e32 v[24:25], v[22:23]
	s_nop 0
	v_fma_f64 v[38:39], -v[22:23], v[24:25], 1.0
	v_fmac_f64_e32 v[24:25], v[24:25], v[38:39]
	v_fma_f64 v[38:39], -v[22:23], v[24:25], 1.0
	v_fmac_f64_e32 v[24:25], v[24:25], v[38:39]
	v_div_scale_f64 v[38:39], vcc, 1.0, v[14:15], 1.0
	v_mul_f64 v[40:41], v[38:39], v[24:25]
	v_fma_f64 v[22:23], -v[22:23], v[40:41], v[38:39]
	s_nop 1
	v_div_fmas_f64 v[22:23], v[22:23], v[24:25], v[40:41]
	v_div_fixup_f64 v[14:15], v[22:23], v[14:15], 1.0
	s_waitcnt vmcnt(2)
	v_mul_f64 v[24:25], v[14:15], v[18:19]
	s_waitcnt vmcnt(0)
	v_mul_f64 v[18:19], v[14:15], v[36:37]
	v_add_u32_e32 v36, v42, v1
	v_add_u32_e32 v2, s28, v36
	v_lshl_add_u64 v[44:45], v[2:3], 3, s[8:9]
	v_mul_f64 v[22:23], v[14:15], v[16:17]
	v_mul_f64 v[16:17], v[14:15], v[32:33]
	global_load_dwordx2 v[32:33], v[44:45], off
	v_add_u32_e32 v2, s29, v36
	v_lshl_add_u64 v[46:47], v[2:3], 3, s[8:9]
	v_add_u32_e32 v2, s30, v36
	v_lshl_add_u64 v[48:49], v[2:3], 3, s[8:9]
	;; [unrolled: 2-line block ×3, first 2 shown]
	global_load_dwordx2 v[36:37], v[50:51], off
	s_waitcnt vmcnt(1)
	v_mul_f64 v[38:39], v[14:15], v[32:33]
	global_load_dwordx2 v[32:33], v[46:47], off
	v_mul_f64 v[52:53], v[20:21], v[38:39]
	v_fma_f64 v[52:53], v[8:9], v[22:23], -v[52:53]
	s_waitcnt vmcnt(1)
	v_mul_f64 v[36:37], v[14:15], v[36:37]
	s_waitcnt vmcnt(0)
	v_mul_f64 v[40:41], v[14:15], v[32:33]
	global_load_dwordx2 v[32:33], v[48:49], off
	s_waitcnt vmcnt(0)
	v_mul_f64 v[32:33], v[14:15], v[32:33]
	global_store_dwordx2 v[26:27], v[52:53], off
	v_mul_f64 v[26:27], v[20:21], v[40:41]
	v_fma_f64 v[26:27], v[8:9], v[24:25], -v[26:27]
	global_store_dwordx2 v[28:29], v[26:27], off
	v_mul_f64 v[26:27], v[20:21], v[32:33]
	v_mul_f64 v[20:21], v[20:21], v[36:37]
	v_fma_f64 v[26:27], v[8:9], v[16:17], -v[26:27]
	v_fma_f64 v[8:9], v[8:9], v[18:19], -v[20:21]
	global_store_dwordx2 v[30:31], v[26:27], off
	global_store_dwordx2 v[34:35], v[8:9], off
	v_mul_f64 v[8:9], v[6:7], v[22:23]
	v_fma_f64 v[8:9], v[4:5], v[38:39], -v[8:9]
	global_store_dwordx2 v[44:45], v[8:9], off
	v_mul_f64 v[8:9], v[6:7], v[24:25]
	v_fma_f64 v[8:9], v[4:5], v[40:41], -v[8:9]
	;; [unrolled: 3-line block ×4, first 2 shown]
	global_store_dwordx2 v[50:51], v[8:9], off
	v_mov_b64_e32 v[8:9], 0
	s_and_saveexec_b64 s[20:21], s[2:3]
	s_cbranch_execz .LBB121_16
; %bb.15:                               ;   in Loop: Header=BB121_5 Depth=1
	v_add_u32_e32 v8, v43, v1
	v_add_u32_e32 v2, s28, v8
	v_lshl_add_u64 v[20:21], v[2:3], 3, s[8:9]
	v_add_u32_e32 v2, s29, v8
	global_load_dwordx2 v[26:27], v[20:21], off
	v_lshl_add_u64 v[28:29], v[2:3], 3, s[8:9]
	global_load_dwordx2 v[30:31], v[28:29], off
	v_mul_f64 v[4:5], v[4:5], v[12:13]
	v_mul_f64 v[6:7], v[6:7], v[12:13]
	;; [unrolled: 1-line block ×4, first 2 shown]
	v_fma_f64 v[12:13], v[6:7], v[22:23], -v[12:13]
	v_fma_f64 v[22:23], v[6:7], v[24:25], -v[34:35]
	v_add_u32_e32 v2, s30, v8
	v_ashrrev_i32_e32 v9, 31, v8
	v_lshl_add_u64 v[24:25], v[2:3], 3, s[8:9]
	v_add_u32_e32 v2, s31, v8
	v_lshl_add_u64 v[34:35], v[2:3], 3, s[8:9]
	v_lshl_add_u64 v[8:9], v[8:9], 3, s[14:15]
	global_load_dwordx2 v[8:9], v[8:9], off
	s_waitcnt vmcnt(2)
	v_add_f64 v[12:13], v[12:13], v[26:27]
	global_store_dwordx2 v[20:21], v[12:13], off
	s_waitcnt vmcnt(2)
	v_add_f64 v[12:13], v[22:23], v[30:31]
	global_store_dwordx2 v[28:29], v[12:13], off
	global_load_dwordx2 v[20:21], v[24:25], off
	v_mul_f64 v[22:23], v[4:5], v[32:33]
	global_load_dwordx2 v[12:13], v[34:35], off
	v_mul_f64 v[26:27], v[4:5], v[36:37]
	v_mul_f64 v[4:5], v[10:11], v[4:5]
	v_fma_f64 v[10:11], v[6:7], v[16:17], -v[22:23]
	v_fma_f64 v[6:7], v[6:7], v[18:19], -v[26:27]
	s_waitcnt vmcnt(4)
	v_fma_f64 v[8:9], -v[14:15], v[4:5], v[8:9]
	s_waitcnt vmcnt(1)
	v_add_f64 v[10:11], v[10:11], v[20:21]
	global_store_dwordx2 v[24:25], v[10:11], off
	s_waitcnt vmcnt(1)
	v_add_f64 v[6:7], v[6:7], v[12:13]
	global_store_dwordx2 v[34:35], v[6:7], off
.LBB121_16:                             ;   in Loop: Header=BB121_5 Depth=1
	s_or_b64 exec, exec, s[20:21]
	v_mov_b64_e32 v[4:5], v[8:9]
                                        ; implicit-def: $vgpr6_vgpr7
                                        ; implicit-def: $vgpr8_vgpr9
                                        ; implicit-def: $vgpr14_vgpr15
                                        ; implicit-def: $vgpr26_vgpr27
                                        ; implicit-def: $vgpr16_vgpr17
                                        ; implicit-def: $vgpr28_vgpr29
                                        ; implicit-def: $vgpr18_vgpr19
                                        ; implicit-def: $vgpr30_vgpr31
                                        ; implicit-def: $vgpr32_vgpr33
                                        ; implicit-def: $vgpr34_vgpr35
                                        ; implicit-def: $vgpr36_vgpr37
.LBB121_17:                             ;   in Loop: Header=BB121_5 Depth=1
	s_or_saveexec_b64 s[2:3], s[4:5]
	v_mov_b32_e32 v2, s27
	s_xor_b64 exec, exec, s[2:3]
	s_cbranch_execz .LBB121_4
; %bb.18:                               ;   in Loop: Header=BB121_5 Depth=1
	v_div_scale_f64 v[10:11], s[4:5], v[4:5], v[4:5], 1.0
	v_rcp_f64_e32 v[12:13], v[10:11]
	v_div_scale_f64 v[20:21], vcc, 1.0, v[4:5], 1.0
	v_fma_f64 v[22:23], -v[10:11], v[12:13], 1.0
	v_fmac_f64_e32 v[12:13], v[12:13], v[22:23]
	v_fma_f64 v[22:23], -v[10:11], v[12:13], 1.0
	v_fmac_f64_e32 v[12:13], v[12:13], v[22:23]
	v_mul_f64 v[22:23], v[20:21], v[12:13]
	v_fma_f64 v[10:11], -v[10:11], v[22:23], v[20:21]
	v_div_fmas_f64 v[10:11], v[10:11], v[12:13], v[22:23]
	v_div_fixup_f64 v[4:5], v[10:11], v[4:5], 1.0
	s_waitcnt vmcnt(3)
	v_mul_f64 v[20:21], v[4:5], v[16:17]
	s_waitcnt vmcnt(2)
	v_mul_f64 v[16:17], v[4:5], v[18:19]
	s_waitcnt vmcnt(1)
	v_mul_f64 v[12:13], v[4:5], v[32:33]
	s_waitcnt vmcnt(0)
	v_mul_f64 v[10:11], v[4:5], v[36:37]
	global_store_dwordx2 v[26:27], v[20:21], off
	global_store_dwordx2 v[28:29], v[16:17], off
	;; [unrolled: 1-line block ×4, first 2 shown]
	s_and_saveexec_b64 s[4:5], s[0:1]
	s_cbranch_execz .LBB121_3
; %bb.19:                               ;   in Loop: Header=BB121_5 Depth=1
	v_add_u32_e32 v30, v42, v1
	v_add_u32_e32 v2, s28, v30
	v_lshl_add_u64 v[18:19], v[2:3], 3, s[8:9]
	v_add_u32_e32 v2, s29, v30
	v_lshl_add_u64 v[24:25], v[2:3], 3, s[8:9]
	global_load_dwordx2 v[22:23], v[18:19], off
	global_load_dwordx2 v[26:27], v[24:25], off
	v_add_u32_e32 v2, s30, v30
	v_lshl_add_u64 v[28:29], v[2:3], 3, s[8:9]
	v_add_u32_e32 v2, s31, v30
	v_lshl_add_u64 v[30:31], v[2:3], 3, s[8:9]
	s_waitcnt vmcnt(1)
	v_fma_f64 v[20:21], -v[6:7], v[20:21], v[22:23]
	s_waitcnt vmcnt(0)
	v_fma_f64 v[16:17], -v[6:7], v[16:17], v[26:27]
	global_store_dwordx2 v[18:19], v[20:21], off
	global_store_dwordx2 v[24:25], v[16:17], off
	global_load_dwordx2 v[18:19], v[28:29], off
	s_nop 0
	global_load_dwordx2 v[16:17], v[30:31], off
	s_waitcnt vmcnt(1)
	v_fma_f64 v[12:13], -v[6:7], v[12:13], v[18:19]
	global_store_dwordx2 v[28:29], v[12:13], off
	s_waitcnt vmcnt(1)
	v_fma_f64 v[6:7], -v[6:7], v[10:11], v[16:17]
	global_store_dwordx2 v[30:31], v[6:7], off
	s_branch .LBB121_3
.LBB121_20:
	s_or_b64 exec, exec, s[18:19]
	s_branch .LBB121_22
.LBB121_21:
	v_mov_b32_e32 v1, 0
.LBB121_22:
	v_subrev_u32_e32 v1, s22, v1
	v_add_u32_e32 v2, v1, v0
	v_ashrrev_i32_e32 v3, 31, v2
	s_waitcnt lgkmcnt(0)
	v_lshl_add_u64 v[2:3], v[2:3], 2, s[6:7]
	buffer_wbl2 sc1
	s_waitcnt vmcnt(0)
	buffer_inv sc1
	global_load_dword v2, v[2:3], off
	s_waitcnt vmcnt(0)
	v_mul_lo_u32 v2, v2, s22
	v_sub_u32_e32 v1, v1, v2
	v_cmp_lt_i32_e32 vcc, -1, v1
	s_and_b64 exec, exec, vcc
	s_cbranch_execz .LBB121_29
; %bb.23:
	s_lshl_b32 s4, s24, 2
	s_add_i32 s5, s4, s23
	s_add_i32 s12, s5, s23
	;; [unrolled: 1-line block ×3, first 2 shown]
	s_lshl_b32 s14, s22, 1
	s_mov_b64 s[0:1], 0
	v_mov_b32_e32 v3, 0
	s_branch .LBB121_25
.LBB121_24:                             ;   in Loop: Header=BB121_25 Depth=1
	s_or_b64 exec, exec, s[2:3]
	v_sub_u32_e32 v1, v1, v2
	v_cmp_gt_i32_e32 vcc, 0, v1
	s_or_b64 s[0:1], vcc, s[0:1]
	s_andn2_b64 exec, exec, s[0:1]
	s_cbranch_execz .LBB121_29
.LBB121_25:                             ; =>This Inner Loop Header: Depth=1
	v_add_u32_e32 v6, v1, v0
	v_ashrrev_i32_e32 v7, 31, v6
	s_waitcnt vmcnt(0)
	v_lshl_add_u64 v[4:5], v[6:7], 2, s[6:7]
	global_load_dword v2, v[4:5], off
	v_lshl_add_u64 v[4:5], v[6:7], 3, s[10:11]
	global_load_dwordx2 v[4:5], v[4:5], off
	s_waitcnt vmcnt(1)
	v_cmp_ne_u32_e32 vcc, 1, v2
	s_and_saveexec_b64 s[2:3], vcc
	s_xor_b64 s[2:3], exec, s[2:3]
	s_cbranch_execz .LBB121_27
; %bb.26:                               ;   in Loop: Header=BB121_25 Depth=1
	v_add_u32_e32 v7, v42, v1
	v_add_u32_e32 v2, s4, v7
	v_lshl_add_u64 v[8:9], v[2:3], 3, s[8:9]
	v_add_u32_e32 v2, s5, v7
	v_lshl_add_u64 v[10:11], v[2:3], 3, s[8:9]
	;; [unrolled: 2-line block ×5, first 2 shown]
	global_load_dwordx2 v[18:19], v[16:17], off
	global_load_dwordx2 v[20:21], v[8:9], off
	;; [unrolled: 1-line block ×5, first 2 shown]
	v_add_u32_e32 v2, s5, v6
	v_lshl_add_u64 v[8:9], v[2:3], 3, s[8:9]
	v_add_u32_e32 v2, s12, v6
	v_lshl_add_u64 v[12:13], v[2:3], 3, s[8:9]
	;; [unrolled: 2-line block ×3, first 2 shown]
	v_subrev_u32_e32 v2, s22, v1
	s_waitcnt vmcnt(3)
	v_fma_f64 v[10:11], -v[4:5], v[20:21], v[18:19]
	global_store_dwordx2 v[16:17], v[10:11], off
	global_load_dwordx2 v[10:11], v[8:9], off
	s_waitcnt vmcnt(0)
	v_fma_f64 v[10:11], -v[4:5], v[22:23], v[10:11]
	global_store_dwordx2 v[8:9], v[10:11], off
	global_load_dwordx2 v[8:9], v[12:13], off
	v_add_u32_e32 v10, v2, v0
	v_ashrrev_i32_e32 v11, 31, v10
	v_add_u32_e32 v2, s4, v10
	v_lshl_add_u64 v[14:15], v[2:3], 3, s[8:9]
	v_add_u32_e32 v2, s5, v10
	s_waitcnt vmcnt(0)
	v_fma_f64 v[8:9], -v[4:5], v[24:25], v[8:9]
	global_store_dwordx2 v[12:13], v[8:9], off
	global_load_dwordx2 v[8:9], v[6:7], off
	v_lshl_add_u64 v[12:13], v[10:11], 3, s[10:11]
	global_load_dwordx2 v[12:13], v[12:13], off
	s_waitcnt vmcnt(1)
	v_fma_f64 v[4:5], -v[4:5], v[26:27], v[8:9]
	global_store_dwordx2 v[6:7], v[4:5], off
	global_load_dwordx2 v[4:5], v[14:15], off
	v_lshl_add_u64 v[6:7], v[2:3], 3, s[8:9]
	v_add_u32_e32 v2, s12, v10
	v_lshl_add_u64 v[8:9], v[2:3], 3, s[8:9]
	v_add_u32_e32 v2, s13, v10
	s_waitcnt vmcnt(0)
	v_fma_f64 v[4:5], -v[12:13], v[20:21], v[4:5]
	global_store_dwordx2 v[14:15], v[4:5], off
	global_load_dwordx2 v[4:5], v[6:7], off
	s_waitcnt vmcnt(0)
	v_fma_f64 v[4:5], -v[12:13], v[22:23], v[4:5]
	global_store_dwordx2 v[6:7], v[4:5], off
	global_load_dwordx2 v[4:5], v[8:9], off
	s_waitcnt vmcnt(0)
	v_fma_f64 v[4:5], -v[12:13], v[24:25], v[4:5]
	global_store_dwordx2 v[8:9], v[4:5], off
	v_lshl_add_u64 v[4:5], v[2:3], 3, s[8:9]
	global_load_dwordx2 v[6:7], v[4:5], off
	s_waitcnt vmcnt(0)
	v_fma_f64 v[6:7], -v[12:13], v[26:27], v[6:7]
	global_store_dwordx2 v[4:5], v[6:7], off
                                        ; implicit-def: $vgpr6
                                        ; implicit-def: $vgpr4_vgpr5
.LBB121_27:                             ;   in Loop: Header=BB121_25 Depth=1
	s_or_saveexec_b64 s[2:3], s[2:3]
	v_mov_b32_e32 v2, s14
	s_xor_b64 exec, exec, s[2:3]
	s_cbranch_execz .LBB121_24
; %bb.28:                               ;   in Loop: Header=BB121_25 Depth=1
	v_add_u32_e32 v7, v42, v1
	v_add_u32_e32 v2, s4, v7
	v_lshl_add_u64 v[8:9], v[2:3], 3, s[8:9]
	v_add_u32_e32 v2, s4, v6
	v_lshl_add_u64 v[10:11], v[2:3], 3, s[8:9]
	global_load_dwordx2 v[12:13], v[8:9], off
	global_load_dwordx2 v[14:15], v[10:11], off
	v_add_u32_e32 v2, s5, v7
	v_lshl_add_u64 v[8:9], v[2:3], 3, s[8:9]
	v_add_u32_e32 v2, s5, v6
	v_lshl_add_u64 v[16:17], v[2:3], 3, s[8:9]
	v_add_u32_e32 v2, s12, v7
	s_waitcnt vmcnt(0)
	v_fma_f64 v[12:13], -v[4:5], v[12:13], v[14:15]
	global_store_dwordx2 v[10:11], v[12:13], off
	global_load_dwordx2 v[10:11], v[8:9], off
	s_nop 0
	global_load_dwordx2 v[12:13], v[16:17], off
	v_lshl_add_u64 v[8:9], v[2:3], 3, s[8:9]
	v_add_u32_e32 v2, s12, v6
	v_lshl_add_u64 v[14:15], v[2:3], 3, s[8:9]
	v_add_u32_e32 v2, s13, v7
	s_waitcnt vmcnt(0)
	v_fma_f64 v[10:11], -v[4:5], v[10:11], v[12:13]
	global_store_dwordx2 v[16:17], v[10:11], off
	global_load_dwordx2 v[10:11], v[8:9], off
	s_nop 0
	global_load_dwordx2 v[12:13], v[14:15], off
	v_lshl_add_u64 v[8:9], v[2:3], 3, s[8:9]
	v_add_u32_e32 v2, s13, v6
	v_lshl_add_u64 v[6:7], v[2:3], 3, s[8:9]
	v_mov_b32_e32 v2, s22
	s_waitcnt vmcnt(0)
	v_fma_f64 v[10:11], -v[4:5], v[10:11], v[12:13]
	global_store_dwordx2 v[14:15], v[10:11], off
	global_load_dwordx2 v[10:11], v[8:9], off
	s_nop 0
	global_load_dwordx2 v[12:13], v[6:7], off
	s_waitcnt vmcnt(0)
	v_fma_f64 v[4:5], -v[4:5], v[10:11], v[12:13]
	global_store_dwordx2 v[6:7], v[4:5], off
	s_branch .LBB121_24
.LBB121_29:
	s_endpgm
	.section	.rodata,"a",@progbits
	.p2align	6, 0x0
	.amdhsa_kernel _ZN9rocsparseL19gtsv_LBM_rhs_kernelILj256ELj8ELj4EdEEviiiPKT2_S3_S3_PS1_S3_PKi
		.amdhsa_group_segment_fixed_size 0
		.amdhsa_private_segment_fixed_size 0
		.amdhsa_kernarg_size 64
		.amdhsa_user_sgpr_count 2
		.amdhsa_user_sgpr_dispatch_ptr 0
		.amdhsa_user_sgpr_queue_ptr 0
		.amdhsa_user_sgpr_kernarg_segment_ptr 1
		.amdhsa_user_sgpr_dispatch_id 0
		.amdhsa_user_sgpr_kernarg_preload_length 0
		.amdhsa_user_sgpr_kernarg_preload_offset 0
		.amdhsa_user_sgpr_private_segment_size 0
		.amdhsa_uses_dynamic_stack 0
		.amdhsa_enable_private_segment 0
		.amdhsa_system_sgpr_workgroup_id_x 1
		.amdhsa_system_sgpr_workgroup_id_y 1
		.amdhsa_system_sgpr_workgroup_id_z 0
		.amdhsa_system_sgpr_workgroup_info 0
		.amdhsa_system_vgpr_workitem_id 0
		.amdhsa_next_free_vgpr 54
		.amdhsa_next_free_sgpr 32
		.amdhsa_accum_offset 56
		.amdhsa_reserve_vcc 1
		.amdhsa_float_round_mode_32 0
		.amdhsa_float_round_mode_16_64 0
		.amdhsa_float_denorm_mode_32 3
		.amdhsa_float_denorm_mode_16_64 3
		.amdhsa_dx10_clamp 1
		.amdhsa_ieee_mode 1
		.amdhsa_fp16_overflow 0
		.amdhsa_tg_split 0
		.amdhsa_exception_fp_ieee_invalid_op 0
		.amdhsa_exception_fp_denorm_src 0
		.amdhsa_exception_fp_ieee_div_zero 0
		.amdhsa_exception_fp_ieee_overflow 0
		.amdhsa_exception_fp_ieee_underflow 0
		.amdhsa_exception_fp_ieee_inexact 0
		.amdhsa_exception_int_div_zero 0
	.end_amdhsa_kernel
	.section	.text._ZN9rocsparseL19gtsv_LBM_rhs_kernelILj256ELj8ELj4EdEEviiiPKT2_S3_S3_PS1_S3_PKi,"axG",@progbits,_ZN9rocsparseL19gtsv_LBM_rhs_kernelILj256ELj8ELj4EdEEviiiPKT2_S3_S3_PS1_S3_PKi,comdat
.Lfunc_end121:
	.size	_ZN9rocsparseL19gtsv_LBM_rhs_kernelILj256ELj8ELj4EdEEviiiPKT2_S3_S3_PS1_S3_PKi, .Lfunc_end121-_ZN9rocsparseL19gtsv_LBM_rhs_kernelILj256ELj8ELj4EdEEviiiPKT2_S3_S3_PS1_S3_PKi
                                        ; -- End function
	.set _ZN9rocsparseL19gtsv_LBM_rhs_kernelILj256ELj8ELj4EdEEviiiPKT2_S3_S3_PS1_S3_PKi.num_vgpr, 54
	.set _ZN9rocsparseL19gtsv_LBM_rhs_kernelILj256ELj8ELj4EdEEviiiPKT2_S3_S3_PS1_S3_PKi.num_agpr, 0
	.set _ZN9rocsparseL19gtsv_LBM_rhs_kernelILj256ELj8ELj4EdEEviiiPKT2_S3_S3_PS1_S3_PKi.numbered_sgpr, 32
	.set _ZN9rocsparseL19gtsv_LBM_rhs_kernelILj256ELj8ELj4EdEEviiiPKT2_S3_S3_PS1_S3_PKi.num_named_barrier, 0
	.set _ZN9rocsparseL19gtsv_LBM_rhs_kernelILj256ELj8ELj4EdEEviiiPKT2_S3_S3_PS1_S3_PKi.private_seg_size, 0
	.set _ZN9rocsparseL19gtsv_LBM_rhs_kernelILj256ELj8ELj4EdEEviiiPKT2_S3_S3_PS1_S3_PKi.uses_vcc, 1
	.set _ZN9rocsparseL19gtsv_LBM_rhs_kernelILj256ELj8ELj4EdEEviiiPKT2_S3_S3_PS1_S3_PKi.uses_flat_scratch, 0
	.set _ZN9rocsparseL19gtsv_LBM_rhs_kernelILj256ELj8ELj4EdEEviiiPKT2_S3_S3_PS1_S3_PKi.has_dyn_sized_stack, 0
	.set _ZN9rocsparseL19gtsv_LBM_rhs_kernelILj256ELj8ELj4EdEEviiiPKT2_S3_S3_PS1_S3_PKi.has_recursion, 0
	.set _ZN9rocsparseL19gtsv_LBM_rhs_kernelILj256ELj8ELj4EdEEviiiPKT2_S3_S3_PS1_S3_PKi.has_indirect_call, 0
	.section	.AMDGPU.csdata,"",@progbits
; Kernel info:
; codeLenInByte = 2576
; TotalNumSgprs: 38
; NumVgprs: 54
; NumAgprs: 0
; TotalNumVgprs: 54
; ScratchSize: 0
; MemoryBound: 0
; FloatMode: 240
; IeeeMode: 1
; LDSByteSize: 0 bytes/workgroup (compile time only)
; SGPRBlocks: 4
; VGPRBlocks: 6
; NumSGPRsForWavesPerEU: 38
; NumVGPRsForWavesPerEU: 54
; AccumOffset: 56
; Occupancy: 8
; WaveLimiterHint : 0
; COMPUTE_PGM_RSRC2:SCRATCH_EN: 0
; COMPUTE_PGM_RSRC2:USER_SGPR: 2
; COMPUTE_PGM_RSRC2:TRAP_HANDLER: 0
; COMPUTE_PGM_RSRC2:TGID_X_EN: 1
; COMPUTE_PGM_RSRC2:TGID_Y_EN: 1
; COMPUTE_PGM_RSRC2:TGID_Z_EN: 0
; COMPUTE_PGM_RSRC2:TIDIG_COMP_CNT: 0
; COMPUTE_PGM_RSRC3_GFX90A:ACCUM_OFFSET: 13
; COMPUTE_PGM_RSRC3_GFX90A:TG_SPLIT: 0
	.section	.text._ZN9rocsparseL19gtsv_LBM_rhs_kernelILj256ELj8ELj2EdEEviiiPKT2_S3_S3_PS1_S3_PKi,"axG",@progbits,_ZN9rocsparseL19gtsv_LBM_rhs_kernelILj256ELj8ELj2EdEEviiiPKT2_S3_S3_PS1_S3_PKi,comdat
	.globl	_ZN9rocsparseL19gtsv_LBM_rhs_kernelILj256ELj8ELj2EdEEviiiPKT2_S3_S3_PS1_S3_PKi ; -- Begin function _ZN9rocsparseL19gtsv_LBM_rhs_kernelILj256ELj8ELj2EdEEviiiPKT2_S3_S3_PS1_S3_PKi
	.p2align	8
	.type	_ZN9rocsparseL19gtsv_LBM_rhs_kernelILj256ELj8ELj2EdEEviiiPKT2_S3_S3_PS1_S3_PKi,@function
_ZN9rocsparseL19gtsv_LBM_rhs_kernelILj256ELj8ELj2EdEEviiiPKT2_S3_S3_PS1_S3_PKi: ; @_ZN9rocsparseL19gtsv_LBM_rhs_kernelILj256ELj8ELj2EdEEviiiPKT2_S3_S3_PS1_S3_PKi
; %bb.0:
	s_load_dword s23, s[0:1], 0x0
	v_lshl_or_b32 v0, s2, 8, v0
	s_waitcnt lgkmcnt(0)
	s_lshr_b32 s22, s23, 3
	v_cmp_gt_i32_e32 vcc, s22, v0
	s_and_saveexec_b64 s[4:5], vcc
	s_cbranch_execz .LBB122_29
; %bb.1:
	s_load_dwordx4 s[8:11], s[0:1], 0x28
	s_load_dwordx2 s[6:7], s[0:1], 0x38
	s_cmp_lt_i32 s23, 1
	v_add_u32_e32 v30, s22, v0
	s_mul_i32 s24, s3, s23
	s_cbranch_scc1 .LBB122_21
; %bb.2:
	s_load_dwordx4 s[12:15], s[0:1], 0x10
	s_load_dwordx2 s[16:17], s[0:1], 0x20
	v_ashrrev_i32_e32 v1, 31, v0
	s_lshl_b32 s28, s24, 1
	s_mul_i32 s25, s22, 7
	s_waitcnt lgkmcnt(0)
	v_lshl_add_u64 v[2:3], v[0:1], 3, s[14:15]
	global_load_dwordx2 v[4:5], v[2:3], off
	s_mul_i32 s26, s22, 6
	s_lshl_b32 s27, s22, 1
	v_add_u32_e32 v31, s22, v30
	s_add_i32 s29, s28, s23
	v_mov_b32_e32 v3, 0
	s_mov_b64 s[18:19], 0
	v_mov_b32_e32 v1, 0
	s_branch .LBB122_5
.LBB122_3:                              ;   in Loop: Header=BB122_5 Depth=1
	s_or_b64 exec, exec, s[4:5]
	v_fma_f64 v[4:5], -v[4:5], v[20:21], v[8:9]
	v_mov_b32_e32 v2, s22
.LBB122_4:                              ;   in Loop: Header=BB122_5 Depth=1
	s_or_b64 exec, exec, s[2:3]
	v_add_u32_e32 v1, v2, v1
	v_cmp_le_i32_e32 vcc, s23, v1
	s_or_b64 s[18:19], vcc, s[18:19]
	s_andn2_b64 exec, exec, s[18:19]
	s_cbranch_execz .LBB122_20
.LBB122_5:                              ; =>This Inner Loop Header: Depth=1
	v_add_u32_e32 v18, v1, v0
	v_ashrrev_i32_e32 v19, 31, v18
	v_lshl_add_u64 v[6:7], v[18:19], 3, s[16:17]
	global_load_dwordx2 v[12:13], v[6:7], off
	v_cmp_gt_u32_e64 s[0:1], s25, v1
	v_mov_b64_e32 v[8:9], 0
	v_mov_b64_e32 v[6:7], 0
	s_and_saveexec_b64 s[2:3], s[0:1]
	s_cbranch_execz .LBB122_7
; %bb.6:                                ;   in Loop: Header=BB122_5 Depth=1
	v_add_u32_e32 v6, v30, v1
	v_ashrrev_i32_e32 v7, 31, v6
	v_lshl_add_u64 v[6:7], v[6:7], 3, s[12:13]
	global_load_dwordx2 v[6:7], v[6:7], off
.LBB122_7:                              ;   in Loop: Header=BB122_5 Depth=1
	s_or_b64 exec, exec, s[2:3]
	s_and_saveexec_b64 s[2:3], s[0:1]
	s_cbranch_execz .LBB122_9
; %bb.8:                                ;   in Loop: Header=BB122_5 Depth=1
	v_add_u32_e32 v8, v30, v1
	v_ashrrev_i32_e32 v9, 31, v8
	v_lshl_add_u64 v[8:9], v[8:9], 3, s[14:15]
	global_load_dwordx2 v[8:9], v[8:9], off
.LBB122_9:                              ;   in Loop: Header=BB122_5 Depth=1
	s_or_b64 exec, exec, s[2:3]
	v_mov_b64_e32 v[14:15], 0
	v_mov_b64_e32 v[10:11], 0
	s_and_saveexec_b64 s[2:3], s[0:1]
	s_cbranch_execz .LBB122_11
; %bb.10:                               ;   in Loop: Header=BB122_5 Depth=1
	v_add_u32_e32 v10, v30, v1
	v_ashrrev_i32_e32 v11, 31, v10
	v_lshl_add_u64 v[10:11], v[10:11], 3, s[16:17]
	global_load_dwordx2 v[10:11], v[10:11], off
.LBB122_11:                             ;   in Loop: Header=BB122_5 Depth=1
	s_or_b64 exec, exec, s[2:3]
	v_cmp_gt_u32_e64 s[2:3], s26, v1
	s_and_saveexec_b64 s[4:5], s[2:3]
	s_cbranch_execz .LBB122_13
; %bb.12:                               ;   in Loop: Header=BB122_5 Depth=1
	v_add_u32_e32 v14, v31, v1
	v_ashrrev_i32_e32 v15, 31, v14
	v_lshl_add_u64 v[14:15], v[14:15], 3, s[12:13]
	global_load_dwordx2 v[14:15], v[14:15], off
.LBB122_13:                             ;   in Loop: Header=BB122_5 Depth=1
	s_or_b64 exec, exec, s[4:5]
	v_lshl_add_u64 v[16:17], v[18:19], 2, s[6:7]
	global_load_dword v20, v[16:17], off
	v_add_u32_e32 v2, s28, v18
	v_lshl_add_u64 v[16:17], v[2:3], 3, s[8:9]
	v_add_u32_e32 v2, s29, v18
	v_lshl_add_u64 v[18:19], v[2:3], 3, s[8:9]
	global_load_dwordx2 v[22:23], v[16:17], off
	global_load_dwordx2 v[24:25], v[18:19], off
	v_cmp_ne_u32_e32 vcc, s25, v1
	s_waitcnt vmcnt(2)
	v_cmp_ne_u32_e64 s[4:5], 1, v20
	s_and_b64 s[4:5], vcc, s[4:5]
	v_mul_f64 v[20:21], v[12:13], v[6:7]
	s_and_saveexec_b64 s[20:21], s[4:5]
	s_xor_b64 s[4:5], exec, s[20:21]
	s_cbranch_execz .LBB122_17
; %bb.14:                               ;   in Loop: Header=BB122_5 Depth=1
	v_add_u32_e32 v26, v30, v1
	v_add_u32_e32 v2, s28, v26
	v_lshl_add_u64 v[32:33], v[2:3], 3, s[8:9]
	v_add_u32_e32 v2, s29, v26
	v_lshl_add_u64 v[34:35], v[2:3], 3, s[8:9]
	global_load_dwordx2 v[26:27], v[32:33], off
	global_load_dwordx2 v[28:29], v[34:35], off
	v_fma_f64 v[20:21], v[4:5], v[8:9], -v[20:21]
	v_div_scale_f64 v[36:37], s[20:21], v[20:21], v[20:21], 1.0
	v_rcp_f64_e32 v[38:39], v[36:37]
	v_div_scale_f64 v[40:41], vcc, 1.0, v[20:21], 1.0
	v_fma_f64 v[42:43], -v[36:37], v[38:39], 1.0
	v_fmac_f64_e32 v[38:39], v[38:39], v[42:43]
	v_fma_f64 v[42:43], -v[36:37], v[38:39], 1.0
	v_fmac_f64_e32 v[38:39], v[38:39], v[42:43]
	v_mul_f64 v[42:43], v[40:41], v[38:39]
	v_fma_f64 v[36:37], -v[36:37], v[42:43], v[40:41]
	v_div_fmas_f64 v[36:37], v[36:37], v[38:39], v[42:43]
	v_div_fixup_f64 v[20:21], v[36:37], v[20:21], 1.0
	s_waitcnt vmcnt(3)
	v_mul_f64 v[22:23], v[20:21], v[22:23]
	s_waitcnt vmcnt(2)
	v_mul_f64 v[24:25], v[20:21], v[24:25]
	v_mul_f64 v[36:37], v[6:7], v[22:23]
	;; [unrolled: 1-line block ×3, first 2 shown]
	s_waitcnt vmcnt(1)
	v_mul_f64 v[26:27], v[20:21], v[26:27]
	s_waitcnt vmcnt(0)
	v_mul_f64 v[28:29], v[20:21], v[28:29]
	v_mul_f64 v[40:41], v[12:13], v[26:27]
	;; [unrolled: 1-line block ×3, first 2 shown]
	v_fma_f64 v[40:41], v[8:9], v[22:23], -v[40:41]
	v_fma_f64 v[8:9], v[8:9], v[24:25], -v[12:13]
	;; [unrolled: 1-line block ×4, first 2 shown]
	global_store_dwordx2 v[16:17], v[40:41], off
	global_store_dwordx2 v[18:19], v[8:9], off
	;; [unrolled: 1-line block ×4, first 2 shown]
	v_mov_b64_e32 v[8:9], 0
	s_and_saveexec_b64 s[20:21], s[2:3]
	s_cbranch_execz .LBB122_16
; %bb.15:                               ;   in Loop: Header=BB122_5 Depth=1
	v_add_u32_e32 v8, v31, v1
	v_add_u32_e32 v2, s28, v8
	v_ashrrev_i32_e32 v9, 31, v8
	v_lshl_add_u64 v[12:13], v[2:3], 3, s[8:9]
	v_add_u32_e32 v2, s29, v8
	v_lshl_add_u64 v[8:9], v[8:9], 3, s[14:15]
	v_lshl_add_u64 v[16:17], v[2:3], 3, s[8:9]
	global_load_dwordx2 v[18:19], v[12:13], off
	global_load_dwordx2 v[32:33], v[16:17], off
	v_mul_f64 v[4:5], v[4:5], v[14:15]
	global_load_dwordx2 v[8:9], v[8:9], off
	v_mul_f64 v[6:7], v[6:7], v[14:15]
	v_mul_f64 v[14:15], v[4:5], v[26:27]
	;; [unrolled: 1-line block ×4, first 2 shown]
	v_fma_f64 v[10:11], v[6:7], v[22:23], -v[14:15]
	v_fma_f64 v[6:7], v[6:7], v[24:25], -v[26:27]
	s_waitcnt vmcnt(2)
	v_add_f64 v[10:11], v[10:11], v[18:19]
	s_waitcnt vmcnt(1)
	v_add_f64 v[6:7], v[6:7], v[32:33]
	global_store_dwordx2 v[12:13], v[10:11], off
	s_waitcnt vmcnt(1)
	v_fma_f64 v[8:9], -v[20:21], v[4:5], v[8:9]
	global_store_dwordx2 v[16:17], v[6:7], off
.LBB122_16:                             ;   in Loop: Header=BB122_5 Depth=1
	s_or_b64 exec, exec, s[20:21]
	v_mov_b64_e32 v[4:5], v[8:9]
                                        ; implicit-def: $vgpr20_vgpr21
                                        ; implicit-def: $vgpr8_vgpr9
                                        ; implicit-def: $vgpr22_vgpr23
                                        ; implicit-def: $vgpr24_vgpr25
                                        ; implicit-def: $vgpr16_vgpr17
                                        ; implicit-def: $vgpr18_vgpr19
                                        ; implicit-def: $vgpr6_vgpr7
.LBB122_17:                             ;   in Loop: Header=BB122_5 Depth=1
	s_or_saveexec_b64 s[2:3], s[4:5]
	v_mov_b32_e32 v2, s27
	s_xor_b64 exec, exec, s[2:3]
	s_cbranch_execz .LBB122_4
; %bb.18:                               ;   in Loop: Header=BB122_5 Depth=1
	v_div_scale_f64 v[10:11], s[4:5], v[4:5], v[4:5], 1.0
	v_rcp_f64_e32 v[12:13], v[10:11]
	v_div_scale_f64 v[14:15], vcc, 1.0, v[4:5], 1.0
	v_fma_f64 v[26:27], -v[10:11], v[12:13], 1.0
	v_fmac_f64_e32 v[12:13], v[12:13], v[26:27]
	v_fma_f64 v[26:27], -v[10:11], v[12:13], 1.0
	v_fmac_f64_e32 v[12:13], v[12:13], v[26:27]
	v_mul_f64 v[26:27], v[14:15], v[12:13]
	v_fma_f64 v[10:11], -v[10:11], v[26:27], v[14:15]
	v_div_fmas_f64 v[10:11], v[10:11], v[12:13], v[26:27]
	v_div_fixup_f64 v[4:5], v[10:11], v[4:5], 1.0
	s_waitcnt vmcnt(1)
	v_mul_f64 v[12:13], v[4:5], v[22:23]
	s_waitcnt vmcnt(0)
	v_mul_f64 v[10:11], v[4:5], v[24:25]
	global_store_dwordx2 v[16:17], v[12:13], off
	global_store_dwordx2 v[18:19], v[10:11], off
	s_and_saveexec_b64 s[4:5], s[0:1]
	s_cbranch_execz .LBB122_3
; %bb.19:                               ;   in Loop: Header=BB122_5 Depth=1
	v_add_u32_e32 v18, v30, v1
	v_add_u32_e32 v2, s28, v18
	v_lshl_add_u64 v[14:15], v[2:3], 3, s[8:9]
	v_add_u32_e32 v2, s29, v18
	v_lshl_add_u64 v[18:19], v[2:3], 3, s[8:9]
	global_load_dwordx2 v[16:17], v[14:15], off
	global_load_dwordx2 v[22:23], v[18:19], off
	s_waitcnt vmcnt(1)
	v_fma_f64 v[12:13], -v[6:7], v[12:13], v[16:17]
	s_waitcnt vmcnt(0)
	v_fma_f64 v[6:7], -v[6:7], v[10:11], v[22:23]
	global_store_dwordx2 v[14:15], v[12:13], off
	global_store_dwordx2 v[18:19], v[6:7], off
	s_branch .LBB122_3
.LBB122_20:
	s_or_b64 exec, exec, s[18:19]
	s_branch .LBB122_22
.LBB122_21:
	v_mov_b32_e32 v1, 0
.LBB122_22:
	v_subrev_u32_e32 v1, s22, v1
	v_add_u32_e32 v2, v1, v0
	v_ashrrev_i32_e32 v3, 31, v2
	s_waitcnt lgkmcnt(0)
	v_lshl_add_u64 v[2:3], v[2:3], 2, s[6:7]
	buffer_wbl2 sc1
	s_waitcnt vmcnt(0)
	buffer_inv sc1
	global_load_dword v2, v[2:3], off
	s_waitcnt vmcnt(0)
	v_mul_lo_u32 v2, v2, s22
	v_sub_u32_e32 v1, v1, v2
	v_cmp_lt_i32_e32 vcc, -1, v1
	s_and_b64 exec, exec, vcc
	s_cbranch_execz .LBB122_29
; %bb.23:
	s_lshl_b32 s4, s24, 1
	s_add_i32 s5, s4, s23
	s_lshl_b32 s12, s22, 1
	s_mov_b64 s[0:1], 0
	v_mov_b32_e32 v3, 0
	s_branch .LBB122_25
.LBB122_24:                             ;   in Loop: Header=BB122_25 Depth=1
	s_or_b64 exec, exec, s[2:3]
	v_sub_u32_e32 v1, v1, v2
	v_cmp_gt_i32_e32 vcc, 0, v1
	s_or_b64 s[0:1], vcc, s[0:1]
	s_andn2_b64 exec, exec, s[0:1]
	s_cbranch_execz .LBB122_29
.LBB122_25:                             ; =>This Inner Loop Header: Depth=1
	v_add_u32_e32 v6, v1, v0
	v_ashrrev_i32_e32 v7, 31, v6
	s_waitcnt vmcnt(0)
	v_lshl_add_u64 v[4:5], v[6:7], 2, s[6:7]
	global_load_dword v2, v[4:5], off
	v_lshl_add_u64 v[4:5], v[6:7], 3, s[10:11]
	global_load_dwordx2 v[4:5], v[4:5], off
	s_waitcnt vmcnt(1)
	v_cmp_ne_u32_e32 vcc, 1, v2
	s_and_saveexec_b64 s[2:3], vcc
	s_xor_b64 s[2:3], exec, s[2:3]
	s_cbranch_execz .LBB122_27
; %bb.26:                               ;   in Loop: Header=BB122_25 Depth=1
	v_add_u32_e32 v7, v30, v1
	v_add_u32_e32 v2, s4, v7
	v_lshl_add_u64 v[8:9], v[2:3], 3, s[8:9]
	v_add_u32_e32 v2, s5, v7
	v_lshl_add_u64 v[10:11], v[2:3], 3, s[8:9]
	;; [unrolled: 2-line block ×3, first 2 shown]
	global_load_dwordx2 v[14:15], v[8:9], off
	global_load_dwordx2 v[16:17], v[12:13], off
	;; [unrolled: 1-line block ×3, first 2 shown]
	v_add_u32_e32 v2, s5, v6
	v_lshl_add_u64 v[6:7], v[2:3], 3, s[8:9]
	v_subrev_u32_e32 v2, s22, v1
	v_add_u32_e32 v10, v2, v0
	v_ashrrev_i32_e32 v11, 31, v10
	v_add_u32_e32 v2, s4, v10
	s_waitcnt vmcnt(1)
	v_fma_f64 v[8:9], -v[4:5], v[14:15], v[16:17]
	global_store_dwordx2 v[12:13], v[8:9], off
	global_load_dwordx2 v[8:9], v[6:7], off
	v_lshl_add_u64 v[12:13], v[10:11], 3, s[10:11]
	v_lshl_add_u64 v[16:17], v[2:3], 3, s[8:9]
	global_load_dwordx2 v[12:13], v[12:13], off
	v_add_u32_e32 v2, s5, v10
	s_waitcnt vmcnt(1)
	v_fma_f64 v[4:5], -v[4:5], v[18:19], v[8:9]
	global_store_dwordx2 v[6:7], v[4:5], off
	global_load_dwordx2 v[4:5], v[16:17], off
	s_waitcnt vmcnt(0)
	v_fma_f64 v[4:5], -v[12:13], v[14:15], v[4:5]
	global_store_dwordx2 v[16:17], v[4:5], off
	v_lshl_add_u64 v[4:5], v[2:3], 3, s[8:9]
	global_load_dwordx2 v[6:7], v[4:5], off
	s_waitcnt vmcnt(0)
	v_fma_f64 v[6:7], -v[12:13], v[18:19], v[6:7]
	global_store_dwordx2 v[4:5], v[6:7], off
                                        ; implicit-def: $vgpr6
                                        ; implicit-def: $vgpr4_vgpr5
.LBB122_27:                             ;   in Loop: Header=BB122_25 Depth=1
	s_or_saveexec_b64 s[2:3], s[2:3]
	v_mov_b32_e32 v2, s12
	s_xor_b64 exec, exec, s[2:3]
	s_cbranch_execz .LBB122_24
; %bb.28:                               ;   in Loop: Header=BB122_25 Depth=1
	v_add_u32_e32 v7, v30, v1
	v_add_u32_e32 v2, s4, v7
	v_lshl_add_u64 v[8:9], v[2:3], 3, s[8:9]
	v_add_u32_e32 v2, s4, v6
	v_lshl_add_u64 v[10:11], v[2:3], 3, s[8:9]
	global_load_dwordx2 v[12:13], v[8:9], off
	global_load_dwordx2 v[14:15], v[10:11], off
	v_add_u32_e32 v2, s5, v7
	v_lshl_add_u64 v[8:9], v[2:3], 3, s[8:9]
	v_add_u32_e32 v2, s5, v6
	v_lshl_add_u64 v[6:7], v[2:3], 3, s[8:9]
	v_mov_b32_e32 v2, s22
	s_waitcnt vmcnt(0)
	v_fma_f64 v[12:13], -v[4:5], v[12:13], v[14:15]
	global_store_dwordx2 v[10:11], v[12:13], off
	global_load_dwordx2 v[10:11], v[8:9], off
	s_nop 0
	global_load_dwordx2 v[12:13], v[6:7], off
	s_waitcnt vmcnt(0)
	v_fma_f64 v[4:5], -v[4:5], v[10:11], v[12:13]
	global_store_dwordx2 v[6:7], v[4:5], off
	s_branch .LBB122_24
.LBB122_29:
	s_endpgm
	.section	.rodata,"a",@progbits
	.p2align	6, 0x0
	.amdhsa_kernel _ZN9rocsparseL19gtsv_LBM_rhs_kernelILj256ELj8ELj2EdEEviiiPKT2_S3_S3_PS1_S3_PKi
		.amdhsa_group_segment_fixed_size 0
		.amdhsa_private_segment_fixed_size 0
		.amdhsa_kernarg_size 64
		.amdhsa_user_sgpr_count 2
		.amdhsa_user_sgpr_dispatch_ptr 0
		.amdhsa_user_sgpr_queue_ptr 0
		.amdhsa_user_sgpr_kernarg_segment_ptr 1
		.amdhsa_user_sgpr_dispatch_id 0
		.amdhsa_user_sgpr_kernarg_preload_length 0
		.amdhsa_user_sgpr_kernarg_preload_offset 0
		.amdhsa_user_sgpr_private_segment_size 0
		.amdhsa_uses_dynamic_stack 0
		.amdhsa_enable_private_segment 0
		.amdhsa_system_sgpr_workgroup_id_x 1
		.amdhsa_system_sgpr_workgroup_id_y 1
		.amdhsa_system_sgpr_workgroup_id_z 0
		.amdhsa_system_sgpr_workgroup_info 0
		.amdhsa_system_vgpr_workitem_id 0
		.amdhsa_next_free_vgpr 44
		.amdhsa_next_free_sgpr 30
		.amdhsa_accum_offset 44
		.amdhsa_reserve_vcc 1
		.amdhsa_float_round_mode_32 0
		.amdhsa_float_round_mode_16_64 0
		.amdhsa_float_denorm_mode_32 3
		.amdhsa_float_denorm_mode_16_64 3
		.amdhsa_dx10_clamp 1
		.amdhsa_ieee_mode 1
		.amdhsa_fp16_overflow 0
		.amdhsa_tg_split 0
		.amdhsa_exception_fp_ieee_invalid_op 0
		.amdhsa_exception_fp_denorm_src 0
		.amdhsa_exception_fp_ieee_div_zero 0
		.amdhsa_exception_fp_ieee_overflow 0
		.amdhsa_exception_fp_ieee_underflow 0
		.amdhsa_exception_fp_ieee_inexact 0
		.amdhsa_exception_int_div_zero 0
	.end_amdhsa_kernel
	.section	.text._ZN9rocsparseL19gtsv_LBM_rhs_kernelILj256ELj8ELj2EdEEviiiPKT2_S3_S3_PS1_S3_PKi,"axG",@progbits,_ZN9rocsparseL19gtsv_LBM_rhs_kernelILj256ELj8ELj2EdEEviiiPKT2_S3_S3_PS1_S3_PKi,comdat
.Lfunc_end122:
	.size	_ZN9rocsparseL19gtsv_LBM_rhs_kernelILj256ELj8ELj2EdEEviiiPKT2_S3_S3_PS1_S3_PKi, .Lfunc_end122-_ZN9rocsparseL19gtsv_LBM_rhs_kernelILj256ELj8ELj2EdEEviiiPKT2_S3_S3_PS1_S3_PKi
                                        ; -- End function
	.set _ZN9rocsparseL19gtsv_LBM_rhs_kernelILj256ELj8ELj2EdEEviiiPKT2_S3_S3_PS1_S3_PKi.num_vgpr, 44
	.set _ZN9rocsparseL19gtsv_LBM_rhs_kernelILj256ELj8ELj2EdEEviiiPKT2_S3_S3_PS1_S3_PKi.num_agpr, 0
	.set _ZN9rocsparseL19gtsv_LBM_rhs_kernelILj256ELj8ELj2EdEEviiiPKT2_S3_S3_PS1_S3_PKi.numbered_sgpr, 30
	.set _ZN9rocsparseL19gtsv_LBM_rhs_kernelILj256ELj8ELj2EdEEviiiPKT2_S3_S3_PS1_S3_PKi.num_named_barrier, 0
	.set _ZN9rocsparseL19gtsv_LBM_rhs_kernelILj256ELj8ELj2EdEEviiiPKT2_S3_S3_PS1_S3_PKi.private_seg_size, 0
	.set _ZN9rocsparseL19gtsv_LBM_rhs_kernelILj256ELj8ELj2EdEEviiiPKT2_S3_S3_PS1_S3_PKi.uses_vcc, 1
	.set _ZN9rocsparseL19gtsv_LBM_rhs_kernelILj256ELj8ELj2EdEEviiiPKT2_S3_S3_PS1_S3_PKi.uses_flat_scratch, 0
	.set _ZN9rocsparseL19gtsv_LBM_rhs_kernelILj256ELj8ELj2EdEEviiiPKT2_S3_S3_PS1_S3_PKi.has_dyn_sized_stack, 0
	.set _ZN9rocsparseL19gtsv_LBM_rhs_kernelILj256ELj8ELj2EdEEviiiPKT2_S3_S3_PS1_S3_PKi.has_recursion, 0
	.set _ZN9rocsparseL19gtsv_LBM_rhs_kernelILj256ELj8ELj2EdEEviiiPKT2_S3_S3_PS1_S3_PKi.has_indirect_call, 0
	.section	.AMDGPU.csdata,"",@progbits
; Kernel info:
; codeLenInByte = 1768
; TotalNumSgprs: 36
; NumVgprs: 44
; NumAgprs: 0
; TotalNumVgprs: 44
; ScratchSize: 0
; MemoryBound: 0
; FloatMode: 240
; IeeeMode: 1
; LDSByteSize: 0 bytes/workgroup (compile time only)
; SGPRBlocks: 4
; VGPRBlocks: 5
; NumSGPRsForWavesPerEU: 36
; NumVGPRsForWavesPerEU: 44
; AccumOffset: 44
; Occupancy: 8
; WaveLimiterHint : 0
; COMPUTE_PGM_RSRC2:SCRATCH_EN: 0
; COMPUTE_PGM_RSRC2:USER_SGPR: 2
; COMPUTE_PGM_RSRC2:TRAP_HANDLER: 0
; COMPUTE_PGM_RSRC2:TGID_X_EN: 1
; COMPUTE_PGM_RSRC2:TGID_Y_EN: 1
; COMPUTE_PGM_RSRC2:TGID_Z_EN: 0
; COMPUTE_PGM_RSRC2:TIDIG_COMP_CNT: 0
; COMPUTE_PGM_RSRC3_GFX90A:ACCUM_OFFSET: 10
; COMPUTE_PGM_RSRC3_GFX90A:TG_SPLIT: 0
	.section	.text._ZN9rocsparseL19gtsv_LBM_rhs_kernelILj256ELj8ELj1EdEEviiiPKT2_S3_S3_PS1_S3_PKi,"axG",@progbits,_ZN9rocsparseL19gtsv_LBM_rhs_kernelILj256ELj8ELj1EdEEviiiPKT2_S3_S3_PS1_S3_PKi,comdat
	.globl	_ZN9rocsparseL19gtsv_LBM_rhs_kernelILj256ELj8ELj1EdEEviiiPKT2_S3_S3_PS1_S3_PKi ; -- Begin function _ZN9rocsparseL19gtsv_LBM_rhs_kernelILj256ELj8ELj1EdEEviiiPKT2_S3_S3_PS1_S3_PKi
	.p2align	8
	.type	_ZN9rocsparseL19gtsv_LBM_rhs_kernelILj256ELj8ELj1EdEEviiiPKT2_S3_S3_PS1_S3_PKi,@function
_ZN9rocsparseL19gtsv_LBM_rhs_kernelILj256ELj8ELj1EdEEviiiPKT2_S3_S3_PS1_S3_PKi: ; @_ZN9rocsparseL19gtsv_LBM_rhs_kernelILj256ELj8ELj1EdEEviiiPKT2_S3_S3_PS1_S3_PKi
; %bb.0:
	s_load_dword s24, s[0:1], 0x0
	v_lshl_or_b32 v0, s2, 8, v0
	s_waitcnt lgkmcnt(0)
	s_lshr_b32 s22, s24, 3
	v_cmp_gt_i32_e32 vcc, s22, v0
	s_and_saveexec_b64 s[4:5], vcc
	s_cbranch_execz .LBB123_29
; %bb.1:
	s_load_dwordx4 s[8:11], s[0:1], 0x28
	s_load_dwordx2 s[6:7], s[0:1], 0x38
	s_cmp_lt_i32 s24, 1
	s_mul_i32 s23, s24, s3
	s_cbranch_scc1 .LBB123_21
; %bb.2:
	s_load_dwordx4 s[12:15], s[0:1], 0x10
	s_load_dwordx2 s[16:17], s[0:1], 0x20
	v_ashrrev_i32_e32 v1, 31, v0
	v_add_u32_e32 v24, s22, v0
	s_mul_i32 s25, s22, 7
	s_waitcnt lgkmcnt(0)
	v_lshl_add_u64 v[2:3], v[0:1], 3, s[14:15]
	global_load_dwordx2 v[4:5], v[2:3], off
	s_mul_i32 s26, s22, 6
	s_lshl_b32 s27, s22, 1
	v_add_u32_e32 v25, s22, v24
	v_add_u32_e32 v26, s23, v24
	v_mov_b32_e32 v3, 0
	s_mov_b64 s[18:19], 0
	v_mov_b32_e32 v1, 0
	s_branch .LBB123_5
.LBB123_3:                              ;   in Loop: Header=BB123_5 Depth=1
	s_or_b64 exec, exec, s[4:5]
	v_fma_f64 v[4:5], -v[4:5], v[18:19], v[8:9]
	v_mov_b32_e32 v2, s22
.LBB123_4:                              ;   in Loop: Header=BB123_5 Depth=1
	s_or_b64 exec, exec, s[2:3]
	v_add_u32_e32 v1, v2, v1
	v_cmp_le_i32_e32 vcc, s24, v1
	s_or_b64 s[18:19], vcc, s[18:19]
	s_andn2_b64 exec, exec, s[18:19]
	s_cbranch_execz .LBB123_20
.LBB123_5:                              ; =>This Inner Loop Header: Depth=1
	v_add_u32_e32 v16, v1, v0
	v_ashrrev_i32_e32 v17, 31, v16
	v_lshl_add_u64 v[6:7], v[16:17], 3, s[16:17]
	global_load_dwordx2 v[10:11], v[6:7], off
	v_cmp_gt_u32_e64 s[0:1], s25, v1
	v_mov_b64_e32 v[8:9], 0
	v_add_u32_e32 v18, v24, v1
	v_mov_b64_e32 v[6:7], 0
	s_and_saveexec_b64 s[2:3], s[0:1]
	s_cbranch_execz .LBB123_7
; %bb.6:                                ;   in Loop: Header=BB123_5 Depth=1
	v_ashrrev_i32_e32 v19, 31, v18
	v_lshl_add_u64 v[6:7], v[18:19], 3, s[12:13]
	global_load_dwordx2 v[6:7], v[6:7], off
.LBB123_7:                              ;   in Loop: Header=BB123_5 Depth=1
	s_or_b64 exec, exec, s[2:3]
	s_and_saveexec_b64 s[2:3], s[0:1]
	s_cbranch_execz .LBB123_9
; %bb.8:                                ;   in Loop: Header=BB123_5 Depth=1
	v_ashrrev_i32_e32 v19, 31, v18
	v_lshl_add_u64 v[8:9], v[18:19], 3, s[14:15]
	global_load_dwordx2 v[8:9], v[8:9], off
.LBB123_9:                              ;   in Loop: Header=BB123_5 Depth=1
	s_or_b64 exec, exec, s[2:3]
	v_mov_b64_e32 v[14:15], 0
	v_mov_b64_e32 v[12:13], 0
	s_and_saveexec_b64 s[2:3], s[0:1]
	s_cbranch_execz .LBB123_11
; %bb.10:                               ;   in Loop: Header=BB123_5 Depth=1
	v_ashrrev_i32_e32 v19, 31, v18
	v_lshl_add_u64 v[12:13], v[18:19], 3, s[16:17]
	global_load_dwordx2 v[12:13], v[12:13], off
.LBB123_11:                             ;   in Loop: Header=BB123_5 Depth=1
	s_or_b64 exec, exec, s[2:3]
	v_cmp_gt_u32_e64 s[2:3], s26, v1
	s_and_saveexec_b64 s[4:5], s[2:3]
	s_cbranch_execz .LBB123_13
; %bb.12:                               ;   in Loop: Header=BB123_5 Depth=1
	v_add_u32_e32 v14, v25, v1
	v_ashrrev_i32_e32 v15, 31, v14
	v_lshl_add_u64 v[14:15], v[14:15], 3, s[12:13]
	global_load_dwordx2 v[14:15], v[14:15], off
.LBB123_13:                             ;   in Loop: Header=BB123_5 Depth=1
	s_or_b64 exec, exec, s[4:5]
	v_lshl_add_u64 v[18:19], v[16:17], 2, s[6:7]
	global_load_dword v18, v[18:19], off
	v_add_u32_e32 v2, s23, v16
	v_lshl_add_u64 v[16:17], v[2:3], 3, s[8:9]
	global_load_dwordx2 v[20:21], v[16:17], off
	v_cmp_ne_u32_e32 vcc, s25, v1
	s_waitcnt vmcnt(1)
	v_cmp_ne_u32_e64 s[4:5], 1, v18
	s_and_b64 s[4:5], vcc, s[4:5]
	v_mul_f64 v[18:19], v[10:11], v[6:7]
	s_and_saveexec_b64 s[20:21], s[4:5]
	s_xor_b64 s[4:5], exec, s[20:21]
	s_cbranch_execz .LBB123_17
; %bb.14:                               ;   in Loop: Header=BB123_5 Depth=1
	v_add_u32_e32 v2, v26, v1
	v_lshl_add_u64 v[28:29], v[2:3], 3, s[8:9]
	global_load_dwordx2 v[22:23], v[28:29], off
	v_fma_f64 v[18:19], v[4:5], v[8:9], -v[18:19]
	v_div_scale_f64 v[30:31], s[20:21], v[18:19], v[18:19], 1.0
	v_rcp_f64_e32 v[32:33], v[30:31]
	v_div_scale_f64 v[34:35], vcc, 1.0, v[18:19], 1.0
	v_fma_f64 v[36:37], -v[30:31], v[32:33], 1.0
	v_fmac_f64_e32 v[32:33], v[32:33], v[36:37]
	v_fma_f64 v[36:37], -v[30:31], v[32:33], 1.0
	v_fmac_f64_e32 v[32:33], v[32:33], v[36:37]
	v_mul_f64 v[36:37], v[34:35], v[32:33]
	v_fma_f64 v[30:31], -v[30:31], v[36:37], v[34:35]
	v_div_fmas_f64 v[30:31], v[30:31], v[32:33], v[36:37]
	v_div_fixup_f64 v[18:19], v[30:31], v[18:19], 1.0
	s_waitcnt vmcnt(1)
	v_mul_f64 v[20:21], v[18:19], v[20:21]
	v_mul_f64 v[30:31], v[6:7], v[20:21]
	s_waitcnt vmcnt(0)
	v_mul_f64 v[22:23], v[18:19], v[22:23]
	v_mul_f64 v[10:11], v[10:11], v[22:23]
	v_fma_f64 v[8:9], v[8:9], v[20:21], -v[10:11]
	v_fma_f64 v[30:31], v[4:5], v[22:23], -v[30:31]
	global_store_dwordx2 v[16:17], v[8:9], off
	global_store_dwordx2 v[28:29], v[30:31], off
	v_mov_b64_e32 v[8:9], 0
	s_and_saveexec_b64 s[20:21], s[2:3]
	s_cbranch_execz .LBB123_16
; %bb.15:                               ;   in Loop: Header=BB123_5 Depth=1
	v_add_u32_e32 v8, v25, v1
	v_add_u32_e32 v2, s23, v8
	v_ashrrev_i32_e32 v9, 31, v8
	v_lshl_add_u64 v[10:11], v[2:3], 3, s[8:9]
	v_lshl_add_u64 v[8:9], v[8:9], 3, s[14:15]
	global_load_dwordx2 v[16:17], v[10:11], off
	v_mul_f64 v[4:5], v[4:5], v[14:15]
	global_load_dwordx2 v[8:9], v[8:9], off
	v_mul_f64 v[6:7], v[6:7], v[14:15]
	v_mul_f64 v[14:15], v[4:5], v[22:23]
	;; [unrolled: 1-line block ×3, first 2 shown]
	v_fma_f64 v[6:7], v[6:7], v[20:21], -v[14:15]
	s_waitcnt vmcnt(1)
	v_add_f64 v[6:7], v[6:7], v[16:17]
	global_store_dwordx2 v[10:11], v[6:7], off
	s_waitcnt vmcnt(1)
	v_fma_f64 v[8:9], -v[18:19], v[4:5], v[8:9]
.LBB123_16:                             ;   in Loop: Header=BB123_5 Depth=1
	s_or_b64 exec, exec, s[20:21]
	v_mov_b64_e32 v[4:5], v[8:9]
                                        ; implicit-def: $vgpr18_vgpr19
                                        ; implicit-def: $vgpr8_vgpr9
                                        ; implicit-def: $vgpr20_vgpr21
                                        ; implicit-def: $vgpr16_vgpr17
                                        ; implicit-def: $vgpr6_vgpr7
.LBB123_17:                             ;   in Loop: Header=BB123_5 Depth=1
	s_or_saveexec_b64 s[2:3], s[4:5]
	v_mov_b32_e32 v2, s27
	s_xor_b64 exec, exec, s[2:3]
	s_cbranch_execz .LBB123_4
; %bb.18:                               ;   in Loop: Header=BB123_5 Depth=1
	v_div_scale_f64 v[10:11], s[4:5], v[4:5], v[4:5], 1.0
	v_rcp_f64_e32 v[12:13], v[10:11]
	v_div_scale_f64 v[14:15], vcc, 1.0, v[4:5], 1.0
	v_fma_f64 v[22:23], -v[10:11], v[12:13], 1.0
	v_fmac_f64_e32 v[12:13], v[12:13], v[22:23]
	v_fma_f64 v[22:23], -v[10:11], v[12:13], 1.0
	v_fmac_f64_e32 v[12:13], v[12:13], v[22:23]
	v_mul_f64 v[22:23], v[14:15], v[12:13]
	v_fma_f64 v[10:11], -v[10:11], v[22:23], v[14:15]
	v_div_fmas_f64 v[10:11], v[10:11], v[12:13], v[22:23]
	v_div_fixup_f64 v[4:5], v[10:11], v[4:5], 1.0
	s_waitcnt vmcnt(0)
	v_mul_f64 v[10:11], v[4:5], v[20:21]
	global_store_dwordx2 v[16:17], v[10:11], off
	s_and_saveexec_b64 s[4:5], s[0:1]
	s_cbranch_execz .LBB123_3
; %bb.19:                               ;   in Loop: Header=BB123_5 Depth=1
	v_add_u32_e32 v2, v26, v1
	v_lshl_add_u64 v[12:13], v[2:3], 3, s[8:9]
	global_load_dwordx2 v[14:15], v[12:13], off
	s_waitcnt vmcnt(0)
	v_fma_f64 v[6:7], -v[6:7], v[10:11], v[14:15]
	global_store_dwordx2 v[12:13], v[6:7], off
	s_branch .LBB123_3
.LBB123_20:
	s_or_b64 exec, exec, s[18:19]
	s_branch .LBB123_22
.LBB123_21:
	v_mov_b32_e32 v1, 0
.LBB123_22:
	v_subrev_u32_e32 v1, s22, v1
	v_add_u32_e32 v2, v1, v0
	v_ashrrev_i32_e32 v3, 31, v2
	s_waitcnt lgkmcnt(0)
	v_lshl_add_u64 v[2:3], v[2:3], 2, s[6:7]
	buffer_wbl2 sc1
	s_waitcnt vmcnt(0)
	buffer_inv sc1
	global_load_dword v2, v[2:3], off
	s_waitcnt vmcnt(0)
	v_mul_lo_u32 v2, v2, s22
	v_sub_u32_e32 v1, v1, v2
	v_cmp_lt_i32_e32 vcc, -1, v1
	s_and_b64 exec, exec, vcc
	s_cbranch_execz .LBB123_29
; %bb.23:
	s_add_i32 s0, s23, s22
	v_add_u32_e32 v8, s0, v0
	s_lshl_b32 s4, s22, 1
	s_mov_b64 s[0:1], 0
	v_mov_b32_e32 v3, 0
	s_branch .LBB123_25
.LBB123_24:                             ;   in Loop: Header=BB123_25 Depth=1
	s_or_b64 exec, exec, s[2:3]
	v_sub_u32_e32 v1, v1, v2
	v_cmp_gt_i32_e32 vcc, 0, v1
	s_or_b64 s[0:1], vcc, s[0:1]
	s_andn2_b64 exec, exec, s[0:1]
	s_cbranch_execz .LBB123_29
.LBB123_25:                             ; =>This Inner Loop Header: Depth=1
	v_add_u32_e32 v6, v1, v0
	v_ashrrev_i32_e32 v7, 31, v6
	s_waitcnt vmcnt(0)
	v_lshl_add_u64 v[4:5], v[6:7], 2, s[6:7]
	global_load_dword v2, v[4:5], off
	v_lshl_add_u64 v[4:5], v[6:7], 3, s[10:11]
	global_load_dwordx2 v[4:5], v[4:5], off
	s_waitcnt vmcnt(1)
	v_cmp_ne_u32_e32 vcc, 1, v2
	s_and_saveexec_b64 s[2:3], vcc
	s_xor_b64 s[2:3], exec, s[2:3]
	s_cbranch_execz .LBB123_27
; %bb.26:                               ;   in Loop: Header=BB123_25 Depth=1
	v_add_u32_e32 v2, v8, v1
	v_lshl_add_u64 v[10:11], v[2:3], 3, s[8:9]
	v_add_u32_e32 v2, s23, v6
	v_lshl_add_u64 v[6:7], v[2:3], 3, s[8:9]
	global_load_dwordx2 v[12:13], v[10:11], off
	global_load_dwordx2 v[14:15], v[6:7], off
	v_subrev_u32_e32 v2, s22, v1
	v_add_u32_e32 v10, v2, v0
	v_ashrrev_i32_e32 v11, 31, v10
	v_add_u32_e32 v2, s23, v10
	v_lshl_add_u64 v[10:11], v[10:11], 3, s[10:11]
	global_load_dwordx2 v[10:11], v[10:11], off
	s_waitcnt vmcnt(1)
	v_fma_f64 v[4:5], -v[4:5], v[12:13], v[14:15]
	global_store_dwordx2 v[6:7], v[4:5], off
	v_lshl_add_u64 v[4:5], v[2:3], 3, s[8:9]
	global_load_dwordx2 v[6:7], v[4:5], off
	s_waitcnt vmcnt(0)
	v_fma_f64 v[6:7], -v[10:11], v[12:13], v[6:7]
	global_store_dwordx2 v[4:5], v[6:7], off
                                        ; implicit-def: $vgpr6
                                        ; implicit-def: $vgpr4_vgpr5
.LBB123_27:                             ;   in Loop: Header=BB123_25 Depth=1
	s_or_saveexec_b64 s[2:3], s[2:3]
	v_mov_b32_e32 v2, s4
	s_xor_b64 exec, exec, s[2:3]
	s_cbranch_execz .LBB123_24
; %bb.28:                               ;   in Loop: Header=BB123_25 Depth=1
	v_add_u32_e32 v2, v8, v1
	v_lshl_add_u64 v[10:11], v[2:3], 3, s[8:9]
	v_add_u32_e32 v2, s23, v6
	v_lshl_add_u64 v[6:7], v[2:3], 3, s[8:9]
	global_load_dwordx2 v[12:13], v[10:11], off
	global_load_dwordx2 v[14:15], v[6:7], off
	v_mov_b32_e32 v2, s22
	s_waitcnt vmcnt(0)
	v_fma_f64 v[4:5], -v[4:5], v[12:13], v[14:15]
	global_store_dwordx2 v[6:7], v[4:5], off
	s_branch .LBB123_24
.LBB123_29:
	s_endpgm
	.section	.rodata,"a",@progbits
	.p2align	6, 0x0
	.amdhsa_kernel _ZN9rocsparseL19gtsv_LBM_rhs_kernelILj256ELj8ELj1EdEEviiiPKT2_S3_S3_PS1_S3_PKi
		.amdhsa_group_segment_fixed_size 0
		.amdhsa_private_segment_fixed_size 0
		.amdhsa_kernarg_size 64
		.amdhsa_user_sgpr_count 2
		.amdhsa_user_sgpr_dispatch_ptr 0
		.amdhsa_user_sgpr_queue_ptr 0
		.amdhsa_user_sgpr_kernarg_segment_ptr 1
		.amdhsa_user_sgpr_dispatch_id 0
		.amdhsa_user_sgpr_kernarg_preload_length 0
		.amdhsa_user_sgpr_kernarg_preload_offset 0
		.amdhsa_user_sgpr_private_segment_size 0
		.amdhsa_uses_dynamic_stack 0
		.amdhsa_enable_private_segment 0
		.amdhsa_system_sgpr_workgroup_id_x 1
		.amdhsa_system_sgpr_workgroup_id_y 1
		.amdhsa_system_sgpr_workgroup_id_z 0
		.amdhsa_system_sgpr_workgroup_info 0
		.amdhsa_system_vgpr_workitem_id 0
		.amdhsa_next_free_vgpr 38
		.amdhsa_next_free_sgpr 28
		.amdhsa_accum_offset 40
		.amdhsa_reserve_vcc 1
		.amdhsa_float_round_mode_32 0
		.amdhsa_float_round_mode_16_64 0
		.amdhsa_float_denorm_mode_32 3
		.amdhsa_float_denorm_mode_16_64 3
		.amdhsa_dx10_clamp 1
		.amdhsa_ieee_mode 1
		.amdhsa_fp16_overflow 0
		.amdhsa_tg_split 0
		.amdhsa_exception_fp_ieee_invalid_op 0
		.amdhsa_exception_fp_denorm_src 0
		.amdhsa_exception_fp_ieee_div_zero 0
		.amdhsa_exception_fp_ieee_overflow 0
		.amdhsa_exception_fp_ieee_underflow 0
		.amdhsa_exception_fp_ieee_inexact 0
		.amdhsa_exception_int_div_zero 0
	.end_amdhsa_kernel
	.section	.text._ZN9rocsparseL19gtsv_LBM_rhs_kernelILj256ELj8ELj1EdEEviiiPKT2_S3_S3_PS1_S3_PKi,"axG",@progbits,_ZN9rocsparseL19gtsv_LBM_rhs_kernelILj256ELj8ELj1EdEEviiiPKT2_S3_S3_PS1_S3_PKi,comdat
.Lfunc_end123:
	.size	_ZN9rocsparseL19gtsv_LBM_rhs_kernelILj256ELj8ELj1EdEEviiiPKT2_S3_S3_PS1_S3_PKi, .Lfunc_end123-_ZN9rocsparseL19gtsv_LBM_rhs_kernelILj256ELj8ELj1EdEEviiiPKT2_S3_S3_PS1_S3_PKi
                                        ; -- End function
	.set _ZN9rocsparseL19gtsv_LBM_rhs_kernelILj256ELj8ELj1EdEEviiiPKT2_S3_S3_PS1_S3_PKi.num_vgpr, 38
	.set _ZN9rocsparseL19gtsv_LBM_rhs_kernelILj256ELj8ELj1EdEEviiiPKT2_S3_S3_PS1_S3_PKi.num_agpr, 0
	.set _ZN9rocsparseL19gtsv_LBM_rhs_kernelILj256ELj8ELj1EdEEviiiPKT2_S3_S3_PS1_S3_PKi.numbered_sgpr, 28
	.set _ZN9rocsparseL19gtsv_LBM_rhs_kernelILj256ELj8ELj1EdEEviiiPKT2_S3_S3_PS1_S3_PKi.num_named_barrier, 0
	.set _ZN9rocsparseL19gtsv_LBM_rhs_kernelILj256ELj8ELj1EdEEviiiPKT2_S3_S3_PS1_S3_PKi.private_seg_size, 0
	.set _ZN9rocsparseL19gtsv_LBM_rhs_kernelILj256ELj8ELj1EdEEviiiPKT2_S3_S3_PS1_S3_PKi.uses_vcc, 1
	.set _ZN9rocsparseL19gtsv_LBM_rhs_kernelILj256ELj8ELj1EdEEviiiPKT2_S3_S3_PS1_S3_PKi.uses_flat_scratch, 0
	.set _ZN9rocsparseL19gtsv_LBM_rhs_kernelILj256ELj8ELj1EdEEviiiPKT2_S3_S3_PS1_S3_PKi.has_dyn_sized_stack, 0
	.set _ZN9rocsparseL19gtsv_LBM_rhs_kernelILj256ELj8ELj1EdEEviiiPKT2_S3_S3_PS1_S3_PKi.has_recursion, 0
	.set _ZN9rocsparseL19gtsv_LBM_rhs_kernelILj256ELj8ELj1EdEEviiiPKT2_S3_S3_PS1_S3_PKi.has_indirect_call, 0
	.section	.AMDGPU.csdata,"",@progbits
; Kernel info:
; codeLenInByte = 1348
; TotalNumSgprs: 34
; NumVgprs: 38
; NumAgprs: 0
; TotalNumVgprs: 38
; ScratchSize: 0
; MemoryBound: 0
; FloatMode: 240
; IeeeMode: 1
; LDSByteSize: 0 bytes/workgroup (compile time only)
; SGPRBlocks: 4
; VGPRBlocks: 4
; NumSGPRsForWavesPerEU: 34
; NumVGPRsForWavesPerEU: 38
; AccumOffset: 40
; Occupancy: 8
; WaveLimiterHint : 0
; COMPUTE_PGM_RSRC2:SCRATCH_EN: 0
; COMPUTE_PGM_RSRC2:USER_SGPR: 2
; COMPUTE_PGM_RSRC2:TRAP_HANDLER: 0
; COMPUTE_PGM_RSRC2:TGID_X_EN: 1
; COMPUTE_PGM_RSRC2:TGID_Y_EN: 1
; COMPUTE_PGM_RSRC2:TGID_Z_EN: 0
; COMPUTE_PGM_RSRC2:TIDIG_COMP_CNT: 0
; COMPUTE_PGM_RSRC3_GFX90A:ACCUM_OFFSET: 9
; COMPUTE_PGM_RSRC3_GFX90A:TG_SPLIT: 0
	.section	.text._ZN9rocsparseL29gtsv_spike_block_level_kernelILj256ELj8EdEEviiiPT1_PKS1_S4_S2_S2_S2_S2_S2_,"axG",@progbits,_ZN9rocsparseL29gtsv_spike_block_level_kernelILj256ELj8EdEEviiiPT1_PKS1_S4_S2_S2_S2_S2_S2_,comdat
	.globl	_ZN9rocsparseL29gtsv_spike_block_level_kernelILj256ELj8EdEEviiiPT1_PKS1_S4_S2_S2_S2_S2_S2_ ; -- Begin function _ZN9rocsparseL29gtsv_spike_block_level_kernelILj256ELj8EdEEviiiPT1_PKS1_S4_S2_S2_S2_S2_S2_
	.p2align	8
	.type	_ZN9rocsparseL29gtsv_spike_block_level_kernelILj256ELj8EdEEviiiPT1_PKS1_S4_S2_S2_S2_S2_S2_,@function
_ZN9rocsparseL29gtsv_spike_block_level_kernelILj256ELj8EdEEviiiPT1_PKS1_S4_S2_S2_S2_S2_S2_: ; @_ZN9rocsparseL29gtsv_spike_block_level_kernelILj256ELj8EdEEviiiPT1_PKS1_S4_S2_S2_S2_S2_S2_
; %bb.0:
	s_load_dword s14, s[0:1], 0x0
	s_load_dwordx2 s[8:9], s[0:1], 0x18
	v_lshl_or_b32 v2, s2, 8, v0
	v_mov_b64_e32 v[4:5], 0
	v_mov_b64_e32 v[8:9], 0
	s_waitcnt lgkmcnt(0)
	s_lshr_b32 s18, s14, 3
	v_cmp_gt_i32_e64 s[4:5], s18, v2
	s_and_saveexec_b64 s[6:7], s[4:5]
	s_cbranch_execz .LBB124_2
; %bb.1:
	v_ashrrev_i32_e32 v3, 31, v2
	v_lshl_add_u64 v[6:7], v[2:3], 3, s[8:9]
	global_load_dwordx2 v[8:9], v[6:7], off
.LBB124_2:
	s_or_b64 exec, exec, s[6:7]
	s_load_dwordx2 s[6:7], s[0:1], 0x20
	v_lshlrev_b32_e32 v1, 3, v0
	v_or_b32_e32 v6, 0x1000, v1
	s_waitcnt vmcnt(0)
	ds_write_b64 v1, v[8:9] offset:4096
	s_and_saveexec_b64 s[10:11], s[4:5]
	s_cbranch_execz .LBB124_4
; %bb.3:
	v_mad_u64_u32 v[4:5], s[12:13], s18, 7, v[2:3]
	v_mov_b32_e32 v5, 0
	v_lshl_add_u64 v[4:5], v[4:5], 3, s[8:9]
	global_load_dwordx2 v[4:5], v[4:5], off
.LBB124_4:
	s_or_b64 exec, exec, s[10:11]
	s_waitcnt vmcnt(0)
	ds_write_b64 v6, v[4:5] offset:2048
	v_mov_b64_e32 v[4:5], 0
	v_mov_b64_e32 v[8:9], 0
	s_and_saveexec_b64 s[8:9], s[4:5]
	s_cbranch_execz .LBB124_6
; %bb.5:
	v_ashrrev_i32_e32 v3, 31, v2
	s_waitcnt lgkmcnt(0)
	v_lshl_add_u64 v[8:9], v[2:3], 3, s[6:7]
	global_load_dwordx2 v[8:9], v[8:9], off
.LBB124_6:
	s_or_b64 exec, exec, s[8:9]
	s_load_dwordx2 s[12:13], s[0:1], 0x10
	s_waitcnt vmcnt(0)
	ds_write_b64 v1, v[8:9]
	s_and_saveexec_b64 s[8:9], s[4:5]
	s_cbranch_execz .LBB124_8
; %bb.7:
	v_mad_u64_u32 v[4:5], s[10:11], s18, 7, v[2:3]
	v_mov_b32_e32 v5, 0
	s_waitcnt lgkmcnt(0)
	v_lshl_add_u64 v[4:5], v[4:5], 3, s[6:7]
	global_load_dwordx2 v[4:5], v[4:5], off
.LBB124_8:
	s_or_b64 exec, exec, s[8:9]
	s_mul_i32 s14, s14, s3
	s_waitcnt vmcnt(0)
	ds_write_b64 v1, v[4:5] offset:2048
	v_mov_b64_e32 v[8:9], 0
	v_add_u32_e32 v4, s14, v2
	v_mov_b64_e32 v[10:11], 0
	s_waitcnt lgkmcnt(0)
	s_and_saveexec_b64 s[6:7], s[4:5]
	s_cbranch_execz .LBB124_10
; %bb.9:
	v_ashrrev_i32_e32 v5, 31, v4
	v_lshl_add_u64 v[10:11], v[4:5], 3, s[12:13]
	global_load_dwordx2 v[10:11], v[10:11], off
.LBB124_10:
	s_or_b64 exec, exec, s[6:7]
	v_or_b32_e32 v5, 0x2000, v1
	s_mul_i32 s19, s18, 7
	s_waitcnt vmcnt(0)
	ds_write_b64 v1, v[10:11] offset:8192
	s_and_saveexec_b64 s[6:7], s[4:5]
	s_cbranch_execz .LBB124_12
; %bb.11:
	s_mul_i32 s8, s18, 7
	s_add_i32 s8, s8, s14
	v_add_u32_e32 v8, s8, v2
	v_mov_b32_e32 v9, 0
	v_lshl_add_u64 v[8:9], v[8:9], 3, s[12:13]
	global_load_dwordx2 v[8:9], v[8:9], off
.LBB124_12:
	s_or_b64 exec, exec, s[6:7]
	s_movk_i32 s6, 0x80
	v_cmp_gt_u32_e32 vcc, s6, v0
	s_waitcnt vmcnt(0)
	ds_write_b64 v5, v[8:9] offset:2048
	s_waitcnt lgkmcnt(0)
	s_barrier
	s_and_saveexec_b64 s[6:7], vcc
	s_cbranch_execz .LBB124_14
; %bb.13:
	v_add_u32_e32 v3, v6, v1
	ds_read_b128 v[8:11], v3
	v_add_u32_e32 v7, v1, v1
	ds_read_b128 v[12:15], v7 offset:2048
	ds_read_b128 v[16:19], v7
	ds_read_b128 v[20:23], v3 offset:2048
	v_add_u32_e32 v42, v5, v1
	s_waitcnt lgkmcnt(2)
	v_fma_f64 v[32:33], -v[10:11], v[12:13], 1.0
	v_div_scale_f64 v[34:35], s[8:9], v[32:33], v[32:33], 1.0
	v_rcp_f64_e32 v[36:37], v[34:35]
	v_div_scale_f64 v[38:39], vcc, 1.0, v[32:33], 1.0
	v_fma_f64 v[24:25], -v[34:35], v[36:37], 1.0
	v_fmac_f64_e32 v[36:37], v[36:37], v[24:25]
	v_fma_f64 v[24:25], -v[34:35], v[36:37], 1.0
	v_fmac_f64_e32 v[36:37], v[36:37], v[24:25]
	ds_read_b128 v[24:27], v42 offset:2048
	ds_read_b128 v[28:31], v42
	v_mul_f64 v[40:41], v[38:39], v[36:37]
	v_fma_f64 v[34:35], -v[34:35], v[40:41], v[38:39]
	v_div_fmas_f64 v[34:35], v[34:35], v[36:37], v[40:41]
	v_div_fixup_f64 v[36:37], v[34:35], v[32:33], 1.0
	s_waitcnt lgkmcnt(0)
	v_fma_f64 v[32:33], -v[12:13], v[30:31], v[24:25]
	v_fma_f64 v[24:25], -v[10:11], v[24:25], v[30:31]
	v_mul_f64 v[12:13], v[12:13], v[18:19]
	v_mul_f64 v[10:11], v[10:11], v[20:21]
	;; [unrolled: 1-line block ×4, first 2 shown]
	v_mul_f64 v[12:13], v[12:13], -v[36:37]
	v_mul_f64 v[18:19], v[36:37], v[18:19]
	v_mul_f64 v[10:11], v[10:11], -v[36:37]
	v_mul_f64 v[20:21], v[36:37], v[20:21]
	v_fma_f64 v[28:29], -v[30:31], v[16:17], v[28:29]
	v_fma_f64 v[34:35], -v[22:23], v[32:33], v[26:27]
	v_fma_f64 v[8:9], -v[10:11], v[16:17], v[8:9]
	v_mul_f64 v[16:17], v[18:19], -v[16:17]
	v_fma_f64 v[14:15], -v[12:13], v[22:23], v[14:15]
	v_mul_f64 v[22:23], v[20:21], -v[22:23]
	ds_write_b128 v42, v[28:31]
	ds_write_b128 v42, v[32:35] offset:2048
	ds_write_b128 v3, v[8:11]
	ds_write_b128 v7, v[16:19]
	ds_write_b128 v7, v[12:15] offset:2048
	ds_write_b128 v3, v[20:23] offset:2048
.LBB124_14:
	s_or_b64 exec, exec, s[6:7]
	v_cmp_gt_u32_e32 vcc, 64, v0
	s_waitcnt lgkmcnt(0)
	s_barrier
	s_and_saveexec_b64 s[6:7], vcc
	s_cbranch_execz .LBB124_16
; %bb.15:
	v_lshlrev_b32_e32 v3, 5, v0
	v_add_u32_e32 v7, 0x1000, v3
	v_add_u32_e32 v36, 0x800, v3
	ds_read2_b64 v[8:11], v7 offset1:2
	ds_read2_b64 v[12:15], v36 offset0:1 offset1:3
	v_mad_u32_u24 v37, v0, 24, v5
	v_add_u32_e32 v38, 0x800, v37
	v_add_u32_e32 v39, 0x1800, v3
	s_waitcnt lgkmcnt(0)
	v_fma_f64 v[24:25], -v[10:11], v[12:13], 1.0
	v_div_scale_f64 v[26:27], s[8:9], v[24:25], v[24:25], 1.0
	v_rcp_f64_e32 v[28:29], v[26:27]
	v_div_scale_f64 v[30:31], vcc, 1.0, v[24:25], 1.0
	v_fma_f64 v[16:17], -v[26:27], v[28:29], 1.0
	v_fmac_f64_e32 v[28:29], v[28:29], v[16:17]
	v_fma_f64 v[16:17], -v[26:27], v[28:29], 1.0
	v_fmac_f64_e32 v[28:29], v[28:29], v[16:17]
	ds_read2_b64 v[16:19], v38 offset0:1 offset1:3
	ds_read2_b64 v[20:23], v37 offset1:2
	v_mul_f64 v[32:33], v[30:31], v[28:29]
	v_fma_f64 v[26:27], -v[26:27], v[32:33], v[30:31]
	v_div_fmas_f64 v[26:27], v[26:27], v[28:29], v[32:33]
	v_div_fixup_f64 v[32:33], v[26:27], v[24:25], 1.0
	s_waitcnt lgkmcnt(0)
	v_fma_f64 v[24:25], -v[12:13], v[22:23], v[16:17]
	v_mul_f64 v[34:35], v[32:33], v[24:25]
	ds_read2_b64 v[24:27], v3 offset1:2
	ds_read2_b64 v[28:31], v39 offset0:1 offset1:3
	v_fma_f64 v[16:17], -v[10:11], v[16:17], v[22:23]
	v_mul_f64 v[16:17], v[16:17], v[32:33]
	s_waitcnt lgkmcnt(1)
	v_fma_f64 v[20:21], -v[16:17], v[24:25], v[20:21]
	s_waitcnt lgkmcnt(0)
	v_mul_f64 v[10:11], v[10:11], v[28:29]
	ds_write2_b64 v37, v[20:21], v[16:17] offset1:2
	v_fma_f64 v[16:17], -v[30:31], v[34:35], v[18:19]
	v_mul_f64 v[10:11], v[10:11], -v[32:33]
	ds_write2_b64 v38, v[34:35], v[16:17] offset0:1 offset1:3
	v_mul_f64 v[12:13], v[12:13], v[26:27]
	v_mul_f64 v[16:17], v[32:33], v[26:27]
	v_fma_f64 v[8:9], -v[10:11], v[24:25], v[8:9]
	v_mul_f64 v[12:13], v[12:13], -v[32:33]
	ds_write2_b64 v7, v[8:9], v[10:11] offset1:2
	v_mul_f64 v[8:9], v[16:17], -v[24:25]
	v_mul_f64 v[18:19], v[32:33], v[28:29]
	ds_write2_b64 v3, v[8:9], v[16:17] offset1:2
	v_fma_f64 v[8:9], -v[12:13], v[30:31], v[14:15]
	ds_write2_b64 v36, v[12:13], v[8:9] offset0:1 offset1:3
	v_mul_f64 v[8:9], v[18:19], -v[30:31]
	ds_write2_b64 v39, v[18:19], v[8:9] offset0:1 offset1:3
.LBB124_16:
	s_or_b64 exec, exec, s[6:7]
	v_cmp_gt_u32_e32 vcc, 32, v0
	s_waitcnt lgkmcnt(0)
	s_barrier
	s_and_saveexec_b64 s[6:7], vcc
	s_cbranch_execz .LBB124_18
; %bb.17:
	v_lshlrev_b32_e32 v3, 6, v0
	v_add_u32_e32 v7, 0x1000, v3
	v_add_u32_e32 v36, 0x800, v3
	ds_read2_b64 v[8:11], v7 offset1:4
	ds_read2_b64 v[12:15], v36 offset0:3 offset1:7
	v_add_u32_e32 v37, 0x2800, v3
	v_add_u32_e32 v38, 0x2000, v3
	ds_read2_b64 v[16:19], v37 offset0:3 offset1:7
	v_add_u32_e32 v39, 0x1800, v3
	s_waitcnt lgkmcnt(1)
	v_fma_f64 v[24:25], -v[10:11], v[12:13], 1.0
	v_div_scale_f64 v[26:27], s[8:9], v[24:25], v[24:25], 1.0
	v_rcp_f64_e32 v[28:29], v[26:27]
	v_div_scale_f64 v[30:31], vcc, 1.0, v[24:25], 1.0
	v_fma_f64 v[20:21], -v[26:27], v[28:29], 1.0
	v_fmac_f64_e32 v[28:29], v[28:29], v[20:21]
	v_fma_f64 v[20:21], -v[26:27], v[28:29], 1.0
	v_fmac_f64_e32 v[28:29], v[28:29], v[20:21]
	ds_read2_b64 v[20:23], v38 offset1:4
	v_mul_f64 v[32:33], v[30:31], v[28:29]
	v_fma_f64 v[26:27], -v[26:27], v[32:33], v[30:31]
	v_div_fmas_f64 v[26:27], v[26:27], v[28:29], v[32:33]
	v_div_fixup_f64 v[32:33], v[26:27], v[24:25], 1.0
	s_waitcnt lgkmcnt(0)
	v_fma_f64 v[24:25], -v[12:13], v[22:23], v[16:17]
	v_mul_f64 v[34:35], v[32:33], v[24:25]
	ds_read2_b64 v[24:27], v3 offset1:4
	ds_read2_b64 v[28:31], v39 offset0:3 offset1:7
	v_fma_f64 v[16:17], -v[10:11], v[16:17], v[22:23]
	v_mul_f64 v[16:17], v[16:17], v[32:33]
	s_waitcnt lgkmcnt(1)
	v_fma_f64 v[20:21], -v[16:17], v[24:25], v[20:21]
	s_waitcnt lgkmcnt(0)
	v_mul_f64 v[10:11], v[10:11], v[28:29]
	ds_write2_b64 v38, v[20:21], v[16:17] offset1:4
	v_fma_f64 v[16:17], -v[30:31], v[34:35], v[18:19]
	v_mul_f64 v[10:11], v[10:11], -v[32:33]
	ds_write2_b64 v37, v[34:35], v[16:17] offset0:3 offset1:7
	v_mul_f64 v[12:13], v[12:13], v[26:27]
	v_mul_f64 v[16:17], v[32:33], v[26:27]
	v_fma_f64 v[8:9], -v[10:11], v[24:25], v[8:9]
	v_mul_f64 v[12:13], v[12:13], -v[32:33]
	ds_write2_b64 v7, v[8:9], v[10:11] offset1:4
	v_mul_f64 v[8:9], v[16:17], -v[24:25]
	v_mul_f64 v[18:19], v[32:33], v[28:29]
	ds_write2_b64 v3, v[8:9], v[16:17] offset1:4
	v_fma_f64 v[8:9], -v[12:13], v[30:31], v[14:15]
	ds_write2_b64 v36, v[12:13], v[8:9] offset0:3 offset1:7
	v_mul_f64 v[8:9], v[18:19], -v[30:31]
	ds_write2_b64 v39, v[18:19], v[8:9] offset0:3 offset1:7
.LBB124_18:
	s_or_b64 exec, exec, s[6:7]
	v_cmp_gt_u32_e32 vcc, 16, v0
	s_waitcnt lgkmcnt(0)
	s_barrier
	s_and_saveexec_b64 s[6:7], vcc
	s_cbranch_execz .LBB124_20
; %bb.19:
	v_lshlrev_b32_e32 v3, 7, v0
	v_add_u32_e32 v7, 0x1000, v3
	v_add_u32_e32 v36, 0x800, v3
	ds_read2_b64 v[8:11], v7 offset1:8
	ds_read2_b64 v[12:15], v36 offset0:7 offset1:15
	v_add_u32_e32 v37, 0x2800, v3
	v_add_u32_e32 v38, 0x2000, v3
	ds_read2_b64 v[16:19], v37 offset0:7 offset1:15
	v_add_u32_e32 v39, 0x1800, v3
	s_waitcnt lgkmcnt(1)
	v_fma_f64 v[24:25], -v[10:11], v[12:13], 1.0
	v_div_scale_f64 v[26:27], s[8:9], v[24:25], v[24:25], 1.0
	v_rcp_f64_e32 v[28:29], v[26:27]
	v_div_scale_f64 v[30:31], vcc, 1.0, v[24:25], 1.0
	v_fma_f64 v[20:21], -v[26:27], v[28:29], 1.0
	v_fmac_f64_e32 v[28:29], v[28:29], v[20:21]
	v_fma_f64 v[20:21], -v[26:27], v[28:29], 1.0
	v_fmac_f64_e32 v[28:29], v[28:29], v[20:21]
	ds_read2_b64 v[20:23], v38 offset1:8
	v_mul_f64 v[32:33], v[30:31], v[28:29]
	v_fma_f64 v[26:27], -v[26:27], v[32:33], v[30:31]
	v_div_fmas_f64 v[26:27], v[26:27], v[28:29], v[32:33]
	v_div_fixup_f64 v[32:33], v[26:27], v[24:25], 1.0
	s_waitcnt lgkmcnt(0)
	v_fma_f64 v[24:25], -v[12:13], v[22:23], v[16:17]
	v_mul_f64 v[34:35], v[32:33], v[24:25]
	ds_read2_b64 v[24:27], v3 offset1:8
	ds_read2_b64 v[28:31], v39 offset0:7 offset1:15
	v_fma_f64 v[16:17], -v[10:11], v[16:17], v[22:23]
	v_mul_f64 v[16:17], v[16:17], v[32:33]
	s_waitcnt lgkmcnt(1)
	v_fma_f64 v[20:21], -v[16:17], v[24:25], v[20:21]
	s_waitcnt lgkmcnt(0)
	v_mul_f64 v[10:11], v[10:11], v[28:29]
	ds_write2_b64 v38, v[20:21], v[16:17] offset1:8
	v_fma_f64 v[16:17], -v[30:31], v[34:35], v[18:19]
	v_mul_f64 v[10:11], v[10:11], -v[32:33]
	ds_write2_b64 v37, v[34:35], v[16:17] offset0:7 offset1:15
	v_mul_f64 v[12:13], v[12:13], v[26:27]
	v_mul_f64 v[16:17], v[32:33], v[26:27]
	v_fma_f64 v[8:9], -v[10:11], v[24:25], v[8:9]
	v_mul_f64 v[12:13], v[12:13], -v[32:33]
	ds_write2_b64 v7, v[8:9], v[10:11] offset1:8
	v_mul_f64 v[8:9], v[16:17], -v[24:25]
	v_mul_f64 v[18:19], v[32:33], v[28:29]
	ds_write2_b64 v3, v[8:9], v[16:17] offset1:8
	v_fma_f64 v[8:9], -v[12:13], v[30:31], v[14:15]
	ds_write2_b64 v36, v[12:13], v[8:9] offset0:7 offset1:15
	v_mul_f64 v[8:9], v[18:19], -v[30:31]
	ds_write2_b64 v39, v[18:19], v[8:9] offset0:7 offset1:15
.LBB124_20:
	;; [unrolled: 58-line block ×4, first 2 shown]
	s_or_b64 exec, exec, s[6:7]
	v_cmp_gt_u32_e32 vcc, 2, v0
	s_waitcnt lgkmcnt(0)
	s_barrier
	s_and_saveexec_b64 s[6:7], vcc
	s_cbranch_execz .LBB124_26
; %bb.25:
	v_lshlrev_b32_e32 v3, 10, v0
	v_add_u32_e32 v7, 0x1f8, v3
	ds_read2st64_b64 v[8:11], v7 offset0:4 offset1:5
	ds_read2st64_b64 v[12:15], v3 offset0:8 offset1:9
	ds_read2st64_b64 v[16:19], v3 offset1:1
	ds_read2st64_b64 v[20:23], v7 offset0:12 offset1:13
	ds_read2st64_b64 v[24:27], v7 offset0:20 offset1:21
	s_waitcnt lgkmcnt(3)
	v_fma_f64 v[32:33], -v[14:15], v[8:9], 1.0
	v_div_scale_f64 v[34:35], s[8:9], v[32:33], v[32:33], 1.0
	v_rcp_f64_e32 v[36:37], v[34:35]
	v_div_scale_f64 v[38:39], vcc, 1.0, v[32:33], 1.0
	v_fma_f64 v[28:29], -v[34:35], v[36:37], 1.0
	v_fmac_f64_e32 v[36:37], v[36:37], v[28:29]
	v_fma_f64 v[28:29], -v[34:35], v[36:37], 1.0
	v_fmac_f64_e32 v[36:37], v[36:37], v[28:29]
	ds_read2st64_b64 v[28:31], v3 offset0:16 offset1:17
	v_mul_f64 v[40:41], v[38:39], v[36:37]
	v_fma_f64 v[34:35], -v[34:35], v[40:41], v[38:39]
	v_div_fmas_f64 v[34:35], v[34:35], v[36:37], v[40:41]
	v_div_fixup_f64 v[32:33], v[34:35], v[32:33], 1.0
	s_waitcnt lgkmcnt(0)
	v_fma_f64 v[34:35], -v[8:9], v[30:31], v[24:25]
	v_fma_f64 v[24:25], -v[14:15], v[24:25], v[30:31]
	v_mul_f64 v[8:9], v[8:9], v[18:19]
	v_mul_f64 v[14:15], v[14:15], v[20:21]
	;; [unrolled: 1-line block ×3, first 2 shown]
	v_mul_f64 v[8:9], v[8:9], -v[32:33]
	v_mul_f64 v[14:15], v[14:15], -v[32:33]
	v_mul_f64 v[34:35], v[32:33], v[34:35]
	v_fma_f64 v[28:29], -v[24:25], v[16:17], v[28:29]
	v_mul_f64 v[18:19], v[32:33], v[18:19]
	v_mul_f64 v[20:21], v[32:33], v[20:21]
	v_fma_f64 v[12:13], -v[14:15], v[16:17], v[12:13]
	v_fma_f64 v[10:11], -v[8:9], v[22:23], v[10:11]
	ds_write2st64_b64 v3, v[28:29], v[24:25] offset0:16 offset1:17
	v_fma_f64 v[24:25], -v[22:23], v[34:35], v[26:27]
	ds_write2st64_b64 v3, v[12:13], v[14:15] offset0:8 offset1:9
	v_mul_f64 v[12:13], v[18:19], -v[16:17]
	ds_write2st64_b64 v7, v[8:9], v[10:11] offset0:4 offset1:5
	v_mul_f64 v[8:9], v[20:21], -v[22:23]
	ds_write2st64_b64 v7, v[34:35], v[24:25] offset0:20 offset1:21
	ds_write2st64_b64 v3, v[12:13], v[18:19] offset1:1
	ds_write2st64_b64 v7, v[20:21], v[8:9] offset0:12 offset1:13
.LBB124_26:
	s_or_b64 exec, exec, s[6:7]
	v_cmp_eq_u32_e64 s[6:7], 0, v0
	s_waitcnt lgkmcnt(0)
	s_barrier
	s_and_saveexec_b64 s[8:9], s[6:7]
	s_cbranch_execz .LBB124_28
; %bb.27:
	s_movk_i32 s10, 0x1400
	v_add_u32_e64 v3, s10, 0
	v_mov_b32_e32 v0, 0
	ds_read2_b64 v[8:11], v3 offset1:255
	ds_read_b64 v[24:25], v0 offset:3064
	ds_read_b64 v[26:27], v0 offset:12280
	v_mov_b32_e32 v34, 0x1ff8
	s_waitcnt lgkmcnt(1)
	v_fma_f64 v[16:17], -v[8:9], v[24:25], 1.0
	v_div_scale_f64 v[18:19], s[10:11], v[16:17], v[16:17], 1.0
	v_rcp_f64_e32 v[20:21], v[18:19]
	s_movk_i32 s10, 0x2400
	v_add_u32_e64 v7, s10, 0
	v_div_scale_f64 v[22:23], vcc, 1.0, v[16:17], 1.0
	v_fma_f64 v[12:13], -v[18:19], v[20:21], 1.0
	v_fmac_f64_e32 v[20:21], v[20:21], v[12:13]
	v_fma_f64 v[12:13], -v[18:19], v[20:21], 1.0
	v_fmac_f64_e32 v[20:21], v[20:21], v[12:13]
	ds_read2_b64 v[12:15], v7 offset1:255
	v_mul_f64 v[28:29], v[22:23], v[20:21]
	v_fma_f64 v[18:19], -v[18:19], v[28:29], v[22:23]
	v_div_fmas_f64 v[18:19], v[18:19], v[20:21], v[28:29]
	v_div_fixup_f64 v[28:29], v[18:19], v[16:17], 1.0
	s_waitcnt lgkmcnt(0)
	v_fma_f64 v[16:17], -v[24:25], v[12:13], v[14:15]
	v_fma_f64 v[20:21], -v[8:9], v[14:15], v[12:13]
	v_mul_f64 v[30:31], v[28:29], v[16:17]
	v_mul_f64 v[32:33], v[20:21], v[28:29]
	ds_read2_b64 v[12:15], v34 offset1:1
	ds_read2st64_b64 v[16:19], v0 offset1:2
	ds_write2_b64 v7, v[32:33], v[30:31] offset1:255
	v_mov_b32_e32 v7, 0xff8
	ds_read2_b64 v[20:23], v7 offset1:1
	v_mul_f64 v[8:9], v[8:9], v[10:11]
	s_waitcnt lgkmcnt(2)
	v_mul_f64 v[24:25], v[24:25], v[18:19]
	v_mul_f64 v[18:19], v[28:29], v[18:19]
	v_mul_f64 v[8:9], v[8:9], -v[28:29]
	v_mul_f64 v[10:11], v[28:29], v[10:11]
	v_fma_f64 v[14:15], -v[32:33], v[16:17], v[14:15]
	v_mul_f64 v[24:25], v[24:25], -v[28:29]
	ds_write2_b64 v3, v[8:9], v[10:11] offset1:255
	s_waitcnt lgkmcnt(1)
	v_fma_f64 v[8:9], -v[8:9], v[16:17], v[22:23]
	v_mul_f64 v[16:17], v[18:19], -v[16:17]
	ds_write2st64_b64 v0, v[16:17], v[18:19] offset1:2
	v_fma_f64 v[16:17], -v[24:25], v[12:13], v[20:21]
	v_fma_f64 v[26:27], -v[12:13], v[30:31], v[26:27]
	ds_write2_b64 v7, v[16:17], v[8:9] offset1:1
	v_mul_f64 v[8:9], v[10:11], -v[12:13]
	ds_write_b64 v0, v[26:27] offset:12280
	ds_write_b64 v0, v[24:25] offset:3064
	ds_write2_b64 v34, v[8:9], v[14:15] offset1:1
.LBB124_28:
	s_or_b64 exec, exec, s[8:9]
	s_load_dwordx2 s[14:15], s[0:1], 0x48
	s_load_dwordx4 s[8:11], s[0:1], 0x38
	s_waitcnt lgkmcnt(0)
	s_barrier
	s_and_saveexec_b64 s[16:17], s[4:5]
	s_cbranch_execnz .LBB124_31
; %bb.29:
	s_or_b64 exec, exec, s[16:17]
	s_and_saveexec_b64 s[4:5], s[6:7]
	s_cbranch_execnz .LBB124_35
.LBB124_30:
	s_endpgm
.LBB124_31:
	s_cmp_eq_u32 s3, 0
	s_cbranch_scc1 .LBB124_39
; %bb.32:
	s_mul_i32 s18, s18, 7
	s_cbranch_execnz .LBB124_34
.LBB124_33:
	s_load_dwordx4 s[20:23], s[0:1], 0x28
	ds_read2st64_b64 v[6:9], v6 offset1:4
	v_ashrrev_i32_e32 v3, 31, v2
	v_lshlrev_b64 v[12:13], 3, v[2:3]
	v_add_u32_e32 v10, s19, v2
	s_waitcnt lgkmcnt(0)
	v_lshl_add_u64 v[2:3], s[20:21], 0, v[12:13]
	global_store_dwordx2 v[2:3], v[6:7], off
	ds_read2st64_b64 v[0:3], v1 offset1:4
	v_mov_b32_e32 v11, 0
	v_lshlrev_b64 v[6:7], 3, v[10:11]
	v_lshl_add_u64 v[10:11], s[20:21], 0, v[6:7]
	global_store_dwordx2 v[10:11], v[8:9], off
	v_lshl_add_u64 v[8:9], s[22:23], 0, v[12:13]
	s_waitcnt lgkmcnt(0)
	global_store_dwordx2 v[8:9], v[0:1], off
	v_lshl_add_u64 v[0:1], s[22:23], 0, v[6:7]
	s_mov_b32 s18, s19
	global_store_dwordx2 v[0:1], v[2:3], off
.LBB124_34:
	ds_read2st64_b64 v[0:3], v5 offset1:4
	v_ashrrev_i32_e32 v5, 31, v4
	v_add_u32_e32 v6, s18, v4
	v_mov_b32_e32 v7, 0
	v_lshl_add_u64 v[4:5], v[4:5], 3, s[12:13]
	s_waitcnt lgkmcnt(0)
	global_store_dwordx2 v[4:5], v[0:1], off
	v_lshl_add_u64 v[0:1], v[6:7], 3, s[12:13]
	global_store_dwordx2 v[0:1], v[2:3], off
	s_or_b64 exec, exec, s[16:17]
	s_and_saveexec_b64 s[4:5], s[6:7]
	s_cbranch_execz .LBB124_30
.LBB124_35:
	s_cmp_eq_u32 s3, 0
	s_cbranch_scc1 .LBB124_40
; %bb.36:
	s_load_dword s6, s[0:1], 0x50
	s_cbranch_execnz .LBB124_38
.LBB124_37:
	s_waitcnt lgkmcnt(0)
	s_load_dword s6, s[0:1], 0x50
	v_mov_b32_e32 v0, 0xff8
	ds_read2_b64 v[6:9], v0 offset1:1
	s_mov_b32 s4, s3
	s_ashr_i32 s3, s2, 31
	s_lshl_b64 s[12:13], s[2:3], 3
	v_mov_b32_e32 v4, 0
	s_mov_b32 s3, s4
	s_add_u32 s4, s10, s12
	ds_read_b64 v[2:3], v4 offset:8184
	s_addc_u32 s5, s11, s13
	s_waitcnt lgkmcnt(0)
	s_add_i32 s0, s6, s2
	s_mov_b32 s1, 0
	s_lshl_b64 s[0:1], s[0:1], 3
	global_store_dwordx2 v4, v[8:9], s[4:5]
	s_add_u32 s4, s10, s0
	ds_read_b64 v[0:1], v4
	s_addc_u32 s5, s11, s1
	global_store_dwordx2 v4, v[2:3], s[4:5]
	s_add_u32 s4, s14, s12
	s_addc_u32 s5, s15, s13
	s_add_u32 s0, s14, s0
	s_addc_u32 s1, s15, s1
	s_waitcnt lgkmcnt(0)
	global_store_dwordx2 v4, v[0:1], s[4:5]
	global_store_dwordx2 v4, v[6:7], s[0:1]
.LBB124_38:
	s_waitcnt lgkmcnt(0)
	s_mul_i32 s0, s6, s3
	s_lshl_b32 s0, s0, 1
	s_add_i32 s0, s0, s2
	s_mov_b32 s1, 0
	v_mov_b32_e32 v4, 0
	s_lshl_b64 s[2:3], s[0:1], 3
	ds_read_b64 v[0:1], v4 offset:8192
	ds_read_b64 v[2:3], v4 offset:12280
	s_add_u32 s2, s8, s2
	s_addc_u32 s3, s9, s3
	s_add_i32 s0, s0, s6
	s_lshl_b64 s[0:1], s[0:1], 3
	s_add_u32 s0, s8, s0
	s_addc_u32 s1, s9, s1
	s_waitcnt lgkmcnt(1)
	global_store_dwordx2 v4, v[0:1], s[2:3]
	s_waitcnt lgkmcnt(0)
	global_store_dwordx2 v4, v[2:3], s[0:1]
	s_endpgm
.LBB124_39:
                                        ; implicit-def: $sgpr18
	s_branch .LBB124_33
.LBB124_40:
                                        ; implicit-def: $sgpr6
	s_branch .LBB124_37
	.section	.rodata,"a",@progbits
	.p2align	6, 0x0
	.amdhsa_kernel _ZN9rocsparseL29gtsv_spike_block_level_kernelILj256ELj8EdEEviiiPT1_PKS1_S4_S2_S2_S2_S2_S2_
		.amdhsa_group_segment_fixed_size 12288
		.amdhsa_private_segment_fixed_size 0
		.amdhsa_kernarg_size 336
		.amdhsa_user_sgpr_count 2
		.amdhsa_user_sgpr_dispatch_ptr 0
		.amdhsa_user_sgpr_queue_ptr 0
		.amdhsa_user_sgpr_kernarg_segment_ptr 1
		.amdhsa_user_sgpr_dispatch_id 0
		.amdhsa_user_sgpr_kernarg_preload_length 0
		.amdhsa_user_sgpr_kernarg_preload_offset 0
		.amdhsa_user_sgpr_private_segment_size 0
		.amdhsa_uses_dynamic_stack 0
		.amdhsa_enable_private_segment 0
		.amdhsa_system_sgpr_workgroup_id_x 1
		.amdhsa_system_sgpr_workgroup_id_y 1
		.amdhsa_system_sgpr_workgroup_id_z 0
		.amdhsa_system_sgpr_workgroup_info 0
		.amdhsa_system_vgpr_workitem_id 0
		.amdhsa_next_free_vgpr 43
		.amdhsa_next_free_sgpr 24
		.amdhsa_accum_offset 44
		.amdhsa_reserve_vcc 1
		.amdhsa_float_round_mode_32 0
		.amdhsa_float_round_mode_16_64 0
		.amdhsa_float_denorm_mode_32 3
		.amdhsa_float_denorm_mode_16_64 3
		.amdhsa_dx10_clamp 1
		.amdhsa_ieee_mode 1
		.amdhsa_fp16_overflow 0
		.amdhsa_tg_split 0
		.amdhsa_exception_fp_ieee_invalid_op 0
		.amdhsa_exception_fp_denorm_src 0
		.amdhsa_exception_fp_ieee_div_zero 0
		.amdhsa_exception_fp_ieee_overflow 0
		.amdhsa_exception_fp_ieee_underflow 0
		.amdhsa_exception_fp_ieee_inexact 0
		.amdhsa_exception_int_div_zero 0
	.end_amdhsa_kernel
	.section	.text._ZN9rocsparseL29gtsv_spike_block_level_kernelILj256ELj8EdEEviiiPT1_PKS1_S4_S2_S2_S2_S2_S2_,"axG",@progbits,_ZN9rocsparseL29gtsv_spike_block_level_kernelILj256ELj8EdEEviiiPT1_PKS1_S4_S2_S2_S2_S2_S2_,comdat
.Lfunc_end124:
	.size	_ZN9rocsparseL29gtsv_spike_block_level_kernelILj256ELj8EdEEviiiPT1_PKS1_S4_S2_S2_S2_S2_S2_, .Lfunc_end124-_ZN9rocsparseL29gtsv_spike_block_level_kernelILj256ELj8EdEEviiiPT1_PKS1_S4_S2_S2_S2_S2_S2_
                                        ; -- End function
	.set _ZN9rocsparseL29gtsv_spike_block_level_kernelILj256ELj8EdEEviiiPT1_PKS1_S4_S2_S2_S2_S2_S2_.num_vgpr, 43
	.set _ZN9rocsparseL29gtsv_spike_block_level_kernelILj256ELj8EdEEviiiPT1_PKS1_S4_S2_S2_S2_S2_S2_.num_agpr, 0
	.set _ZN9rocsparseL29gtsv_spike_block_level_kernelILj256ELj8EdEEviiiPT1_PKS1_S4_S2_S2_S2_S2_S2_.numbered_sgpr, 24
	.set _ZN9rocsparseL29gtsv_spike_block_level_kernelILj256ELj8EdEEviiiPT1_PKS1_S4_S2_S2_S2_S2_S2_.num_named_barrier, 0
	.set _ZN9rocsparseL29gtsv_spike_block_level_kernelILj256ELj8EdEEviiiPT1_PKS1_S4_S2_S2_S2_S2_S2_.private_seg_size, 0
	.set _ZN9rocsparseL29gtsv_spike_block_level_kernelILj256ELj8EdEEviiiPT1_PKS1_S4_S2_S2_S2_S2_S2_.uses_vcc, 1
	.set _ZN9rocsparseL29gtsv_spike_block_level_kernelILj256ELj8EdEEviiiPT1_PKS1_S4_S2_S2_S2_S2_S2_.uses_flat_scratch, 0
	.set _ZN9rocsparseL29gtsv_spike_block_level_kernelILj256ELj8EdEEviiiPT1_PKS1_S4_S2_S2_S2_S2_S2_.has_dyn_sized_stack, 0
	.set _ZN9rocsparseL29gtsv_spike_block_level_kernelILj256ELj8EdEEviiiPT1_PKS1_S4_S2_S2_S2_S2_S2_.has_recursion, 0
	.set _ZN9rocsparseL29gtsv_spike_block_level_kernelILj256ELj8EdEEviiiPT1_PKS1_S4_S2_S2_S2_S2_S2_.has_indirect_call, 0
	.section	.AMDGPU.csdata,"",@progbits
; Kernel info:
; codeLenInByte = 4028
; TotalNumSgprs: 30
; NumVgprs: 43
; NumAgprs: 0
; TotalNumVgprs: 43
; ScratchSize: 0
; MemoryBound: 0
; FloatMode: 240
; IeeeMode: 1
; LDSByteSize: 12288 bytes/workgroup (compile time only)
; SGPRBlocks: 3
; VGPRBlocks: 5
; NumSGPRsForWavesPerEU: 30
; NumVGPRsForWavesPerEU: 43
; AccumOffset: 44
; Occupancy: 8
; WaveLimiterHint : 0
; COMPUTE_PGM_RSRC2:SCRATCH_EN: 0
; COMPUTE_PGM_RSRC2:USER_SGPR: 2
; COMPUTE_PGM_RSRC2:TRAP_HANDLER: 0
; COMPUTE_PGM_RSRC2:TGID_X_EN: 1
; COMPUTE_PGM_RSRC2:TGID_Y_EN: 1
; COMPUTE_PGM_RSRC2:TGID_Z_EN: 0
; COMPUTE_PGM_RSRC2:TIDIG_COMP_CNT: 0
; COMPUTE_PGM_RSRC3_GFX90A:ACCUM_OFFSET: 10
; COMPUTE_PGM_RSRC3_GFX90A:TG_SPLIT: 0
	.section	.text._ZN9rocsparseL33gtsv_solve_spike_propagate_kernelILj256ELj8EdEEviiiPT1_PKS1_S4_S4_,"axG",@progbits,_ZN9rocsparseL33gtsv_solve_spike_propagate_kernelILj256ELj8EdEEviiiPT1_PKS1_S4_S4_,comdat
	.globl	_ZN9rocsparseL33gtsv_solve_spike_propagate_kernelILj256ELj8EdEEviiiPT1_PKS1_S4_S4_ ; -- Begin function _ZN9rocsparseL33gtsv_solve_spike_propagate_kernelILj256ELj8EdEEviiiPT1_PKS1_S4_S4_
	.p2align	8
	.type	_ZN9rocsparseL33gtsv_solve_spike_propagate_kernelILj256ELj8EdEEviiiPT1_PKS1_S4_S4_,@function
_ZN9rocsparseL33gtsv_solve_spike_propagate_kernelILj256ELj8EdEEviiiPT1_PKS1_S4_S4_: ; @_ZN9rocsparseL33gtsv_solve_spike_propagate_kernelILj256ELj8EdEEviiiPT1_PKS1_S4_S4_
; %bb.0:
	s_load_dword s8, s[0:1], 0x0
	v_lshl_or_b32 v2, s2, 8, v0
	v_mov_b64_e32 v[4:5], 0
	v_ashrrev_i32_e32 v3, 31, v2
	v_mov_b64_e32 v[6:7], 0
	s_waitcnt lgkmcnt(0)
	s_lshr_b32 s14, s8, 3
	v_cmp_le_i32_e64 s[4:5], s14, v2
	v_cmp_gt_i32_e32 vcc, s14, v2
	s_and_saveexec_b64 s[6:7], vcc
	s_cbranch_execz .LBB125_2
; %bb.1:
	s_load_dwordx2 s[10:11], s[0:1], 0x18
	v_mad_u64_u32 v[4:5], s[12:13], s14, 7, v[2:3]
	v_mov_b32_e32 v5, 0
	s_waitcnt lgkmcnt(0)
	v_lshl_add_u64 v[8:9], v[2:3], 3, s[10:11]
	v_lshl_add_u64 v[10:11], v[4:5], 3, s[10:11]
	global_load_dwordx2 v[4:5], v[8:9], off
	global_load_dwordx2 v[6:7], v[10:11], off
.LBB125_2:
	s_or_b64 exec, exec, s[6:7]
	s_load_dwordx2 s[6:7], s[0:1], 0x10
	v_lshlrev_b32_e32 v1, 3, v0
	v_add_u32_e32 v8, 16, v1
	s_waitcnt vmcnt(0)
	ds_write2st64_b64 v8, v[4:5], v[6:7] offset0:16 offset1:20
	s_and_saveexec_b64 s[10:11], s[4:5]
	s_xor_b64 s[4:5], exec, s[10:11]
; %bb.3:
	s_mov_b32 s10, 0
	s_mov_b32 s11, s10
	v_mov_b64_e32 v[4:5], s[10:11]
	ds_write2st64_b64 v8, v[4:5], v[4:5] offset0:8 offset1:12
; %bb.4:
	s_or_saveexec_b64 s[4:5], s[4:5]
	v_mov_b64_e32 v[4:5], 0
	s_mul_i32 s8, s8, s3
	v_mov_b64_e32 v[6:7], 0
	s_xor_b64 exec, exec, s[4:5]
	s_cbranch_execz .LBB125_6
; %bb.5:
	s_load_dwordx2 s[10:11], s[0:1], 0x20
	v_mad_u64_u32 v[6:7], s[12:13], s14, 7, v[2:3]
	v_mov_b32_e32 v7, 0
	s_waitcnt lgkmcnt(0)
	v_lshl_add_u64 v[10:11], v[6:7], 3, s[10:11]
	v_add_u32_e32 v6, s8, v6
	v_lshl_add_u64 v[8:9], v[2:3], 3, s[10:11]
	v_lshl_add_u64 v[6:7], v[6:7], 3, s[6:7]
	global_load_dwordx2 v[12:13], v[8:9], off
	global_load_dwordx2 v[14:15], v[10:11], off
	v_add_u32_e32 v3, 16, v1
	global_load_dwordx2 v[6:7], v[6:7], off
	s_waitcnt vmcnt(1)
	ds_write2st64_b64 v3, v[12:13], v[14:15] offset0:8 offset1:12
.LBB125_6:
	s_or_b64 exec, exec, s[4:5]
	v_add_u32_e32 v2, s8, v2
	s_waitcnt vmcnt(0)
	ds_write_b64 v1, v[6:7] offset:8
	s_and_saveexec_b64 s[4:5], vcc
	s_cbranch_execz .LBB125_8
; %bb.7:
	v_ashrrev_i32_e32 v3, 31, v2
	s_waitcnt lgkmcnt(0)
	v_lshl_add_u64 v[4:5], v[2:3], 3, s[6:7]
	global_load_dwordx2 v[4:5], v[4:5], off
.LBB125_8:
	s_or_b64 exec, exec, s[4:5]
	v_cmp_eq_u32_e64 s[4:5], 0, v0
	s_waitcnt vmcnt(0)
	ds_write_b64 v1, v[4:5] offset:2056
	s_waitcnt lgkmcnt(0)
	s_barrier
	s_and_saveexec_b64 s[8:9], s[4:5]
	s_cbranch_execz .LBB125_14
; %bb.9:
	s_load_dword s15, s[0:1], 0x30
	s_load_dwordx2 s[10:11], s[0:1], 0x28
	s_cmp_lt_i32 s2, 1
	s_mov_b64 s[0:1], 0
	s_mov_b64 s[12:13], 0
	s_waitcnt lgkmcnt(0)
	s_mul_i32 s3, s3, s15
	s_cbranch_scc1 .LBB125_11
; %bb.10:
	s_lshl_b32 s12, s3, 1
	s_add_i32 s13, s2, s15
	s_add_i32 s12, s13, s12
	s_add_i32 s12, s12, -1
	s_mov_b32 s13, 0
	s_lshl_b64 s[12:13], s[12:13], 3
	s_add_u32 s12, s10, s12
	s_addc_u32 s13, s11, s13
	s_load_dwordx2 s[12:13], s[12:13], 0x0
.LBB125_11:
	s_waitcnt lgkmcnt(0)
	v_mov_b64_e32 v[4:5], s[12:13]
	s_add_i32 s12, s15, -1
	v_mov_b32_e32 v3, 0
	s_cmp_ge_u32 s2, s12
	ds_write_b64 v3, v[4:5]
	s_cbranch_scc1 .LBB125_13
; %bb.12:
	s_lshl_b32 s0, s3, 1
	s_add_i32 s0, s2, s0
	s_add_i32 s0, s0, 1
	s_mov_b32 s1, 0
	s_lshl_b64 s[0:1], s[0:1], 3
	s_add_u32 s0, s10, s0
	s_addc_u32 s1, s11, s1
	s_load_dwordx2 s[0:1], s[0:1], 0x0
.LBB125_13:
	s_lshl_b32 s3, s3, 1
	s_add_i32 s2, s3, s2
	s_mov_b32 s3, 0
	s_lshl_b64 s[12:13], s[2:3], 3
	s_add_u32 s12, s10, s12
	s_addc_u32 s13, s11, s13
	s_add_i32 s2, s2, s15
	s_lshl_b64 s[2:3], s[2:3], 3
	s_add_u32 s2, s10, s2
	s_addc_u32 s3, s11, s3
	s_load_dwordx2 s[10:11], s[2:3], 0x0
	s_load_dwordx2 s[16:17], s[12:13], 0x0
	s_waitcnt lgkmcnt(0)
	v_mov_b64_e32 v[4:5], s[0:1]
	ds_write_b64 v3, v[4:5] offset:4104
	v_mov_b32_e32 v4, s10
	v_mov_b32_e32 v5, s11
	;; [unrolled: 1-line block ×4, first 2 shown]
	ds_write_b128 v3, v[4:7] offset:2048
.LBB125_14:
	s_or_b64 exec, exec, s[8:9]
	s_waitcnt lgkmcnt(0)
	s_barrier
	s_and_saveexec_b64 s[0:1], s[4:5]
	s_cbranch_execz .LBB125_16
; %bb.15:
	s_movk_i32 s2, 0x1410
	v_mov_b32_e32 v3, 0
	v_add_u32_e64 v8, s2, 0
	v_add_u32_e64 v12, 8, 0
	s_movk_i32 s2, 0x2410
	ds_read2st64_b64 v[4:7], v3 offset1:2
	ds_read2_b64 v[8:11], v8 offset1:255
	ds_read2st64_b64 v[12:15], v12 offset0:6 offset1:8
	v_add_u32_e64 v16, s2, 0
	ds_read2_b64 v[16:19], v16 offset1:255
	s_waitcnt lgkmcnt(1)
	v_fma_f64 v[6:7], -v[10:11], v[14:15], v[6:7]
	s_waitcnt lgkmcnt(0)
	v_fma_f64 v[6:7], -v[18:19], v[4:5], v[6:7]
	ds_write_b64 v3, v[6:7] offset:1024
	v_fma_f64 v[6:7], -v[8:9], v[14:15], v[12:13]
	v_fma_f64 v[4:5], -v[16:17], v[4:5], v[6:7]
	ds_write_b64 v3, v[4:5] offset:3080
.LBB125_16:
	s_or_b64 exec, exec, s[0:1]
	v_cmp_gt_u32_e64 s[0:1], 2, v0
	s_waitcnt lgkmcnt(0)
	s_barrier
	s_and_saveexec_b64 s[2:3], s[0:1]
	s_cbranch_execz .LBB125_18
; %bb.17:
	s_movk_i32 s0, 0x3f8
	v_mad_u32_u24 v3, v0, s0, v1
	v_lshlrev_b32_e32 v16, 10, v0
	v_add_u32_e32 v8, 0x1210, v16
	v_add_u32_e32 v12, 8, v3
	ds_read2st64_b64 v[4:7], v3 offset1:1
	ds_read2_b64 v[8:11], v8 offset1:255
	ds_read2st64_b64 v[12:15], v12 offset0:5 offset1:6
	v_add_u32_e32 v16, 0x2210, v16
	ds_read2_b64 v[16:19], v16 offset1:255
	s_waitcnt lgkmcnt(1)
	v_fma_f64 v[6:7], -v[10:11], v[14:15], v[6:7]
	s_waitcnt lgkmcnt(0)
	v_fma_f64 v[6:7], -v[18:19], v[4:5], v[6:7]
	ds_write_b64 v3, v[6:7] offset:512
	v_fma_f64 v[6:7], -v[8:9], v[14:15], v[12:13]
	v_fma_f64 v[4:5], -v[16:17], v[4:5], v[6:7]
	ds_write_b64 v3, v[4:5] offset:2568
.LBB125_18:
	s_or_b64 exec, exec, s[2:3]
	v_cmp_gt_u32_e64 s[0:1], 4, v0
	s_waitcnt lgkmcnt(0)
	s_barrier
	s_and_saveexec_b64 s[2:3], s[0:1]
	s_cbranch_execz .LBB125_20
; %bb.19:
	v_lshlrev_b32_e32 v3, 9, v0
	v_add_u32_e32 v8, 0x1110, v3
	v_add_u32_e32 v12, 0x800, v3
	ds_read2_b64 v[4:7], v3 offset1:32
	ds_read2_b64 v[8:11], v8 offset1:255
	ds_read2_b64 v[12:15], v12 offset0:33 offset1:65
	v_add_u32_e32 v16, 0x2110, v3
	ds_read2_b64 v[16:19], v16 offset1:255
	s_waitcnt lgkmcnt(1)
	v_fma_f64 v[6:7], -v[10:11], v[14:15], v[6:7]
	s_waitcnt lgkmcnt(0)
	v_fma_f64 v[6:7], -v[18:19], v[4:5], v[6:7]
	ds_write_b64 v3, v[6:7] offset:256
	v_fma_f64 v[6:7], -v[8:9], v[14:15], v[12:13]
	v_fma_f64 v[4:5], -v[16:17], v[4:5], v[6:7]
	ds_write_b64 v3, v[4:5] offset:2312
.LBB125_20:
	s_or_b64 exec, exec, s[2:3]
	v_cmp_gt_u32_e64 s[0:1], 8, v0
	s_waitcnt lgkmcnt(0)
	s_barrier
	s_and_saveexec_b64 s[2:3], s[0:1]
	s_cbranch_execz .LBB125_22
; %bb.21:
	v_lshlrev_b32_e32 v3, 8, v0
	v_add_u32_e32 v8, 0x1090, v3
	v_add_u32_e32 v12, 0x800, v3
	ds_read2_b64 v[4:7], v3 offset1:16
	ds_read2_b64 v[8:11], v8 offset1:255
	ds_read2_b64 v[12:15], v12 offset0:17 offset1:33
	v_add_u32_e32 v16, 0x2090, v3
	ds_read2_b64 v[16:19], v16 offset1:255
	s_waitcnt lgkmcnt(1)
	v_fma_f64 v[6:7], -v[10:11], v[14:15], v[6:7]
	s_waitcnt lgkmcnt(0)
	v_fma_f64 v[6:7], -v[18:19], v[4:5], v[6:7]
	ds_write_b64 v3, v[6:7] offset:128
	v_fma_f64 v[6:7], -v[8:9], v[14:15], v[12:13]
	v_fma_f64 v[4:5], -v[16:17], v[4:5], v[6:7]
	ds_write_b64 v3, v[4:5] offset:2184
.LBB125_22:
	;; [unrolled: 24-line block ×5, first 2 shown]
	s_or_b64 exec, exec, s[2:3]
	s_movk_i32 s0, 0x80
	v_cmp_gt_u32_e64 s[0:1], s0, v0
	s_waitcnt lgkmcnt(0)
	s_barrier
	s_and_saveexec_b64 s[2:3], s[0:1]
	s_cbranch_execz .LBB125_30
; %bb.29:
	v_lshlrev_b32_e32 v0, 4, v0
	v_add_u32_e32 v3, 0x1018, v0
	ds_read2_b64 v[4:7], v3 offset1:255
	ds_read_b128 v[8:11], v0
	ds_read_b128 v[12:15], v0 offset:2064
	v_add_u32_e32 v3, 0x2018, v0
	ds_read2_b64 v[16:19], v3 offset1:255
	s_waitcnt lgkmcnt(1)
	v_fma_f64 v[6:7], -v[6:7], v[14:15], v[10:11]
	v_fma_f64 v[4:5], -v[4:5], v[14:15], v[12:13]
	s_waitcnt lgkmcnt(0)
	v_fma_f64 v[6:7], -v[18:19], v[8:9], v[6:7]
	v_fma_f64 v[4:5], -v[16:17], v[8:9], v[4:5]
	ds_write_b64 v0, v[6:7] offset:8
	ds_write_b64 v0, v[4:5] offset:2064
.LBB125_30:
	s_or_b64 exec, exec, s[2:3]
	s_waitcnt lgkmcnt(0)
	s_barrier
	s_and_saveexec_b64 s[0:1], vcc
	s_cbranch_execz .LBB125_32
; %bb.31:
	v_add_u32_e32 v0, 8, v1
	ds_read2st64_b64 v[4:7], v0 offset1:4
	v_ashrrev_i32_e32 v3, 31, v2
	v_lshl_add_u64 v[0:1], v[2:3], 3, s[6:7]
	v_mad_u64_u32 v[2:3], s[0:1], s14, 7, v[2:3]
	v_mov_b32_e32 v3, 0
	s_waitcnt lgkmcnt(0)
	global_store_dwordx2 v[0:1], v[6:7], off
	v_lshl_add_u64 v[0:1], v[2:3], 3, s[6:7]
	global_store_dwordx2 v[0:1], v[4:5], off
.LBB125_32:
	s_endpgm
	.section	.rodata,"a",@progbits
	.p2align	6, 0x0
	.amdhsa_kernel _ZN9rocsparseL33gtsv_solve_spike_propagate_kernelILj256ELj8EdEEviiiPT1_PKS1_S4_S4_
		.amdhsa_group_segment_fixed_size 12304
		.amdhsa_private_segment_fixed_size 0
		.amdhsa_kernarg_size 304
		.amdhsa_user_sgpr_count 2
		.amdhsa_user_sgpr_dispatch_ptr 0
		.amdhsa_user_sgpr_queue_ptr 0
		.amdhsa_user_sgpr_kernarg_segment_ptr 1
		.amdhsa_user_sgpr_dispatch_id 0
		.amdhsa_user_sgpr_kernarg_preload_length 0
		.amdhsa_user_sgpr_kernarg_preload_offset 0
		.amdhsa_user_sgpr_private_segment_size 0
		.amdhsa_uses_dynamic_stack 0
		.amdhsa_enable_private_segment 0
		.amdhsa_system_sgpr_workgroup_id_x 1
		.amdhsa_system_sgpr_workgroup_id_y 1
		.amdhsa_system_sgpr_workgroup_id_z 0
		.amdhsa_system_sgpr_workgroup_info 0
		.amdhsa_system_vgpr_workitem_id 0
		.amdhsa_next_free_vgpr 20
		.amdhsa_next_free_sgpr 18
		.amdhsa_accum_offset 20
		.amdhsa_reserve_vcc 1
		.amdhsa_float_round_mode_32 0
		.amdhsa_float_round_mode_16_64 0
		.amdhsa_float_denorm_mode_32 3
		.amdhsa_float_denorm_mode_16_64 3
		.amdhsa_dx10_clamp 1
		.amdhsa_ieee_mode 1
		.amdhsa_fp16_overflow 0
		.amdhsa_tg_split 0
		.amdhsa_exception_fp_ieee_invalid_op 0
		.amdhsa_exception_fp_denorm_src 0
		.amdhsa_exception_fp_ieee_div_zero 0
		.amdhsa_exception_fp_ieee_overflow 0
		.amdhsa_exception_fp_ieee_underflow 0
		.amdhsa_exception_fp_ieee_inexact 0
		.amdhsa_exception_int_div_zero 0
	.end_amdhsa_kernel
	.section	.text._ZN9rocsparseL33gtsv_solve_spike_propagate_kernelILj256ELj8EdEEviiiPT1_PKS1_S4_S4_,"axG",@progbits,_ZN9rocsparseL33gtsv_solve_spike_propagate_kernelILj256ELj8EdEEviiiPT1_PKS1_S4_S4_,comdat
.Lfunc_end125:
	.size	_ZN9rocsparseL33gtsv_solve_spike_propagate_kernelILj256ELj8EdEEviiiPT1_PKS1_S4_S4_, .Lfunc_end125-_ZN9rocsparseL33gtsv_solve_spike_propagate_kernelILj256ELj8EdEEviiiPT1_PKS1_S4_S4_
                                        ; -- End function
	.set _ZN9rocsparseL33gtsv_solve_spike_propagate_kernelILj256ELj8EdEEviiiPT1_PKS1_S4_S4_.num_vgpr, 20
	.set _ZN9rocsparseL33gtsv_solve_spike_propagate_kernelILj256ELj8EdEEviiiPT1_PKS1_S4_S4_.num_agpr, 0
	.set _ZN9rocsparseL33gtsv_solve_spike_propagate_kernelILj256ELj8EdEEviiiPT1_PKS1_S4_S4_.numbered_sgpr, 18
	.set _ZN9rocsparseL33gtsv_solve_spike_propagate_kernelILj256ELj8EdEEviiiPT1_PKS1_S4_S4_.num_named_barrier, 0
	.set _ZN9rocsparseL33gtsv_solve_spike_propagate_kernelILj256ELj8EdEEviiiPT1_PKS1_S4_S4_.private_seg_size, 0
	.set _ZN9rocsparseL33gtsv_solve_spike_propagate_kernelILj256ELj8EdEEviiiPT1_PKS1_S4_S4_.uses_vcc, 1
	.set _ZN9rocsparseL33gtsv_solve_spike_propagate_kernelILj256ELj8EdEEviiiPT1_PKS1_S4_S4_.uses_flat_scratch, 0
	.set _ZN9rocsparseL33gtsv_solve_spike_propagate_kernelILj256ELj8EdEEviiiPT1_PKS1_S4_S4_.has_dyn_sized_stack, 0
	.set _ZN9rocsparseL33gtsv_solve_spike_propagate_kernelILj256ELj8EdEEviiiPT1_PKS1_S4_S4_.has_recursion, 0
	.set _ZN9rocsparseL33gtsv_solve_spike_propagate_kernelILj256ELj8EdEEviiiPT1_PKS1_S4_S4_.has_indirect_call, 0
	.section	.AMDGPU.csdata,"",@progbits
; Kernel info:
; codeLenInByte = 1868
; TotalNumSgprs: 24
; NumVgprs: 20
; NumAgprs: 0
; TotalNumVgprs: 20
; ScratchSize: 0
; MemoryBound: 0
; FloatMode: 240
; IeeeMode: 1
; LDSByteSize: 12304 bytes/workgroup (compile time only)
; SGPRBlocks: 2
; VGPRBlocks: 2
; NumSGPRsForWavesPerEU: 24
; NumVGPRsForWavesPerEU: 20
; AccumOffset: 20
; Occupancy: 8
; WaveLimiterHint : 0
; COMPUTE_PGM_RSRC2:SCRATCH_EN: 0
; COMPUTE_PGM_RSRC2:USER_SGPR: 2
; COMPUTE_PGM_RSRC2:TRAP_HANDLER: 0
; COMPUTE_PGM_RSRC2:TGID_X_EN: 1
; COMPUTE_PGM_RSRC2:TGID_Y_EN: 1
; COMPUTE_PGM_RSRC2:TGID_Z_EN: 0
; COMPUTE_PGM_RSRC2:TIDIG_COMP_CNT: 0
; COMPUTE_PGM_RSRC3_GFX90A:ACCUM_OFFSET: 4
; COMPUTE_PGM_RSRC3_GFX90A:TG_SPLIT: 0
	.section	.text._ZN9rocsparseL39gtsv_spike_backward_substitution_kernelILj256ELj8EdEEviiiPT1_PKS1_S4_,"axG",@progbits,_ZN9rocsparseL39gtsv_spike_backward_substitution_kernelILj256ELj8EdEEviiiPT1_PKS1_S4_,comdat
	.globl	_ZN9rocsparseL39gtsv_spike_backward_substitution_kernelILj256ELj8EdEEviiiPT1_PKS1_S4_ ; -- Begin function _ZN9rocsparseL39gtsv_spike_backward_substitution_kernelILj256ELj8EdEEviiiPT1_PKS1_S4_
	.p2align	8
	.type	_ZN9rocsparseL39gtsv_spike_backward_substitution_kernelILj256ELj8EdEEviiiPT1_PKS1_S4_,@function
_ZN9rocsparseL39gtsv_spike_backward_substitution_kernelILj256ELj8EdEEviiiPT1_PKS1_S4_: ; @_ZN9rocsparseL39gtsv_spike_backward_substitution_kernelILj256ELj8EdEEviiiPT1_PKS1_S4_
; %bb.0:
	s_load_dword s6, s[0:1], 0x0
	v_lshl_or_b32 v4, s2, 8, v0
	s_waitcnt lgkmcnt(0)
	s_lshr_b32 s12, s6, 3
	v_cmp_gt_i32_e32 vcc, s12, v4
	s_and_saveexec_b64 s[4:5], vcc
	s_cbranch_execz .LBB126_6
; %bb.1:
	s_load_dwordx2 s[8:9], s[0:1], 0x10
	v_cmp_lt_i32_e32 vcc, 0, v4
	v_mov_b64_e32 v[0:1], 0
	s_mul_i32 s2, s6, s3
	s_and_saveexec_b64 s[4:5], vcc
	s_cbranch_execz .LBB126_3
; %bb.2:
	s_mul_i32 s7, s12, 7
	s_mul_i32 s3, s6, s3
	s_add_i32 s7, s7, s3
	v_add3_u32 v0, v4, s7, -1
	v_mov_b32_e32 v1, 0
	s_waitcnt lgkmcnt(0)
	v_lshl_add_u64 v[0:1], v[0:1], 3, s[8:9]
	global_load_dwordx2 v[0:1], v[0:1], off
.LBB126_3:
	s_or_b64 exec, exec, s[4:5]
	v_add_u32_e32 v2, 8, v4
	v_cmp_le_u32_e32 vcc, s6, v2
	s_and_saveexec_b64 s[4:5], vcc
	s_xor_b64 s[4:5], exec, s[4:5]
	s_or_saveexec_b64 s[10:11], s[4:5]
	s_load_dwordx4 s[4:7], s[0:1], 0x18
	v_mov_b64_e32 v[2:3], 0
	v_mov_b32_e32 v5, s2
	s_xor_b64 exec, exec, s[10:11]
	s_cbranch_execz .LBB126_5
; %bb.4:
	s_ashr_i32 s3, s2, 31
	v_ashrrev_i32_e32 v5, 31, v4
	v_lshl_add_u64 v[2:3], v[4:5], 0, s[2:3]
	s_waitcnt lgkmcnt(0)
	v_lshl_add_u64 v[2:3], v[2:3], 3, s[8:9]
	global_load_dwordx2 v[2:3], v[2:3], off offset:8
	v_mov_b32_e32 v5, s2
.LBB126_5:
	s_or_b64 exec, exec, s[10:11]
	v_add_u32_e32 v6, s12, v4
	v_add_u32_e32 v8, v6, v5
	v_ashrrev_i32_e32 v7, 31, v6
	v_ashrrev_i32_e32 v9, 31, v8
	v_lshlrev_b64 v[12:13], 3, v[6:7]
	s_waitcnt lgkmcnt(0)
	v_lshl_add_u64 v[8:9], v[8:9], 3, s[8:9]
	v_lshl_add_u64 v[14:15], s[4:5], 0, v[12:13]
	global_load_dwordx2 v[10:11], v[8:9], off
	v_lshl_add_u64 v[12:13], s[6:7], 0, v[12:13]
	global_load_dwordx2 v[14:15], v[14:15], off
	v_add_u32_e32 v6, s12, v6
	global_load_dwordx2 v[12:13], v[12:13], off
	v_ashrrev_i32_e32 v7, 31, v6
	v_lshlrev_b64 v[18:19], 3, v[6:7]
	v_lshl_add_u64 v[20:21], s[4:5], 0, v[18:19]
	v_add_u32_e32 v16, v6, v5
	global_load_dwordx2 v[20:21], v[20:21], off
	v_ashrrev_i32_e32 v17, 31, v16
	v_lshl_add_u64 v[16:17], v[16:17], 3, s[8:9]
	v_lshl_add_u64 v[18:19], s[6:7], 0, v[18:19]
	v_add_u32_e32 v6, s12, v6
	v_ashrrev_i32_e32 v7, 31, v6
	s_waitcnt vmcnt(2)
	v_fma_f64 v[10:11], -v[0:1], v[14:15], v[10:11]
	v_lshlrev_b64 v[14:15], 3, v[6:7]
	s_waitcnt vmcnt(1)
	v_fma_f64 v[10:11], -v[2:3], v[12:13], v[10:11]
	global_store_dwordx2 v[8:9], v[10:11], off
	global_load_dwordx2 v[8:9], v[16:17], off
	s_nop 0
	global_load_dwordx2 v[10:11], v[18:19], off
	v_add_u32_e32 v12, v6, v5
	v_ashrrev_i32_e32 v13, 31, v12
	v_lshl_add_u64 v[18:19], s[4:5], 0, v[14:15]
	v_lshl_add_u64 v[12:13], v[12:13], 3, s[8:9]
	global_load_dwordx2 v[18:19], v[18:19], off
	v_lshl_add_u64 v[14:15], s[6:7], 0, v[14:15]
	v_add_u32_e32 v6, s12, v6
	v_ashrrev_i32_e32 v7, 31, v6
	s_waitcnt vmcnt(2)
	v_fma_f64 v[8:9], -v[0:1], v[20:21], v[8:9]
	s_waitcnt vmcnt(1)
	v_fma_f64 v[8:9], -v[2:3], v[10:11], v[8:9]
	global_store_dwordx2 v[16:17], v[8:9], off
	global_load_dwordx2 v[8:9], v[12:13], off
	s_nop 0
	global_load_dwordx2 v[10:11], v[14:15], off
	v_add_u32_e32 v14, v6, v5
	v_lshlrev_b64 v[16:17], 3, v[6:7]
	v_ashrrev_i32_e32 v15, 31, v14
	v_lshl_add_u64 v[20:21], s[4:5], 0, v[16:17]
	v_lshl_add_u64 v[14:15], v[14:15], 3, s[8:9]
	global_load_dwordx2 v[20:21], v[20:21], off
	v_lshl_add_u64 v[16:17], s[6:7], 0, v[16:17]
	v_add_u32_e32 v6, s12, v6
	v_ashrrev_i32_e32 v7, 31, v6
	v_add_u32_e32 v4, s12, v6
	s_waitcnt vmcnt(2)
	v_fma_f64 v[8:9], -v[0:1], v[18:19], v[8:9]
	s_waitcnt vmcnt(1)
	v_fma_f64 v[8:9], -v[2:3], v[10:11], v[8:9]
	global_store_dwordx2 v[12:13], v[8:9], off
	global_load_dwordx2 v[8:9], v[14:15], off
	s_nop 0
	global_load_dwordx2 v[10:11], v[16:17], off
	v_add_u32_e32 v12, v6, v5
	v_lshlrev_b64 v[16:17], 3, v[6:7]
	v_ashrrev_i32_e32 v13, 31, v12
	v_lshl_add_u64 v[18:19], s[4:5], 0, v[16:17]
	v_lshl_add_u64 v[12:13], v[12:13], 3, s[8:9]
	global_load_dwordx2 v[18:19], v[18:19], off
	v_lshl_add_u64 v[16:17], s[6:7], 0, v[16:17]
	v_add_u32_e32 v6, v4, v5
	v_ashrrev_i32_e32 v5, 31, v4
	v_ashrrev_i32_e32 v7, 31, v6
	v_lshlrev_b64 v[4:5], 3, v[4:5]
	v_lshl_add_u64 v[6:7], v[6:7], 3, s[8:9]
	s_waitcnt vmcnt(2)
	v_fma_f64 v[8:9], -v[0:1], v[20:21], v[8:9]
	s_waitcnt vmcnt(1)
	v_fma_f64 v[8:9], -v[2:3], v[10:11], v[8:9]
	global_store_dwordx2 v[14:15], v[8:9], off
	global_load_dwordx2 v[8:9], v[12:13], off
	s_nop 0
	global_load_dwordx2 v[10:11], v[16:17], off
	v_lshl_add_u64 v[14:15], s[4:5], 0, v[4:5]
	global_load_dwordx2 v[14:15], v[14:15], off
	v_lshl_add_u64 v[4:5], s[6:7], 0, v[4:5]
	global_load_dwordx2 v[4:5], v[4:5], off
	s_waitcnt vmcnt(3)
	v_fma_f64 v[8:9], -v[0:1], v[18:19], v[8:9]
	s_waitcnt vmcnt(2)
	v_fma_f64 v[8:9], -v[2:3], v[10:11], v[8:9]
	global_store_dwordx2 v[12:13], v[8:9], off
	global_load_dwordx2 v[8:9], v[6:7], off
	s_waitcnt vmcnt(0)
	v_fma_f64 v[0:1], -v[0:1], v[14:15], v[8:9]
	v_fma_f64 v[0:1], -v[2:3], v[4:5], v[0:1]
	global_store_dwordx2 v[6:7], v[0:1], off
.LBB126_6:
	s_endpgm
	.section	.rodata,"a",@progbits
	.p2align	6, 0x0
	.amdhsa_kernel _ZN9rocsparseL39gtsv_spike_backward_substitution_kernelILj256ELj8EdEEviiiPT1_PKS1_S4_
		.amdhsa_group_segment_fixed_size 0
		.amdhsa_private_segment_fixed_size 0
		.amdhsa_kernarg_size 40
		.amdhsa_user_sgpr_count 2
		.amdhsa_user_sgpr_dispatch_ptr 0
		.amdhsa_user_sgpr_queue_ptr 0
		.amdhsa_user_sgpr_kernarg_segment_ptr 1
		.amdhsa_user_sgpr_dispatch_id 0
		.amdhsa_user_sgpr_kernarg_preload_length 0
		.amdhsa_user_sgpr_kernarg_preload_offset 0
		.amdhsa_user_sgpr_private_segment_size 0
		.amdhsa_uses_dynamic_stack 0
		.amdhsa_enable_private_segment 0
		.amdhsa_system_sgpr_workgroup_id_x 1
		.amdhsa_system_sgpr_workgroup_id_y 1
		.amdhsa_system_sgpr_workgroup_id_z 0
		.amdhsa_system_sgpr_workgroup_info 0
		.amdhsa_system_vgpr_workitem_id 0
		.amdhsa_next_free_vgpr 22
		.amdhsa_next_free_sgpr 13
		.amdhsa_accum_offset 24
		.amdhsa_reserve_vcc 1
		.amdhsa_float_round_mode_32 0
		.amdhsa_float_round_mode_16_64 0
		.amdhsa_float_denorm_mode_32 3
		.amdhsa_float_denorm_mode_16_64 3
		.amdhsa_dx10_clamp 1
		.amdhsa_ieee_mode 1
		.amdhsa_fp16_overflow 0
		.amdhsa_tg_split 0
		.amdhsa_exception_fp_ieee_invalid_op 0
		.amdhsa_exception_fp_denorm_src 0
		.amdhsa_exception_fp_ieee_div_zero 0
		.amdhsa_exception_fp_ieee_overflow 0
		.amdhsa_exception_fp_ieee_underflow 0
		.amdhsa_exception_fp_ieee_inexact 0
		.amdhsa_exception_int_div_zero 0
	.end_amdhsa_kernel
	.section	.text._ZN9rocsparseL39gtsv_spike_backward_substitution_kernelILj256ELj8EdEEviiiPT1_PKS1_S4_,"axG",@progbits,_ZN9rocsparseL39gtsv_spike_backward_substitution_kernelILj256ELj8EdEEviiiPT1_PKS1_S4_,comdat
.Lfunc_end126:
	.size	_ZN9rocsparseL39gtsv_spike_backward_substitution_kernelILj256ELj8EdEEviiiPT1_PKS1_S4_, .Lfunc_end126-_ZN9rocsparseL39gtsv_spike_backward_substitution_kernelILj256ELj8EdEEviiiPT1_PKS1_S4_
                                        ; -- End function
	.set _ZN9rocsparseL39gtsv_spike_backward_substitution_kernelILj256ELj8EdEEviiiPT1_PKS1_S4_.num_vgpr, 22
	.set _ZN9rocsparseL39gtsv_spike_backward_substitution_kernelILj256ELj8EdEEviiiPT1_PKS1_S4_.num_agpr, 0
	.set _ZN9rocsparseL39gtsv_spike_backward_substitution_kernelILj256ELj8EdEEviiiPT1_PKS1_S4_.numbered_sgpr, 13
	.set _ZN9rocsparseL39gtsv_spike_backward_substitution_kernelILj256ELj8EdEEviiiPT1_PKS1_S4_.num_named_barrier, 0
	.set _ZN9rocsparseL39gtsv_spike_backward_substitution_kernelILj256ELj8EdEEviiiPT1_PKS1_S4_.private_seg_size, 0
	.set _ZN9rocsparseL39gtsv_spike_backward_substitution_kernelILj256ELj8EdEEviiiPT1_PKS1_S4_.uses_vcc, 1
	.set _ZN9rocsparseL39gtsv_spike_backward_substitution_kernelILj256ELj8EdEEviiiPT1_PKS1_S4_.uses_flat_scratch, 0
	.set _ZN9rocsparseL39gtsv_spike_backward_substitution_kernelILj256ELj8EdEEviiiPT1_PKS1_S4_.has_dyn_sized_stack, 0
	.set _ZN9rocsparseL39gtsv_spike_backward_substitution_kernelILj256ELj8EdEEviiiPT1_PKS1_S4_.has_recursion, 0
	.set _ZN9rocsparseL39gtsv_spike_backward_substitution_kernelILj256ELj8EdEEviiiPT1_PKS1_S4_.has_indirect_call, 0
	.section	.AMDGPU.csdata,"",@progbits
; Kernel info:
; codeLenInByte = 844
; TotalNumSgprs: 19
; NumVgprs: 22
; NumAgprs: 0
; TotalNumVgprs: 22
; ScratchSize: 0
; MemoryBound: 0
; FloatMode: 240
; IeeeMode: 1
; LDSByteSize: 0 bytes/workgroup (compile time only)
; SGPRBlocks: 2
; VGPRBlocks: 2
; NumSGPRsForWavesPerEU: 19
; NumVGPRsForWavesPerEU: 22
; AccumOffset: 24
; Occupancy: 8
; WaveLimiterHint : 0
; COMPUTE_PGM_RSRC2:SCRATCH_EN: 0
; COMPUTE_PGM_RSRC2:USER_SGPR: 2
; COMPUTE_PGM_RSRC2:TRAP_HANDLER: 0
; COMPUTE_PGM_RSRC2:TGID_X_EN: 1
; COMPUTE_PGM_RSRC2:TGID_Y_EN: 1
; COMPUTE_PGM_RSRC2:TGID_Z_EN: 0
; COMPUTE_PGM_RSRC2:TIDIG_COMP_CNT: 0
; COMPUTE_PGM_RSRC3_GFX90A:ACCUM_OFFSET: 5
; COMPUTE_PGM_RSRC3_GFX90A:TG_SPLIT: 0
	.section	.text._ZN9rocsparseL32gtsv_transpose_back_array_kernelILj256ELj8EdEEviiiPKT1_PS1_,"axG",@progbits,_ZN9rocsparseL32gtsv_transpose_back_array_kernelILj256ELj8EdEEviiiPKT1_PS1_,comdat
	.globl	_ZN9rocsparseL32gtsv_transpose_back_array_kernelILj256ELj8EdEEviiiPKT1_PS1_ ; -- Begin function _ZN9rocsparseL32gtsv_transpose_back_array_kernelILj256ELj8EdEEviiiPKT1_PS1_
	.p2align	8
	.type	_ZN9rocsparseL32gtsv_transpose_back_array_kernelILj256ELj8EdEEviiiPKT1_PS1_,@function
_ZN9rocsparseL32gtsv_transpose_back_array_kernelILj256ELj8EdEEviiiPKT1_PS1_: ; @_ZN9rocsparseL32gtsv_transpose_back_array_kernelILj256ELj8EdEEviiiPKT1_PS1_
; %bb.0:
	s_load_dwordx4 s[4:7], s[0:1], 0x0
	v_lshl_or_b32 v0, s2, 8, v0
	v_lshlrev_b32_e32 v2, 3, v0
	s_waitcnt lgkmcnt(0)
	v_cvt_f32_u32_e32 v1, s5
	s_sub_i32 s2, 0, s5
	v_rcp_iflag_f32_e32 v1, v1
	s_nop 0
	v_mul_f32_e32 v1, 0x4f7ffffe, v1
	v_cvt_u32_f32_e32 v1, v1
	v_mul_lo_u32 v3, s2, v1
	v_mul_hi_u32 v3, v1, v3
	v_add_u32_e32 v1, v1, v3
	v_mul_hi_u32 v1, v2, v1
	v_mul_lo_u32 v3, v1, s5
	v_sub_u32_e32 v3, v2, v3
	v_add_u32_e32 v4, 1, v1
	v_cmp_le_u32_e32 vcc, s5, v3
	s_nop 1
	v_cndmask_b32_e32 v1, v1, v4, vcc
	v_subrev_u32_e32 v4, s5, v3
	v_cndmask_b32_e32 v3, v3, v4, vcc
	v_add_u32_e32 v4, 1, v1
	v_cmp_le_u32_e32 vcc, s5, v3
	s_nop 1
	v_cndmask_b32_e32 v1, v1, v4, vcc
	v_mul_lo_u32 v3, v1, s5
	v_sub_u32_e32 v2, v2, v3
	v_add_u32_e32 v1, v1, v2
	v_cmp_gt_i32_e32 vcc, s4, v1
	s_and_saveexec_b64 s[8:9], vcc
	s_cbranch_execz .LBB127_2
; %bb.1:
	s_load_dwordx4 s[8:11], s[0:1], 0x10
	s_mul_i32 s0, s5, s3
	v_add_u32_e32 v2, s0, v0
	v_ashrrev_i32_e32 v3, 31, v2
	s_mul_i32 s0, s6, s3
	s_waitcnt lgkmcnt(0)
	v_lshl_add_u64 v[2:3], v[2:3], 3, s[8:9]
	global_load_dwordx2 v[2:3], v[2:3], off
	v_add_u32_e32 v0, s0, v1
	v_ashrrev_i32_e32 v1, 31, v0
	v_lshl_add_u64 v[0:1], v[0:1], 3, s[10:11]
	s_waitcnt vmcnt(0)
	global_store_dwordx2 v[0:1], v[2:3], off
.LBB127_2:
	s_endpgm
	.section	.rodata,"a",@progbits
	.p2align	6, 0x0
	.amdhsa_kernel _ZN9rocsparseL32gtsv_transpose_back_array_kernelILj256ELj8EdEEviiiPKT1_PS1_
		.amdhsa_group_segment_fixed_size 0
		.amdhsa_private_segment_fixed_size 0
		.amdhsa_kernarg_size 32
		.amdhsa_user_sgpr_count 2
		.amdhsa_user_sgpr_dispatch_ptr 0
		.amdhsa_user_sgpr_queue_ptr 0
		.amdhsa_user_sgpr_kernarg_segment_ptr 1
		.amdhsa_user_sgpr_dispatch_id 0
		.amdhsa_user_sgpr_kernarg_preload_length 0
		.amdhsa_user_sgpr_kernarg_preload_offset 0
		.amdhsa_user_sgpr_private_segment_size 0
		.amdhsa_uses_dynamic_stack 0
		.amdhsa_enable_private_segment 0
		.amdhsa_system_sgpr_workgroup_id_x 1
		.amdhsa_system_sgpr_workgroup_id_y 1
		.amdhsa_system_sgpr_workgroup_id_z 0
		.amdhsa_system_sgpr_workgroup_info 0
		.amdhsa_system_vgpr_workitem_id 0
		.amdhsa_next_free_vgpr 5
		.amdhsa_next_free_sgpr 12
		.amdhsa_accum_offset 8
		.amdhsa_reserve_vcc 1
		.amdhsa_float_round_mode_32 0
		.amdhsa_float_round_mode_16_64 0
		.amdhsa_float_denorm_mode_32 3
		.amdhsa_float_denorm_mode_16_64 3
		.amdhsa_dx10_clamp 1
		.amdhsa_ieee_mode 1
		.amdhsa_fp16_overflow 0
		.amdhsa_tg_split 0
		.amdhsa_exception_fp_ieee_invalid_op 0
		.amdhsa_exception_fp_denorm_src 0
		.amdhsa_exception_fp_ieee_div_zero 0
		.amdhsa_exception_fp_ieee_overflow 0
		.amdhsa_exception_fp_ieee_underflow 0
		.amdhsa_exception_fp_ieee_inexact 0
		.amdhsa_exception_int_div_zero 0
	.end_amdhsa_kernel
	.section	.text._ZN9rocsparseL32gtsv_transpose_back_array_kernelILj256ELj8EdEEviiiPKT1_PS1_,"axG",@progbits,_ZN9rocsparseL32gtsv_transpose_back_array_kernelILj256ELj8EdEEviiiPKT1_PS1_,comdat
.Lfunc_end127:
	.size	_ZN9rocsparseL32gtsv_transpose_back_array_kernelILj256ELj8EdEEviiiPKT1_PS1_, .Lfunc_end127-_ZN9rocsparseL32gtsv_transpose_back_array_kernelILj256ELj8EdEEviiiPKT1_PS1_
                                        ; -- End function
	.set _ZN9rocsparseL32gtsv_transpose_back_array_kernelILj256ELj8EdEEviiiPKT1_PS1_.num_vgpr, 5
	.set _ZN9rocsparseL32gtsv_transpose_back_array_kernelILj256ELj8EdEEviiiPKT1_PS1_.num_agpr, 0
	.set _ZN9rocsparseL32gtsv_transpose_back_array_kernelILj256ELj8EdEEviiiPKT1_PS1_.numbered_sgpr, 12
	.set _ZN9rocsparseL32gtsv_transpose_back_array_kernelILj256ELj8EdEEviiiPKT1_PS1_.num_named_barrier, 0
	.set _ZN9rocsparseL32gtsv_transpose_back_array_kernelILj256ELj8EdEEviiiPKT1_PS1_.private_seg_size, 0
	.set _ZN9rocsparseL32gtsv_transpose_back_array_kernelILj256ELj8EdEEviiiPKT1_PS1_.uses_vcc, 1
	.set _ZN9rocsparseL32gtsv_transpose_back_array_kernelILj256ELj8EdEEviiiPKT1_PS1_.uses_flat_scratch, 0
	.set _ZN9rocsparseL32gtsv_transpose_back_array_kernelILj256ELj8EdEEviiiPKT1_PS1_.has_dyn_sized_stack, 0
	.set _ZN9rocsparseL32gtsv_transpose_back_array_kernelILj256ELj8EdEEviiiPKT1_PS1_.has_recursion, 0
	.set _ZN9rocsparseL32gtsv_transpose_back_array_kernelILj256ELj8EdEEviiiPKT1_PS1_.has_indirect_call, 0
	.section	.AMDGPU.csdata,"",@progbits
; Kernel info:
; codeLenInByte = 236
; TotalNumSgprs: 18
; NumVgprs: 5
; NumAgprs: 0
; TotalNumVgprs: 5
; ScratchSize: 0
; MemoryBound: 0
; FloatMode: 240
; IeeeMode: 1
; LDSByteSize: 0 bytes/workgroup (compile time only)
; SGPRBlocks: 2
; VGPRBlocks: 0
; NumSGPRsForWavesPerEU: 18
; NumVGPRsForWavesPerEU: 5
; AccumOffset: 8
; Occupancy: 8
; WaveLimiterHint : 0
; COMPUTE_PGM_RSRC2:SCRATCH_EN: 0
; COMPUTE_PGM_RSRC2:USER_SGPR: 2
; COMPUTE_PGM_RSRC2:TRAP_HANDLER: 0
; COMPUTE_PGM_RSRC2:TGID_X_EN: 1
; COMPUTE_PGM_RSRC2:TGID_Y_EN: 1
; COMPUTE_PGM_RSRC2:TGID_Z_EN: 0
; COMPUTE_PGM_RSRC2:TIDIG_COMP_CNT: 0
; COMPUTE_PGM_RSRC3_GFX90A:ACCUM_OFFSET: 1
; COMPUTE_PGM_RSRC3_GFX90A:TG_SPLIT: 0
	.section	.text._ZN9rocsparseL42gtsv_transpose_and_pad_array_shared_kernelILj256ELj16EdEEviiiPKT1_PS1_S1_,"axG",@progbits,_ZN9rocsparseL42gtsv_transpose_and_pad_array_shared_kernelILj256ELj16EdEEviiiPKT1_PS1_S1_,comdat
	.globl	_ZN9rocsparseL42gtsv_transpose_and_pad_array_shared_kernelILj256ELj16EdEEviiiPKT1_PS1_S1_ ; -- Begin function _ZN9rocsparseL42gtsv_transpose_and_pad_array_shared_kernelILj256ELj16EdEEviiiPKT1_PS1_S1_
	.p2align	8
	.type	_ZN9rocsparseL42gtsv_transpose_and_pad_array_shared_kernelILj256ELj16EdEEviiiPKT1_PS1_S1_,@function
_ZN9rocsparseL42gtsv_transpose_and_pad_array_shared_kernelILj256ELj16EdEEviiiPKT1_PS1_S1_: ; @_ZN9rocsparseL42gtsv_transpose_and_pad_array_shared_kernelILj256ELj16EdEEviiiPKT1_PS1_S1_
; %bb.0:
	s_load_dwordx4 s[4:7], s[0:1], 0x0
	s_load_dwordx2 s[8:9], s[0:1], 0x20
	v_lshl_or_b32 v1, s2, 8, v0
	s_waitcnt lgkmcnt(0)
	v_cmp_gt_i32_e32 vcc, s4, v1
	v_mov_b64_e32 v[4:5], s[8:9]
	s_and_saveexec_b64 s[8:9], vcc
	s_cbranch_execz .LBB128_2
; %bb.1:
	s_load_dwordx2 s[10:11], s[0:1], 0x10
	s_mul_i32 s4, s6, s3
	v_add_u32_e32 v2, s4, v1
	v_ashrrev_i32_e32 v3, 31, v2
	s_waitcnt lgkmcnt(0)
	v_lshl_add_u64 v[2:3], v[2:3], 3, s[10:11]
	global_load_dwordx2 v[4:5], v[2:3], off
.LBB128_2:
	s_or_b64 exec, exec, s[8:9]
	v_lshrrev_b32_e32 v2, 4, v0
	v_and_b32_e32 v3, 15, v0
	v_lshlrev_b32_e32 v0, 3, v0
	s_waitcnt vmcnt(0)
	ds_write_b64 v0, v[4:5]
	s_lshr_b32 s4, s5, 4
	v_lshl_or_b32 v0, s2, 4, v3
	v_mad_u64_u32 v[0:1], s[6:7], s4, v2, v[0:1]
	v_cmp_gt_i32_e32 vcc, s5, v0
	s_waitcnt lgkmcnt(0)
	s_barrier
	s_and_saveexec_b64 s[6:7], vcc
	s_cbranch_execz .LBB128_4
; %bb.3:
	v_lshlrev_b32_e32 v1, 3, v2
	s_load_dwordx2 s[0:1], s[0:1], 0x18
	v_lshl_or_b32 v1, v3, 7, v1
	ds_read_b64 v[2:3], v1
	s_mul_i32 s2, s5, s3
	v_add_u32_e32 v0, s2, v0
	v_ashrrev_i32_e32 v1, 31, v0
	s_waitcnt lgkmcnt(0)
	v_lshl_add_u64 v[0:1], v[0:1], 3, s[0:1]
	global_store_dwordx2 v[0:1], v[2:3], off
.LBB128_4:
	s_endpgm
	.section	.rodata,"a",@progbits
	.p2align	6, 0x0
	.amdhsa_kernel _ZN9rocsparseL42gtsv_transpose_and_pad_array_shared_kernelILj256ELj16EdEEviiiPKT1_PS1_S1_
		.amdhsa_group_segment_fixed_size 2048
		.amdhsa_private_segment_fixed_size 0
		.amdhsa_kernarg_size 40
		.amdhsa_user_sgpr_count 2
		.amdhsa_user_sgpr_dispatch_ptr 0
		.amdhsa_user_sgpr_queue_ptr 0
		.amdhsa_user_sgpr_kernarg_segment_ptr 1
		.amdhsa_user_sgpr_dispatch_id 0
		.amdhsa_user_sgpr_kernarg_preload_length 0
		.amdhsa_user_sgpr_kernarg_preload_offset 0
		.amdhsa_user_sgpr_private_segment_size 0
		.amdhsa_uses_dynamic_stack 0
		.amdhsa_enable_private_segment 0
		.amdhsa_system_sgpr_workgroup_id_x 1
		.amdhsa_system_sgpr_workgroup_id_y 1
		.amdhsa_system_sgpr_workgroup_id_z 0
		.amdhsa_system_sgpr_workgroup_info 0
		.amdhsa_system_vgpr_workitem_id 0
		.amdhsa_next_free_vgpr 6
		.amdhsa_next_free_sgpr 12
		.amdhsa_accum_offset 8
		.amdhsa_reserve_vcc 1
		.amdhsa_float_round_mode_32 0
		.amdhsa_float_round_mode_16_64 0
		.amdhsa_float_denorm_mode_32 3
		.amdhsa_float_denorm_mode_16_64 3
		.amdhsa_dx10_clamp 1
		.amdhsa_ieee_mode 1
		.amdhsa_fp16_overflow 0
		.amdhsa_tg_split 0
		.amdhsa_exception_fp_ieee_invalid_op 0
		.amdhsa_exception_fp_denorm_src 0
		.amdhsa_exception_fp_ieee_div_zero 0
		.amdhsa_exception_fp_ieee_overflow 0
		.amdhsa_exception_fp_ieee_underflow 0
		.amdhsa_exception_fp_ieee_inexact 0
		.amdhsa_exception_int_div_zero 0
	.end_amdhsa_kernel
	.section	.text._ZN9rocsparseL42gtsv_transpose_and_pad_array_shared_kernelILj256ELj16EdEEviiiPKT1_PS1_S1_,"axG",@progbits,_ZN9rocsparseL42gtsv_transpose_and_pad_array_shared_kernelILj256ELj16EdEEviiiPKT1_PS1_S1_,comdat
.Lfunc_end128:
	.size	_ZN9rocsparseL42gtsv_transpose_and_pad_array_shared_kernelILj256ELj16EdEEviiiPKT1_PS1_S1_, .Lfunc_end128-_ZN9rocsparseL42gtsv_transpose_and_pad_array_shared_kernelILj256ELj16EdEEviiiPKT1_PS1_S1_
                                        ; -- End function
	.set _ZN9rocsparseL42gtsv_transpose_and_pad_array_shared_kernelILj256ELj16EdEEviiiPKT1_PS1_S1_.num_vgpr, 6
	.set _ZN9rocsparseL42gtsv_transpose_and_pad_array_shared_kernelILj256ELj16EdEEviiiPKT1_PS1_S1_.num_agpr, 0
	.set _ZN9rocsparseL42gtsv_transpose_and_pad_array_shared_kernelILj256ELj16EdEEviiiPKT1_PS1_S1_.numbered_sgpr, 12
	.set _ZN9rocsparseL42gtsv_transpose_and_pad_array_shared_kernelILj256ELj16EdEEviiiPKT1_PS1_S1_.num_named_barrier, 0
	.set _ZN9rocsparseL42gtsv_transpose_and_pad_array_shared_kernelILj256ELj16EdEEviiiPKT1_PS1_S1_.private_seg_size, 0
	.set _ZN9rocsparseL42gtsv_transpose_and_pad_array_shared_kernelILj256ELj16EdEEviiiPKT1_PS1_S1_.uses_vcc, 1
	.set _ZN9rocsparseL42gtsv_transpose_and_pad_array_shared_kernelILj256ELj16EdEEviiiPKT1_PS1_S1_.uses_flat_scratch, 0
	.set _ZN9rocsparseL42gtsv_transpose_and_pad_array_shared_kernelILj256ELj16EdEEviiiPKT1_PS1_S1_.has_dyn_sized_stack, 0
	.set _ZN9rocsparseL42gtsv_transpose_and_pad_array_shared_kernelILj256ELj16EdEEviiiPKT1_PS1_S1_.has_recursion, 0
	.set _ZN9rocsparseL42gtsv_transpose_and_pad_array_shared_kernelILj256ELj16EdEEviiiPKT1_PS1_S1_.has_indirect_call, 0
	.section	.AMDGPU.csdata,"",@progbits
; Kernel info:
; codeLenInByte = 216
; TotalNumSgprs: 18
; NumVgprs: 6
; NumAgprs: 0
; TotalNumVgprs: 6
; ScratchSize: 0
; MemoryBound: 0
; FloatMode: 240
; IeeeMode: 1
; LDSByteSize: 2048 bytes/workgroup (compile time only)
; SGPRBlocks: 2
; VGPRBlocks: 0
; NumSGPRsForWavesPerEU: 18
; NumVGPRsForWavesPerEU: 6
; AccumOffset: 8
; Occupancy: 8
; WaveLimiterHint : 0
; COMPUTE_PGM_RSRC2:SCRATCH_EN: 0
; COMPUTE_PGM_RSRC2:USER_SGPR: 2
; COMPUTE_PGM_RSRC2:TRAP_HANDLER: 0
; COMPUTE_PGM_RSRC2:TGID_X_EN: 1
; COMPUTE_PGM_RSRC2:TGID_Y_EN: 1
; COMPUTE_PGM_RSRC2:TGID_Z_EN: 0
; COMPUTE_PGM_RSRC2:TIDIG_COMP_CNT: 0
; COMPUTE_PGM_RSRC3_GFX90A:ACCUM_OFFSET: 1
; COMPUTE_PGM_RSRC3_GFX90A:TG_SPLIT: 0
	.section	.text._ZN9rocsparseL18gtsv_LBM_wv_kernelILj256ELj16EdEEviiiPKT1_S3_S3_PS1_S4_S4_Pi,"axG",@progbits,_ZN9rocsparseL18gtsv_LBM_wv_kernelILj256ELj16EdEEviiiPKT1_S3_S3_PS1_S4_S4_Pi,comdat
	.globl	_ZN9rocsparseL18gtsv_LBM_wv_kernelILj256ELj16EdEEviiiPKT1_S3_S3_PS1_S4_S4_Pi ; -- Begin function _ZN9rocsparseL18gtsv_LBM_wv_kernelILj256ELj16EdEEviiiPKT1_S3_S3_PS1_S4_S4_Pi
	.p2align	8
	.type	_ZN9rocsparseL18gtsv_LBM_wv_kernelILj256ELj16EdEEviiiPKT1_S3_S3_PS1_S4_S4_Pi,@function
_ZN9rocsparseL18gtsv_LBM_wv_kernelILj256ELj16EdEEviiiPKT1_S3_S3_PS1_S4_S4_Pi: ; @_ZN9rocsparseL18gtsv_LBM_wv_kernelILj256ELj16EdEEviiiPKT1_S3_S3_PS1_S4_S4_Pi
; %bb.0:
	s_load_dword s27, s[0:1], 0x0
	v_lshl_or_b32 v0, s2, 8, v0
	s_waitcnt lgkmcnt(0)
	s_lshr_b32 s26, s27, 4
	v_cmp_gt_i32_e32 vcc, s26, v0
	s_and_saveexec_b64 s[2:3], vcc
	s_cbranch_execz .LBB129_30
; %bb.1:
	s_load_dwordx2 s[16:17], s[0:1], 0x10
	s_load_dwordx8 s[8:15], s[0:1], 0x20
	v_ashrrev_i32_e32 v1, 31, v0
	s_mul_i32 s28, s26, 15
	v_lshlrev_b64 v[2:3], 3, v[0:1]
	v_add_u32_e32 v6, s28, v0
	v_mov_b32_e32 v7, 0
	s_waitcnt lgkmcnt(0)
	v_lshl_add_u64 v[4:5], s[16:17], 0, v[2:3]
	v_lshlrev_b64 v[8:9], 3, v[6:7]
	global_load_dwordx2 v[4:5], v[4:5], off
	v_lshl_add_u64 v[10:11], s[8:9], 0, v[8:9]
	global_load_dwordx2 v[10:11], v[10:11], off
	s_load_dwordx2 s[6:7], s[0:1], 0x40
	v_lshl_add_u64 v[2:3], s[10:11], 0, v[2:3]
	s_cmp_lt_i32 s27, 1
	v_add_u32_e32 v36, s26, v0
	v_lshl_add_u64 v[8:9], s[12:13], 0, v[8:9]
	s_waitcnt vmcnt(1)
	global_store_dwordx2 v[2:3], v[4:5], off
	s_waitcnt vmcnt(1)
	global_store_dwordx2 v[8:9], v[10:11], off
	v_mov_b32_e32 v4, v7
	s_cbranch_scc1 .LBB129_23
; %bb.2:
	s_load_dwordx2 s[18:19], s[0:1], 0x18
	s_mov_b32 s22, 0x372fe950
	s_mul_i32 s29, s26, 14
	s_lshl_b32 s30, s26, 1
	s_mov_b64 s[20:21], 0
	s_waitcnt lgkmcnt(0)
	v_lshl_add_u64 v[4:5], v[0:1], 3, s[18:19]
	global_load_dwordx2 v[6:7], v[4:5], off
	v_add_u32_e32 v1, s26, v36
	v_mov_b32_e32 v4, 0
	s_mov_b32 s23, 0x3fe3c6ef
	v_mov_b32_e32 v37, 2
	v_mov_b32_e32 v38, 1
	s_branch .LBB129_5
.LBB129_3:                              ;   in Loop: Header=BB129_5 Depth=1
	s_or_b64 exec, exec, s[4:5]
	v_fma_f64 v[6:7], -v[6:7], v[20:21], v[10:11]
	v_mov_b32_e32 v5, s26
.LBB129_4:                              ;   in Loop: Header=BB129_5 Depth=1
	s_or_b64 exec, exec, s[2:3]
	v_add_u32_e32 v4, v5, v4
	v_cmp_le_i32_e32 vcc, s27, v4
	s_or_b64 s[20:21], vcc, s[20:21]
	s_andn2_b64 exec, exec, s[20:21]
	s_cbranch_execz .LBB129_22
.LBB129_5:                              ; =>This Inner Loop Header: Depth=1
	v_add_u32_e32 v14, v4, v0
	v_ashrrev_i32_e32 v15, 31, v14
	v_lshl_add_u64 v[8:9], v[14:15], 3, s[8:9]
	global_load_dwordx2 v[12:13], v[8:9], off
	v_cmp_gt_u32_e64 s[0:1], s28, v4
	v_mov_b64_e32 v[10:11], 0
	v_mov_b64_e32 v[8:9], 0
	s_and_saveexec_b64 s[2:3], s[0:1]
	s_cbranch_execz .LBB129_7
; %bb.6:                                ;   in Loop: Header=BB129_5 Depth=1
	v_add_u32_e32 v8, v36, v4
	v_ashrrev_i32_e32 v9, 31, v8
	v_lshl_add_u64 v[8:9], v[8:9], 3, s[16:17]
	global_load_dwordx2 v[8:9], v[8:9], off
.LBB129_7:                              ;   in Loop: Header=BB129_5 Depth=1
	s_or_b64 exec, exec, s[2:3]
	s_and_saveexec_b64 s[2:3], s[0:1]
	s_cbranch_execz .LBB129_9
; %bb.8:                                ;   in Loop: Header=BB129_5 Depth=1
	v_add_u32_e32 v10, v36, v4
	v_ashrrev_i32_e32 v11, 31, v10
	v_lshl_add_u64 v[10:11], v[10:11], 3, s[18:19]
	global_load_dwordx2 v[10:11], v[10:11], off
.LBB129_9:                              ;   in Loop: Header=BB129_5 Depth=1
	s_or_b64 exec, exec, s[2:3]
	v_mov_b64_e32 v[18:19], 0
	v_mov_b64_e32 v[16:17], 0
	s_and_saveexec_b64 s[2:3], s[0:1]
	s_cbranch_execz .LBB129_11
; %bb.10:                               ;   in Loop: Header=BB129_5 Depth=1
	v_add_u32_e32 v16, v36, v4
	v_ashrrev_i32_e32 v17, 31, v16
	v_lshl_add_u64 v[16:17], v[16:17], 3, s[8:9]
	global_load_dwordx2 v[16:17], v[16:17], off
.LBB129_11:                             ;   in Loop: Header=BB129_5 Depth=1
	s_or_b64 exec, exec, s[2:3]
	v_cmp_gt_u32_e64 s[2:3], s29, v4
	s_and_saveexec_b64 s[4:5], s[2:3]
	s_cbranch_execz .LBB129_13
; %bb.12:                               ;   in Loop: Header=BB129_5 Depth=1
	v_add_u32_e32 v18, v1, v4
	v_ashrrev_i32_e32 v19, 31, v18
	v_lshl_add_u64 v[18:19], v[18:19], 3, s[16:17]
	global_load_dwordx2 v[18:19], v[18:19], off
.LBB129_13:                             ;   in Loop: Header=BB129_5 Depth=1
	s_or_b64 exec, exec, s[4:5]
	s_waitcnt vmcnt(0)
	v_xor_b32_e32 v5, 0x80000000, v9
	v_cmp_gt_f64_e32 vcc, 0, v[8:9]
	v_mov_b32_e32 v20, v8
	v_mov_b32_e32 v22, v18
	v_cndmask_b32_e32 v21, v9, v5, vcc
	v_xor_b32_e32 v5, 0x80000000, v19
	v_cmp_gt_f64_e32 vcc, 0, v[18:19]
	v_cmp_ne_u32_e64 s[4:5], s28, v4
	s_nop 0
	v_cndmask_b32_e32 v23, v19, v5, vcc
	v_cmp_lt_f64_e32 vcc, v[20:21], v[22:23]
	v_xor_b32_e32 v5, 0x80000000, v11
	v_mov_b32_e32 v22, v10
	v_cndmask_b32_e32 v21, v21, v23, vcc
	v_cndmask_b32_e32 v20, v8, v18, vcc
	v_cmp_gt_f64_e32 vcc, 0, v[10:11]
	s_nop 1
	v_cndmask_b32_e32 v23, v11, v5, vcc
	v_cmp_lt_f64_e32 vcc, v[22:23], v[20:21]
	v_xor_b32_e32 v5, 0x80000000, v13
	v_mov_b32_e32 v22, v12
	v_cndmask_b32_e32 v21, v23, v21, vcc
	v_cndmask_b32_e32 v20, v10, v20, vcc
	v_cmp_gt_f64_e32 vcc, 0, v[12:13]
	;; [unrolled: 8-line block ×4, first 2 shown]
	s_nop 1
	v_cndmask_b32_e32 v23, v7, v5, vcc
	v_mul_f64 v[22:23], v[22:23], v[20:21]
	v_mul_f64 v[20:21], v[12:13], v[8:9]
	v_xor_b32_e32 v5, 0x80000000, v21
	v_cmp_gt_f64_e32 vcc, 0, v[20:21]
	v_mov_b32_e32 v24, v20
	s_nop 0
	v_cndmask_b32_e32 v25, v21, v5, vcc
	v_mul_f64 v[24:25], v[24:25], s[22:23]
	v_cmp_nge_f64_e32 vcc, v[22:23], v[24:25]
	s_and_b64 s[4:5], s[4:5], vcc
	s_and_saveexec_b64 s[24:25], s[4:5]
	s_xor_b64 s[4:5], exec, s[24:25]
	s_cbranch_execz .LBB129_19
; %bb.14:                               ;   in Loop: Header=BB129_5 Depth=1
	v_add_u32_e32 v26, v36, v4
	v_ashrrev_i32_e32 v27, 31, v26
	v_lshlrev_b64 v[30:31], 3, v[26:27]
	v_ashrrev_i32_e32 v5, 31, v4
	v_lshl_add_u64 v[28:29], s[10:11], 0, v[30:31]
	v_lshl_add_u64 v[40:41], v[4:5], 3, v[2:3]
	global_load_dwordx2 v[24:25], v[28:29], off
	v_lshlrev_b64 v[42:43], 3, v[14:15]
	v_lshl_add_u64 v[30:31], s[12:13], 0, v[30:31]
	global_load_dwordx2 v[22:23], v[40:41], off
	global_load_dwordx2 v[32:33], v[30:31], off
	v_lshl_add_u64 v[44:45], s[12:13], 0, v[42:43]
	global_load_dwordx2 v[34:35], v[44:45], off
	v_fma_f64 v[20:21], v[6:7], v[10:11], -v[20:21]
	v_lshl_add_u64 v[48:49], v[14:15], 2, s[6:7]
	v_div_scale_f64 v[14:15], s[24:25], v[20:21], v[20:21], 1.0
	v_rcp_f64_e32 v[50:51], v[14:15]
	v_div_scale_f64 v[52:53], vcc, 1.0, v[20:21], 1.0
	v_mul_f64 v[46:47], v[16:17], -v[12:13]
	v_fma_f64 v[54:55], -v[14:15], v[50:51], 1.0
	v_fmac_f64_e32 v[50:51], v[50:51], v[54:55]
	v_fma_f64 v[54:55], -v[14:15], v[50:51], 1.0
	v_fmac_f64_e32 v[50:51], v[50:51], v[54:55]
	v_mul_f64 v[54:55], v[52:53], v[50:51]
	v_fma_f64 v[14:15], -v[14:15], v[54:55], v[52:53]
	v_div_fmas_f64 v[14:15], v[14:15], v[50:51], v[54:55]
	v_div_fixup_f64 v[14:15], v[14:15], v[20:21], 1.0
	v_lshl_add_u64 v[42:43], s[14:15], 0, v[42:43]
	v_mul_f64 v[20:21], v[14:15], v[46:47]
	global_store_dwordx2 v[42:43], v[20:21], off
	s_waitcnt vmcnt(4)
	v_mul_f64 v[20:21], v[12:13], v[24:25]
	s_waitcnt vmcnt(3)
	v_fma_f64 v[20:21], v[10:11], v[22:23], -v[20:21]
	s_waitcnt vmcnt(2)
	v_mul_f64 v[12:13], v[12:13], v[32:33]
	s_waitcnt vmcnt(1)
	v_fma_f64 v[10:11], v[10:11], v[34:35], -v[12:13]
	v_mul_f64 v[12:13], v[14:15], v[20:21]
	v_mul_f64 v[10:11], v[14:15], v[10:11]
	global_store_dwordx2 v[40:41], v[12:13], off
	global_store_dwordx2 v[44:45], v[10:11], off
	global_store_dword v[48:49], v37, off
	s_and_saveexec_b64 s[24:25], s[0:1]
	s_cbranch_execz .LBB129_16
; %bb.15:                               ;   in Loop: Header=BB129_5 Depth=1
	v_mul_f64 v[10:11], v[8:9], v[22:23]
	v_fma_f64 v[10:11], v[6:7], v[24:25], -v[10:11]
	v_mul_f64 v[10:11], v[14:15], v[10:11]
	global_store_dwordx2 v[28:29], v[10:11], off
	v_mul_f64 v[10:11], v[8:9], v[34:35]
	v_fma_f64 v[10:11], v[6:7], v[32:33], -v[10:11]
	v_mul_f64 v[10:11], v[14:15], v[10:11]
	global_store_dwordx2 v[30:31], v[10:11], off
	v_mul_f64 v[10:11], v[6:7], v[16:17]
	v_mul_f64 v[10:11], v[14:15], v[10:11]
	v_lshl_add_u64 v[12:13], v[26:27], 3, s[14:15]
	global_store_dwordx2 v[12:13], v[10:11], off
	v_lshl_add_u64 v[10:11], v[26:27], 2, s[6:7]
	global_store_dword v[10:11], v37, off
.LBB129_16:                             ;   in Loop: Header=BB129_5 Depth=1
	s_or_b64 exec, exec, s[24:25]
	v_mov_b64_e32 v[10:11], 0
	s_and_saveexec_b64 s[24:25], s[2:3]
	s_cbranch_execz .LBB129_18
; %bb.17:                               ;   in Loop: Header=BB129_5 Depth=1
	v_add_u32_e32 v10, v1, v4
	v_ashrrev_i32_e32 v11, 31, v10
	v_lshlrev_b64 v[10:11], 3, v[10:11]
	v_lshl_add_u64 v[12:13], s[10:11], 0, v[10:11]
	v_lshl_add_u64 v[10:11], s[18:19], 0, v[10:11]
	global_load_dwordx2 v[20:21], v[12:13], off
	v_mul_f64 v[6:7], v[6:7], v[18:19]
	global_load_dwordx2 v[10:11], v[10:11], off
	v_mul_f64 v[8:9], v[18:19], v[8:9]
	v_mul_f64 v[18:19], v[14:15], v[6:7]
	;; [unrolled: 1-line block ×5, first 2 shown]
	v_fma_f64 v[8:9], v[8:9], v[22:23], -v[16:17]
	s_waitcnt vmcnt(1)
	v_add_f64 v[8:9], v[8:9], v[20:21]
	global_store_dwordx2 v[12:13], v[8:9], off
	s_waitcnt vmcnt(1)
	v_fma_f64 v[10:11], -v[14:15], v[6:7], v[10:11]
.LBB129_18:                             ;   in Loop: Header=BB129_5 Depth=1
	s_or_b64 exec, exec, s[24:25]
	v_mov_b64_e32 v[6:7], v[10:11]
                                        ; implicit-def: $vgpr20_vgpr21
                                        ; implicit-def: $vgpr10_vgpr11
                                        ; implicit-def: $vgpr12_vgpr13
                                        ; implicit-def: $vgpr14_vgpr15
                                        ; implicit-def: $vgpr8_vgpr9
.LBB129_19:                             ;   in Loop: Header=BB129_5 Depth=1
	s_or_saveexec_b64 s[2:3], s[4:5]
	v_mov_b32_e32 v5, s30
	s_xor_b64 exec, exec, s[2:3]
	s_cbranch_execz .LBB129_4
; %bb.20:                               ;   in Loop: Header=BB129_5 Depth=1
	v_ashrrev_i32_e32 v5, 31, v4
	v_lshl_add_u64 v[18:19], v[4:5], 3, v[2:3]
	v_lshlrev_b64 v[22:23], 3, v[14:15]
	global_load_dwordx2 v[16:17], v[18:19], off
	v_lshl_add_u64 v[24:25], s[12:13], 0, v[22:23]
	global_load_dwordx2 v[26:27], v[24:25], off
	v_div_scale_f64 v[28:29], s[4:5], v[6:7], v[6:7], 1.0
	v_rcp_f64_e32 v[30:31], v[28:29]
	v_div_scale_f64 v[32:33], vcc, 1.0, v[6:7], 1.0
	v_lshl_add_u64 v[22:23], s[14:15], 0, v[22:23]
	v_fma_f64 v[34:35], -v[28:29], v[30:31], 1.0
	v_fmac_f64_e32 v[30:31], v[30:31], v[34:35]
	v_fma_f64 v[34:35], -v[28:29], v[30:31], 1.0
	v_fmac_f64_e32 v[30:31], v[30:31], v[34:35]
	v_mul_f64 v[34:35], v[32:33], v[30:31]
	v_fma_f64 v[28:29], -v[28:29], v[34:35], v[32:33]
	v_div_fmas_f64 v[28:29], v[28:29], v[30:31], v[34:35]
	v_div_fixup_f64 v[6:7], v[28:29], v[6:7], 1.0
	v_mul_f64 v[12:13], v[6:7], v[12:13]
	global_store_dwordx2 v[22:23], v[12:13], off
	v_lshl_add_u64 v[14:15], v[14:15], 2, s[6:7]
	s_waitcnt vmcnt(2)
	v_mul_f64 v[12:13], v[6:7], v[16:17]
	s_waitcnt vmcnt(1)
	v_mul_f64 v[22:23], v[6:7], v[26:27]
	global_store_dwordx2 v[18:19], v[12:13], off
	global_store_dwordx2 v[24:25], v[22:23], off
	global_store_dword v[14:15], v38, off
	s_and_saveexec_b64 s[4:5], s[0:1]
	s_cbranch_execz .LBB129_3
; %bb.21:                               ;   in Loop: Header=BB129_5 Depth=1
	v_add_u32_e32 v12, v36, v4
	v_ashrrev_i32_e32 v13, 31, v12
	v_lshl_add_u64 v[12:13], v[12:13], 3, s[10:11]
	global_load_dwordx2 v[14:15], v[12:13], off
	v_mul_f64 v[8:9], v[8:9], v[6:7]
	s_waitcnt vmcnt(0)
	v_fma_f64 v[8:9], -v[8:9], v[16:17], v[14:15]
	global_store_dwordx2 v[12:13], v[8:9], off
	s_branch .LBB129_3
.LBB129_22:
	s_or_b64 exec, exec, s[20:21]
.LBB129_23:
	v_subrev_u32_e32 v1, s26, v4
	v_add_u32_e32 v4, v1, v0
	v_ashrrev_i32_e32 v5, 31, v4
	s_waitcnt lgkmcnt(0)
	v_lshl_add_u64 v[4:5], v[4:5], 2, s[6:7]
	buffer_wbl2 sc1
	s_waitcnt vmcnt(0)
	buffer_inv sc1
	global_load_dword v4, v[4:5], off
	s_waitcnt vmcnt(0)
	v_mul_lo_u32 v4, v4, s26
	v_sub_u32_e32 v4, v1, v4
	v_cmp_lt_i32_e32 vcc, -1, v4
	s_and_b64 exec, exec, vcc
	s_cbranch_execz .LBB129_30
; %bb.24:
	v_subrev_u32_e32 v1, s26, v0
	s_lshl_b32 s4, s26, 1
	s_mov_b64 s[0:1], 0
	s_branch .LBB129_26
.LBB129_25:                             ;   in Loop: Header=BB129_26 Depth=1
	s_or_b64 exec, exec, s[2:3]
	v_sub_u32_e32 v4, v4, v5
	v_cmp_gt_i32_e32 vcc, 0, v4
	s_or_b64 s[0:1], vcc, s[0:1]
	s_andn2_b64 exec, exec, s[0:1]
	s_cbranch_execz .LBB129_30
.LBB129_26:                             ; =>This Inner Loop Header: Depth=1
	v_add_u32_e32 v8, v4, v0
	v_ashrrev_i32_e32 v9, 31, v8
	s_waitcnt vmcnt(0)
	v_lshl_add_u64 v[6:7], v[8:9], 2, s[6:7]
	global_load_dword v5, v[6:7], off
	v_lshl_add_u64 v[6:7], v[8:9], 3, s[14:15]
	global_load_dwordx2 v[6:7], v[6:7], off
	s_waitcnt vmcnt(1)
	v_cmp_ne_u32_e32 vcc, 1, v5
	s_and_saveexec_b64 s[2:3], vcc
	s_xor_b64 s[2:3], exec, s[2:3]
	s_cbranch_execz .LBB129_28
; %bb.27:                               ;   in Loop: Header=BB129_26 Depth=1
	v_add_u32_e32 v10, v36, v4
	v_ashrrev_i32_e32 v11, 31, v10
	v_lshlrev_b64 v[10:11], 3, v[10:11]
	v_lshl_add_u64 v[12:13], s[10:11], 0, v[10:11]
	v_ashrrev_i32_e32 v5, 31, v4
	v_lshl_add_u64 v[14:15], v[4:5], 3, v[2:3]
	global_load_dwordx2 v[16:17], v[12:13], off
	global_load_dwordx2 v[18:19], v[14:15], off
	v_lshl_add_u64 v[10:11], s[12:13], 0, v[10:11]
	v_lshl_add_u64 v[8:9], v[8:9], 3, s[12:13]
	global_load_dwordx2 v[20:21], v[10:11], off
	global_load_dwordx2 v[22:23], v[8:9], off
	v_add_u32_e32 v24, v1, v4
	v_ashrrev_i32_e32 v25, 31, v24
	v_lshlrev_b64 v[24:25], 3, v[24:25]
	v_lshl_add_u64 v[26:27], s[14:15], 0, v[24:25]
	global_load_dwordx2 v[26:27], v[26:27], off
	v_lshl_add_u64 v[28:29], s[10:11], 0, v[24:25]
	v_lshl_add_u64 v[24:25], s[12:13], 0, v[24:25]
	s_waitcnt vmcnt(3)
	v_fma_f64 v[16:17], -v[6:7], v[16:17], v[18:19]
	s_waitcnt vmcnt(1)
	v_fma_f64 v[6:7], -v[6:7], v[20:21], v[22:23]
	global_store_dwordx2 v[14:15], v[16:17], off
	global_store_dwordx2 v[8:9], v[6:7], off
	global_load_dwordx2 v[6:7], v[12:13], off
	s_nop 0
	global_load_dwordx2 v[8:9], v[28:29], off
	global_load_dwordx2 v[14:15], v[10:11], off
	;; [unrolled: 1-line block ×3, first 2 shown]
	s_waitcnt vmcnt(2)
	v_fma_f64 v[6:7], -v[26:27], v[6:7], v[8:9]
	s_waitcnt vmcnt(0)
	v_fma_f64 v[8:9], -v[26:27], v[14:15], v[16:17]
	global_store_dwordx2 v[28:29], v[6:7], off
	global_store_dwordx2 v[24:25], v[8:9], off
                                        ; implicit-def: $vgpr6_vgpr7
                                        ; implicit-def: $vgpr8_vgpr9
.LBB129_28:                             ;   in Loop: Header=BB129_26 Depth=1
	s_or_saveexec_b64 s[2:3], s[2:3]
	v_mov_b32_e32 v5, s4
	s_xor_b64 exec, exec, s[2:3]
	s_cbranch_execz .LBB129_25
; %bb.29:                               ;   in Loop: Header=BB129_26 Depth=1
	v_add_u32_e32 v10, v36, v4
	v_ashrrev_i32_e32 v11, 31, v10
	v_lshlrev_b64 v[10:11], 3, v[10:11]
	v_lshl_add_u64 v[12:13], s[10:11], 0, v[10:11]
	v_ashrrev_i32_e32 v5, 31, v4
	v_lshl_add_u64 v[14:15], v[4:5], 3, v[2:3]
	global_load_dwordx2 v[16:17], v[12:13], off
	global_load_dwordx2 v[18:19], v[14:15], off
	v_lshl_add_u64 v[10:11], s[12:13], 0, v[10:11]
	v_lshl_add_u64 v[8:9], v[8:9], 3, s[12:13]
	global_load_dwordx2 v[12:13], v[10:11], off
	global_load_dwordx2 v[20:21], v[8:9], off
	v_mov_b32_e32 v5, s26
	s_waitcnt vmcnt(2)
	v_fma_f64 v[10:11], -v[6:7], v[16:17], v[18:19]
	s_waitcnt vmcnt(0)
	v_fma_f64 v[6:7], -v[6:7], v[12:13], v[20:21]
	global_store_dwordx2 v[14:15], v[10:11], off
	global_store_dwordx2 v[8:9], v[6:7], off
	s_branch .LBB129_25
.LBB129_30:
	s_endpgm
	.section	.rodata,"a",@progbits
	.p2align	6, 0x0
	.amdhsa_kernel _ZN9rocsparseL18gtsv_LBM_wv_kernelILj256ELj16EdEEviiiPKT1_S3_S3_PS1_S4_S4_Pi
		.amdhsa_group_segment_fixed_size 0
		.amdhsa_private_segment_fixed_size 0
		.amdhsa_kernarg_size 72
		.amdhsa_user_sgpr_count 2
		.amdhsa_user_sgpr_dispatch_ptr 0
		.amdhsa_user_sgpr_queue_ptr 0
		.amdhsa_user_sgpr_kernarg_segment_ptr 1
		.amdhsa_user_sgpr_dispatch_id 0
		.amdhsa_user_sgpr_kernarg_preload_length 0
		.amdhsa_user_sgpr_kernarg_preload_offset 0
		.amdhsa_user_sgpr_private_segment_size 0
		.amdhsa_uses_dynamic_stack 0
		.amdhsa_enable_private_segment 0
		.amdhsa_system_sgpr_workgroup_id_x 1
		.amdhsa_system_sgpr_workgroup_id_y 0
		.amdhsa_system_sgpr_workgroup_id_z 0
		.amdhsa_system_sgpr_workgroup_info 0
		.amdhsa_system_vgpr_workitem_id 0
		.amdhsa_next_free_vgpr 56
		.amdhsa_next_free_sgpr 31
		.amdhsa_accum_offset 56
		.amdhsa_reserve_vcc 1
		.amdhsa_float_round_mode_32 0
		.amdhsa_float_round_mode_16_64 0
		.amdhsa_float_denorm_mode_32 3
		.amdhsa_float_denorm_mode_16_64 3
		.amdhsa_dx10_clamp 1
		.amdhsa_ieee_mode 1
		.amdhsa_fp16_overflow 0
		.amdhsa_tg_split 0
		.amdhsa_exception_fp_ieee_invalid_op 0
		.amdhsa_exception_fp_denorm_src 0
		.amdhsa_exception_fp_ieee_div_zero 0
		.amdhsa_exception_fp_ieee_overflow 0
		.amdhsa_exception_fp_ieee_underflow 0
		.amdhsa_exception_fp_ieee_inexact 0
		.amdhsa_exception_int_div_zero 0
	.end_amdhsa_kernel
	.section	.text._ZN9rocsparseL18gtsv_LBM_wv_kernelILj256ELj16EdEEviiiPKT1_S3_S3_PS1_S4_S4_Pi,"axG",@progbits,_ZN9rocsparseL18gtsv_LBM_wv_kernelILj256ELj16EdEEviiiPKT1_S3_S3_PS1_S4_S4_Pi,comdat
.Lfunc_end129:
	.size	_ZN9rocsparseL18gtsv_LBM_wv_kernelILj256ELj16EdEEviiiPKT1_S3_S3_PS1_S4_S4_Pi, .Lfunc_end129-_ZN9rocsparseL18gtsv_LBM_wv_kernelILj256ELj16EdEEviiiPKT1_S3_S3_PS1_S4_S4_Pi
                                        ; -- End function
	.set _ZN9rocsparseL18gtsv_LBM_wv_kernelILj256ELj16EdEEviiiPKT1_S3_S3_PS1_S4_S4_Pi.num_vgpr, 56
	.set _ZN9rocsparseL18gtsv_LBM_wv_kernelILj256ELj16EdEEviiiPKT1_S3_S3_PS1_S4_S4_Pi.num_agpr, 0
	.set _ZN9rocsparseL18gtsv_LBM_wv_kernelILj256ELj16EdEEviiiPKT1_S3_S3_PS1_S4_S4_Pi.numbered_sgpr, 31
	.set _ZN9rocsparseL18gtsv_LBM_wv_kernelILj256ELj16EdEEviiiPKT1_S3_S3_PS1_S4_S4_Pi.num_named_barrier, 0
	.set _ZN9rocsparseL18gtsv_LBM_wv_kernelILj256ELj16EdEEviiiPKT1_S3_S3_PS1_S4_S4_Pi.private_seg_size, 0
	.set _ZN9rocsparseL18gtsv_LBM_wv_kernelILj256ELj16EdEEviiiPKT1_S3_S3_PS1_S4_S4_Pi.uses_vcc, 1
	.set _ZN9rocsparseL18gtsv_LBM_wv_kernelILj256ELj16EdEEviiiPKT1_S3_S3_PS1_S4_S4_Pi.uses_flat_scratch, 0
	.set _ZN9rocsparseL18gtsv_LBM_wv_kernelILj256ELj16EdEEviiiPKT1_S3_S3_PS1_S4_S4_Pi.has_dyn_sized_stack, 0
	.set _ZN9rocsparseL18gtsv_LBM_wv_kernelILj256ELj16EdEEviiiPKT1_S3_S3_PS1_S4_S4_Pi.has_recursion, 0
	.set _ZN9rocsparseL18gtsv_LBM_wv_kernelILj256ELj16EdEEviiiPKT1_S3_S3_PS1_S4_S4_Pi.has_indirect_call, 0
	.section	.AMDGPU.csdata,"",@progbits
; Kernel info:
; codeLenInByte = 2220
; TotalNumSgprs: 37
; NumVgprs: 56
; NumAgprs: 0
; TotalNumVgprs: 56
; ScratchSize: 0
; MemoryBound: 1
; FloatMode: 240
; IeeeMode: 1
; LDSByteSize: 0 bytes/workgroup (compile time only)
; SGPRBlocks: 4
; VGPRBlocks: 6
; NumSGPRsForWavesPerEU: 37
; NumVGPRsForWavesPerEU: 56
; AccumOffset: 56
; Occupancy: 8
; WaveLimiterHint : 0
; COMPUTE_PGM_RSRC2:SCRATCH_EN: 0
; COMPUTE_PGM_RSRC2:USER_SGPR: 2
; COMPUTE_PGM_RSRC2:TRAP_HANDLER: 0
; COMPUTE_PGM_RSRC2:TGID_X_EN: 1
; COMPUTE_PGM_RSRC2:TGID_Y_EN: 0
; COMPUTE_PGM_RSRC2:TGID_Z_EN: 0
; COMPUTE_PGM_RSRC2:TIDIG_COMP_CNT: 0
; COMPUTE_PGM_RSRC3_GFX90A:ACCUM_OFFSET: 13
; COMPUTE_PGM_RSRC3_GFX90A:TG_SPLIT: 0
	.section	.text._ZN9rocsparseL19gtsv_LBM_rhs_kernelILj256ELj16ELj8EdEEviiiPKT2_S3_S3_PS1_S3_PKi,"axG",@progbits,_ZN9rocsparseL19gtsv_LBM_rhs_kernelILj256ELj16ELj8EdEEviiiPKT2_S3_S3_PS1_S3_PKi,comdat
	.globl	_ZN9rocsparseL19gtsv_LBM_rhs_kernelILj256ELj16ELj8EdEEviiiPKT2_S3_S3_PS1_S3_PKi ; -- Begin function _ZN9rocsparseL19gtsv_LBM_rhs_kernelILj256ELj16ELj8EdEEviiiPKT2_S3_S3_PS1_S3_PKi
	.p2align	8
	.type	_ZN9rocsparseL19gtsv_LBM_rhs_kernelILj256ELj16ELj8EdEEviiiPKT2_S3_S3_PS1_S3_PKi,@function
_ZN9rocsparseL19gtsv_LBM_rhs_kernelILj256ELj16ELj8EdEEviiiPKT2_S3_S3_PS1_S3_PKi: ; @_ZN9rocsparseL19gtsv_LBM_rhs_kernelILj256ELj16ELj8EdEEviiiPKT2_S3_S3_PS1_S3_PKi
; %bb.0:
	s_load_dword s23, s[0:1], 0x0
	v_lshl_or_b32 v0, s2, 8, v0
	s_waitcnt lgkmcnt(0)
	s_lshr_b32 s22, s23, 4
	v_cmp_gt_i32_e32 vcc, s22, v0
	s_and_saveexec_b64 s[4:5], vcc
	s_cbranch_execz .LBB130_29
; %bb.1:
	s_load_dwordx4 s[8:11], s[0:1], 0x28
	s_load_dwordx2 s[6:7], s[0:1], 0x38
	s_cmp_lt_i32 s23, 1
	v_add_u32_e32 v60, s22, v0
	s_mul_i32 s24, s3, s23
	s_cbranch_scc1 .LBB130_21
; %bb.2:
	s_load_dwordx4 s[12:15], s[0:1], 0x10
	s_load_dwordx2 s[16:17], s[0:1], 0x20
	v_ashrrev_i32_e32 v1, 31, v0
	s_lshl_b32 s28, s24, 3
	s_add_i32 s29, s28, s23
	s_waitcnt lgkmcnt(0)
	v_lshl_add_u64 v[2:3], v[0:1], 3, s[14:15]
	global_load_dwordx2 v[6:7], v[2:3], off
	s_add_i32 s30, s29, s23
	s_add_i32 s31, s30, s23
	;; [unrolled: 1-line block ×5, first 2 shown]
	s_mul_i32 s25, s22, 15
	s_mul_i32 s26, s22, 14
	s_lshl_b32 s27, s22, 1
	v_add_u32_e32 v1, s22, v60
	s_add_i32 s36, s35, s23
	v_mov_b32_e32 v3, 0
	s_mov_b64 s[18:19], 0
	v_mov_b32_e32 v61, 0
	s_branch .LBB130_5
.LBB130_3:                              ;   in Loop: Header=BB130_5 Depth=1
	s_or_b64 exec, exec, s[4:5]
	v_fma_f64 v[6:7], -v[6:7], v[22:23], v[8:9]
	v_mov_b32_e32 v2, s22
.LBB130_4:                              ;   in Loop: Header=BB130_5 Depth=1
	s_or_b64 exec, exec, s[2:3]
	v_add_u32_e32 v61, v2, v61
	v_cmp_le_i32_e32 vcc, s23, v61
	s_or_b64 s[18:19], vcc, s[18:19]
	s_andn2_b64 exec, exec, s[18:19]
	s_cbranch_execz .LBB130_20
.LBB130_5:                              ; =>This Inner Loop Header: Depth=1
	v_add_u32_e32 v16, v61, v0
	v_ashrrev_i32_e32 v17, 31, v16
	v_lshl_add_u64 v[4:5], v[16:17], 3, s[16:17]
	global_load_dwordx2 v[14:15], v[4:5], off
	v_cmp_gt_u32_e64 s[0:1], s25, v61
	v_mov_b64_e32 v[8:9], 0
	v_mov_b64_e32 v[4:5], 0
	s_and_saveexec_b64 s[2:3], s[0:1]
	s_cbranch_execz .LBB130_7
; %bb.6:                                ;   in Loop: Header=BB130_5 Depth=1
	v_add_u32_e32 v4, v60, v61
	v_ashrrev_i32_e32 v5, 31, v4
	v_lshl_add_u64 v[4:5], v[4:5], 3, s[12:13]
	global_load_dwordx2 v[4:5], v[4:5], off
.LBB130_7:                              ;   in Loop: Header=BB130_5 Depth=1
	s_or_b64 exec, exec, s[2:3]
	s_and_saveexec_b64 s[2:3], s[0:1]
	s_cbranch_execz .LBB130_9
; %bb.8:                                ;   in Loop: Header=BB130_5 Depth=1
	v_add_u32_e32 v8, v60, v61
	v_ashrrev_i32_e32 v9, 31, v8
	v_lshl_add_u64 v[8:9], v[8:9], 3, s[14:15]
	global_load_dwordx2 v[8:9], v[8:9], off
.LBB130_9:                              ;   in Loop: Header=BB130_5 Depth=1
	s_or_b64 exec, exec, s[2:3]
	v_mov_b64_e32 v[12:13], 0
	v_mov_b64_e32 v[10:11], 0
	s_and_saveexec_b64 s[2:3], s[0:1]
	s_cbranch_execz .LBB130_11
; %bb.10:                               ;   in Loop: Header=BB130_5 Depth=1
	v_add_u32_e32 v10, v60, v61
	v_ashrrev_i32_e32 v11, 31, v10
	v_lshl_add_u64 v[10:11], v[10:11], 3, s[16:17]
	global_load_dwordx2 v[10:11], v[10:11], off
.LBB130_11:                             ;   in Loop: Header=BB130_5 Depth=1
	s_or_b64 exec, exec, s[2:3]
	v_cmp_gt_u32_e64 s[2:3], s26, v61
	s_and_saveexec_b64 s[4:5], s[2:3]
	s_cbranch_execz .LBB130_13
; %bb.12:                               ;   in Loop: Header=BB130_5 Depth=1
	v_add_u32_e32 v12, v1, v61
	v_ashrrev_i32_e32 v13, 31, v12
	v_lshl_add_u64 v[12:13], v[12:13], 3, s[12:13]
	global_load_dwordx2 v[12:13], v[12:13], off
.LBB130_13:                             ;   in Loop: Header=BB130_5 Depth=1
	s_or_b64 exec, exec, s[4:5]
	v_add_u32_e32 v2, s28, v16
	v_lshl_add_u64 v[38:39], v[2:3], 3, s[8:9]
	v_add_u32_e32 v2, s29, v16
	v_lshl_add_u64 v[30:31], v[2:3], 3, s[8:9]
	;; [unrolled: 2-line block ×6, first 2 shown]
	v_lshl_add_u64 v[20:21], v[2:3], 3, s[8:9]
	v_add_u32_e32 v2, s35, v16
	global_load_dword v22, v[18:19], off
	v_lshl_add_u64 v[18:19], v[2:3], 3, s[8:9]
	v_add_u32_e32 v2, s36, v16
	global_load_dwordx2 v[50:51], v[38:39], off
	global_load_dwordx2 v[46:47], v[30:31], off
	;; [unrolled: 1-line block ×4, first 2 shown]
	v_lshl_add_u64 v[16:17], v[2:3], 3, s[8:9]
	global_load_dwordx2 v[44:45], v[26:27], off
	global_load_dwordx2 v[40:41], v[20:21], off
	;; [unrolled: 1-line block ×4, first 2 shown]
	v_cmp_ne_u32_e64 s[4:5], s25, v61
	s_waitcnt vmcnt(8)
	v_cmp_ne_u32_e32 vcc, 1, v22
	s_and_b64 s[4:5], s[4:5], vcc
	v_mul_f64 v[22:23], v[14:15], v[4:5]
	s_and_saveexec_b64 s[20:21], s[4:5]
	s_xor_b64 s[4:5], exec, s[20:21]
	s_cbranch_execz .LBB130_17
; %bb.14:                               ;   in Loop: Header=BB130_5 Depth=1
	v_add_u32_e32 v78, v60, v61
	v_add_u32_e32 v2, s28, v78
	v_fma_f64 v[22:23], v[6:7], v[8:9], -v[22:23]
	v_lshl_add_u64 v[48:49], v[2:3], 3, s[8:9]
	v_div_scale_f64 v[54:55], s[20:21], v[22:23], v[22:23], 1.0
	global_load_dwordx2 v[52:53], v[48:49], off
	v_rcp_f64_e32 v[58:59], v[54:55]
	v_add_u32_e32 v2, s29, v78
	v_lshl_add_u64 v[62:63], v[2:3], 3, s[8:9]
	v_add_u32_e32 v2, s30, v78
	global_load_dwordx2 v[66:67], v[62:63], off
	v_lshl_add_u64 v[64:65], v[2:3], 3, s[8:9]
	v_fma_f64 v[72:73], -v[54:55], v[58:59], 1.0
	global_load_dwordx2 v[70:71], v[64:65], off
	v_fmac_f64_e32 v[58:59], v[58:59], v[72:73]
	v_fma_f64 v[72:73], -v[54:55], v[58:59], 1.0
	v_div_scale_f64 v[56:57], vcc, 1.0, v[22:23], 1.0
	v_add_u32_e32 v2, s31, v78
	v_fmac_f64_e32 v[58:59], v[58:59], v[72:73]
	v_lshl_add_u64 v[68:69], v[2:3], 3, s[8:9]
	v_add_u32_e32 v2, s33, v78
	v_mul_f64 v[72:73], v[56:57], v[58:59]
	v_fma_f64 v[54:55], -v[54:55], v[72:73], v[56:57]
	v_lshl_add_u64 v[74:75], v[2:3], 3, s[8:9]
	v_add_u32_e32 v2, s34, v78
	v_div_fmas_f64 v[54:55], v[54:55], v[58:59], v[72:73]
	v_lshl_add_u64 v[72:73], v[2:3], 3, s[8:9]
	v_add_u32_e32 v2, s35, v78
	v_lshl_add_u64 v[76:77], v[2:3], 3, s[8:9]
	v_add_u32_e32 v2, s36, v78
	global_load_dwordx2 v[78:79], v[68:69], off
	global_load_dwordx2 v[80:81], v[74:75], off
	;; [unrolled: 1-line block ×4, first 2 shown]
	v_lshl_add_u64 v[86:87], v[2:3], 3, s[8:9]
	global_load_dwordx2 v[88:89], v[86:87], off
	v_div_fixup_f64 v[22:23], v[54:55], v[22:23], 1.0
	s_waitcnt vmcnt(15)
	v_mul_f64 v[50:51], v[22:23], v[50:51]
	s_waitcnt vmcnt(14)
	v_mul_f64 v[46:47], v[22:23], v[46:47]
	s_waitcnt vmcnt(13)
	v_mul_f64 v[56:57], v[22:23], v[42:43]
	s_waitcnt vmcnt(7)
	v_mul_f64 v[52:53], v[22:23], v[52:53]
	v_mul_f64 v[54:55], v[14:15], v[52:53]
	v_fma_f64 v[54:55], v[8:9], v[50:51], -v[54:55]
	global_store_dwordx2 v[38:39], v[54:55], off
	s_waitcnt vmcnt(7)
	v_mul_f64 v[54:55], v[22:23], v[66:67]
	v_mul_f64 v[38:39], v[14:15], v[54:55]
	v_fma_f64 v[38:39], v[8:9], v[46:47], -v[38:39]
	s_waitcnt vmcnt(6)
	v_mul_f64 v[58:59], v[22:23], v[70:71]
	global_store_dwordx2 v[30:31], v[38:39], off
	v_mul_f64 v[30:31], v[14:15], v[58:59]
	v_fma_f64 v[30:31], v[8:9], v[56:57], -v[30:31]
	global_store_dwordx2 v[28:29], v[30:31], off
	v_mul_f64 v[28:29], v[22:23], v[36:37]
	v_mul_f64 v[38:39], v[22:23], v[44:45]
	s_waitcnt vmcnt(7)
	v_mul_f64 v[30:31], v[22:23], v[78:79]
	v_mul_f64 v[36:37], v[14:15], v[30:31]
	v_fma_f64 v[36:37], v[8:9], v[28:29], -v[36:37]
	s_waitcnt vmcnt(6)
	v_mul_f64 v[42:43], v[22:23], v[80:81]
	global_store_dwordx2 v[24:25], v[36:37], off
	v_mul_f64 v[24:25], v[14:15], v[42:43]
	v_fma_f64 v[24:25], v[8:9], v[38:39], -v[24:25]
	s_waitcnt vmcnt(6)
	v_mul_f64 v[36:37], v[22:23], v[82:83]
	global_store_dwordx2 v[26:27], v[24:25], off
	v_mul_f64 v[26:27], v[22:23], v[40:41]
	v_mul_f64 v[24:25], v[14:15], v[36:37]
	v_fma_f64 v[24:25], v[8:9], v[26:27], -v[24:25]
	global_store_dwordx2 v[20:21], v[24:25], off
	v_mul_f64 v[20:21], v[22:23], v[32:33]
	s_waitcnt vmcnt(7)
	v_mul_f64 v[32:33], v[22:23], v[84:85]
	v_mul_f64 v[24:25], v[22:23], v[34:35]
	v_mul_f64 v[34:35], v[14:15], v[32:33]
	v_fma_f64 v[34:35], v[8:9], v[24:25], -v[34:35]
	global_store_dwordx2 v[18:19], v[34:35], off
	s_waitcnt vmcnt(7)
	v_mul_f64 v[18:19], v[22:23], v[88:89]
	v_mul_f64 v[14:15], v[14:15], v[18:19]
	v_fma_f64 v[8:9], v[8:9], v[20:21], -v[14:15]
	v_mul_f64 v[34:35], v[4:5], v[50:51]
	global_store_dwordx2 v[16:17], v[8:9], off
	v_mul_f64 v[8:9], v[4:5], v[28:29]
	v_mul_f64 v[40:41], v[4:5], v[46:47]
	;; [unrolled: 1-line block ×4, first 2 shown]
	v_fma_f64 v[34:35], v[6:7], v[52:53], -v[34:35]
	v_fma_f64 v[8:9], v[6:7], v[30:31], -v[8:9]
	;; [unrolled: 1-line block ×5, first 2 shown]
	global_store_dwordx2 v[48:49], v[34:35], off
	global_store_dwordx2 v[62:63], v[40:41], off
	;; [unrolled: 1-line block ×5, first 2 shown]
	v_mul_f64 v[8:9], v[4:5], v[26:27]
	v_fma_f64 v[8:9], v[6:7], v[36:37], -v[8:9]
	global_store_dwordx2 v[72:73], v[8:9], off
	v_mul_f64 v[8:9], v[4:5], v[24:25]
	v_fma_f64 v[8:9], v[6:7], v[32:33], -v[8:9]
	global_store_dwordx2 v[76:77], v[8:9], off
	;; [unrolled: 3-line block ×3, first 2 shown]
	v_mov_b64_e32 v[8:9], 0
	s_and_saveexec_b64 s[20:21], s[2:3]
	s_cbranch_execz .LBB130_16
; %bb.15:                               ;   in Loop: Header=BB130_5 Depth=1
	v_add_u32_e32 v8, v1, v61
	v_add_u32_e32 v2, s28, v8
	v_lshl_add_u64 v[14:15], v[2:3], 3, s[8:9]
	global_load_dwordx2 v[16:17], v[14:15], off
	v_mul_f64 v[6:7], v[6:7], v[12:13]
	v_mul_f64 v[4:5], v[4:5], v[12:13]
	;; [unrolled: 1-line block ×3, first 2 shown]
	v_add_u32_e32 v2, s29, v8
	v_fma_f64 v[12:13], v[4:5], v[50:51], -v[12:13]
	v_lshl_add_u64 v[34:35], v[2:3], 3, s[8:9]
	v_add_u32_e32 v2, s30, v8
	global_load_dwordx2 v[40:41], v[34:35], off
	v_lshl_add_u64 v[44:45], v[2:3], 3, s[8:9]
	v_add_u32_e32 v2, s31, v8
	v_ashrrev_i32_e32 v9, 31, v8
	s_waitcnt vmcnt(1)
	v_add_f64 v[12:13], v[12:13], v[16:17]
	global_store_dwordx2 v[14:15], v[12:13], off
	global_load_dwordx2 v[12:13], v[44:45], off
	v_mul_f64 v[14:15], v[6:7], v[54:55]
	v_fma_f64 v[14:15], v[4:5], v[46:47], -v[14:15]
	v_mul_f64 v[16:17], v[6:7], v[58:59]
	v_fma_f64 v[16:17], v[4:5], v[56:57], -v[16:17]
	v_lshl_add_u64 v[46:47], v[2:3], 3, s[8:9]
	s_waitcnt vmcnt(2)
	v_add_f64 v[14:15], v[14:15], v[40:41]
	global_store_dwordx2 v[34:35], v[14:15], off
	v_add_u32_e32 v2, s33, v8
	global_load_dwordx2 v[14:15], v[46:47], off
	v_lshl_add_u64 v[48:49], v[2:3], 3, s[8:9]
	v_add_u32_e32 v2, s34, v8
	s_waitcnt vmcnt(2)
	v_add_f64 v[12:13], v[16:17], v[12:13]
	global_store_dwordx2 v[44:45], v[12:13], off
	global_load_dwordx2 v[12:13], v[48:49], off
	v_mul_f64 v[16:17], v[6:7], v[30:31]
	v_mul_f64 v[30:31], v[6:7], v[42:43]
	v_fma_f64 v[16:17], v[4:5], v[28:29], -v[16:17]
	v_fma_f64 v[28:29], v[4:5], v[38:39], -v[30:31]
	v_lshl_add_u64 v[30:31], v[2:3], 3, s[8:9]
	v_add_u32_e32 v2, s35, v8
	s_waitcnt vmcnt(2)
	v_add_f64 v[14:15], v[16:17], v[14:15]
	global_store_dwordx2 v[46:47], v[14:15], off
	v_mul_f64 v[14:15], v[6:7], v[36:37]
	v_fma_f64 v[14:15], v[4:5], v[26:27], -v[14:15]
	v_lshl_add_u64 v[16:17], v[2:3], 3, s[8:9]
	v_add_u32_e32 v2, s36, v8
	v_lshl_add_u64 v[8:9], v[8:9], 3, s[14:15]
	global_load_dwordx2 v[8:9], v[8:9], off
	s_waitcnt vmcnt(2)
	v_add_f64 v[12:13], v[28:29], v[12:13]
	global_store_dwordx2 v[48:49], v[12:13], off
	global_load_dwordx2 v[12:13], v[30:31], off
	s_waitcnt vmcnt(0)
	v_add_f64 v[12:13], v[14:15], v[12:13]
	global_store_dwordx2 v[30:31], v[12:13], off
	global_load_dwordx2 v[12:13], v[16:17], off
	v_mul_f64 v[14:15], v[6:7], v[32:33]
	v_fma_f64 v[14:15], v[4:5], v[24:25], -v[14:15]
	v_lshl_add_u64 v[24:25], v[2:3], 3, s[8:9]
	s_waitcnt vmcnt(0)
	v_add_f64 v[12:13], v[14:15], v[12:13]
	global_store_dwordx2 v[16:17], v[12:13], off
	global_load_dwordx2 v[12:13], v[24:25], off
	v_mul_f64 v[14:15], v[6:7], v[18:19]
	v_mul_f64 v[6:7], v[10:11], v[6:7]
	v_fma_f64 v[4:5], v[4:5], v[20:21], -v[14:15]
	v_fma_f64 v[8:9], -v[22:23], v[6:7], v[8:9]
	s_waitcnt vmcnt(0)
	v_add_f64 v[4:5], v[4:5], v[12:13]
	global_store_dwordx2 v[24:25], v[4:5], off
.LBB130_16:                             ;   in Loop: Header=BB130_5 Depth=1
	s_or_b64 exec, exec, s[20:21]
	v_mov_b64_e32 v[6:7], v[8:9]
                                        ; implicit-def: $vgpr4_vgpr5
                                        ; implicit-def: $vgpr8_vgpr9
                                        ; implicit-def: $vgpr22_vgpr23
                                        ; implicit-def: $vgpr38_vgpr39
                                        ; implicit-def: $vgpr50_vgpr51
                                        ; implicit-def: $vgpr30_vgpr31
                                        ; implicit-def: $vgpr46_vgpr47
                                        ; implicit-def: $vgpr28_vgpr29
                                        ; implicit-def: $vgpr42_vgpr43
                                        ; implicit-def: $vgpr24_vgpr25
                                        ; implicit-def: $vgpr36_vgpr37
                                        ; implicit-def: $vgpr26_vgpr27
                                        ; implicit-def: $vgpr44_vgpr45
                                        ; implicit-def: $vgpr20_vgpr21
                                        ; implicit-def: $vgpr40_vgpr41
                                        ; implicit-def: $vgpr18_vgpr19
                                        ; implicit-def: $vgpr34_vgpr35
                                        ; implicit-def: $vgpr16_vgpr17
                                        ; implicit-def: $vgpr32_vgpr33
.LBB130_17:                             ;   in Loop: Header=BB130_5 Depth=1
	s_or_saveexec_b64 s[2:3], s[4:5]
	v_mov_b32_e32 v2, s27
	s_xor_b64 exec, exec, s[2:3]
	s_cbranch_execz .LBB130_4
; %bb.18:                               ;   in Loop: Header=BB130_5 Depth=1
	v_div_scale_f64 v[10:11], s[4:5], v[6:7], v[6:7], 1.0
	v_rcp_f64_e32 v[12:13], v[10:11]
	v_div_scale_f64 v[14:15], vcc, 1.0, v[6:7], 1.0
	v_fma_f64 v[48:49], -v[10:11], v[12:13], 1.0
	v_fmac_f64_e32 v[12:13], v[12:13], v[48:49]
	v_fma_f64 v[48:49], -v[10:11], v[12:13], 1.0
	v_fmac_f64_e32 v[12:13], v[12:13], v[48:49]
	v_mul_f64 v[48:49], v[14:15], v[12:13]
	v_fma_f64 v[10:11], -v[10:11], v[48:49], v[14:15]
	v_div_fmas_f64 v[10:11], v[10:11], v[12:13], v[48:49]
	v_div_fixup_f64 v[6:7], v[10:11], v[6:7], 1.0
	s_waitcnt vmcnt(7)
	v_mul_f64 v[50:51], v[6:7], v[50:51]
	s_waitcnt vmcnt(6)
	v_mul_f64 v[48:49], v[6:7], v[46:47]
	s_waitcnt vmcnt(5)
	v_mul_f64 v[46:47], v[6:7], v[42:43]
	s_waitcnt vmcnt(4)
	v_mul_f64 v[42:43], v[6:7], v[36:37]
	s_waitcnt vmcnt(3)
	v_mul_f64 v[36:37], v[6:7], v[44:45]
	s_waitcnt vmcnt(2)
	v_mul_f64 v[14:15], v[6:7], v[40:41]
	s_waitcnt vmcnt(1)
	v_mul_f64 v[12:13], v[6:7], v[34:35]
	s_waitcnt vmcnt(0)
	v_mul_f64 v[10:11], v[6:7], v[32:33]
	global_store_dwordx2 v[38:39], v[50:51], off
	global_store_dwordx2 v[30:31], v[48:49], off
	;; [unrolled: 1-line block ×8, first 2 shown]
	s_and_saveexec_b64 s[4:5], s[0:1]
	s_cbranch_execz .LBB130_3
; %bb.19:                               ;   in Loop: Header=BB130_5 Depth=1
	v_add_u32_e32 v30, v60, v61
	v_add_u32_e32 v2, s28, v30
	v_lshl_add_u64 v[16:17], v[2:3], 3, s[8:9]
	global_load_dwordx2 v[18:19], v[16:17], off
	v_add_u32_e32 v2, s29, v30
	v_lshl_add_u64 v[20:21], v[2:3], 3, s[8:9]
	v_add_u32_e32 v2, s30, v30
	global_load_dwordx2 v[24:25], v[20:21], off
	v_lshl_add_u64 v[26:27], v[2:3], 3, s[8:9]
	v_add_u32_e32 v2, s31, v30
	s_waitcnt vmcnt(1)
	v_fma_f64 v[18:19], -v[4:5], v[50:51], v[18:19]
	global_store_dwordx2 v[16:17], v[18:19], off
	global_load_dwordx2 v[16:17], v[26:27], off
	v_lshl_add_u64 v[18:19], v[2:3], 3, s[8:9]
	s_waitcnt vmcnt(2)
	v_fma_f64 v[24:25], -v[4:5], v[48:49], v[24:25]
	global_store_dwordx2 v[20:21], v[24:25], off
	v_add_u32_e32 v2, s33, v30
	global_load_dwordx2 v[20:21], v[18:19], off
	v_lshl_add_u64 v[28:29], v[2:3], 3, s[8:9]
	v_add_u32_e32 v2, s34, v30
	v_lshl_add_u64 v[24:25], v[2:3], 3, s[8:9]
	v_add_u32_e32 v2, s35, v30
	s_waitcnt vmcnt(2)
	v_fma_f64 v[16:17], -v[4:5], v[46:47], v[16:17]
	global_store_dwordx2 v[26:27], v[16:17], off
	global_load_dwordx2 v[16:17], v[28:29], off
	s_waitcnt vmcnt(2)
	v_fma_f64 v[20:21], -v[4:5], v[42:43], v[20:21]
	global_store_dwordx2 v[18:19], v[20:21], off
	v_lshl_add_u64 v[18:19], v[2:3], 3, s[8:9]
	v_add_u32_e32 v2, s36, v30
	s_waitcnt vmcnt(1)
	v_fma_f64 v[16:17], -v[4:5], v[36:37], v[16:17]
	global_store_dwordx2 v[28:29], v[16:17], off
	global_load_dwordx2 v[16:17], v[24:25], off
	s_waitcnt vmcnt(0)
	v_fma_f64 v[14:15], -v[4:5], v[14:15], v[16:17]
	global_store_dwordx2 v[24:25], v[14:15], off
	global_load_dwordx2 v[14:15], v[18:19], off
	s_waitcnt vmcnt(0)
	v_fma_f64 v[12:13], -v[4:5], v[12:13], v[14:15]
	global_store_dwordx2 v[18:19], v[12:13], off
	v_lshl_add_u64 v[12:13], v[2:3], 3, s[8:9]
	global_load_dwordx2 v[14:15], v[12:13], off
	s_waitcnt vmcnt(0)
	v_fma_f64 v[4:5], -v[4:5], v[10:11], v[14:15]
	global_store_dwordx2 v[12:13], v[4:5], off
	s_branch .LBB130_3
.LBB130_20:
	s_or_b64 exec, exec, s[18:19]
	s_branch .LBB130_22
.LBB130_21:
	v_mov_b32_e32 v61, 0
.LBB130_22:
	v_subrev_u32_e32 v1, s22, v61
	v_add_u32_e32 v2, v1, v0
	v_ashrrev_i32_e32 v3, 31, v2
	s_waitcnt lgkmcnt(0)
	v_lshl_add_u64 v[2:3], v[2:3], 2, s[6:7]
	buffer_wbl2 sc1
	s_waitcnt vmcnt(0)
	buffer_inv sc1
	global_load_dword v2, v[2:3], off
	s_waitcnt vmcnt(0)
	v_mul_lo_u32 v2, v2, s22
	v_sub_u32_e32 v1, v1, v2
	v_cmp_lt_i32_e32 vcc, -1, v1
	s_and_b64 exec, exec, vcc
	s_cbranch_execz .LBB130_29
; %bb.23:
	s_lshl_b32 s4, s24, 3
	s_add_i32 s5, s4, s23
	s_add_i32 s12, s5, s23
	;; [unrolled: 1-line block ×7, first 2 shown]
	s_lshl_b32 s18, s22, 1
	s_mov_b64 s[0:1], 0
	v_mov_b32_e32 v3, 0
	s_branch .LBB130_25
.LBB130_24:                             ;   in Loop: Header=BB130_25 Depth=1
	s_or_b64 exec, exec, s[2:3]
	v_sub_u32_e32 v1, v1, v2
	v_cmp_gt_i32_e32 vcc, 0, v1
	s_or_b64 s[0:1], vcc, s[0:1]
	s_andn2_b64 exec, exec, s[0:1]
	s_cbranch_execz .LBB130_29
.LBB130_25:                             ; =>This Inner Loop Header: Depth=1
	v_add_u32_e32 v6, v1, v0
	v_ashrrev_i32_e32 v7, 31, v6
	s_waitcnt vmcnt(0)
	v_lshl_add_u64 v[4:5], v[6:7], 2, s[6:7]
	global_load_dword v2, v[4:5], off
	v_lshl_add_u64 v[4:5], v[6:7], 3, s[10:11]
	global_load_dwordx2 v[4:5], v[4:5], off
	s_waitcnt vmcnt(1)
	v_cmp_ne_u32_e32 vcc, 1, v2
	s_and_saveexec_b64 s[2:3], vcc
	s_xor_b64 s[2:3], exec, s[2:3]
	s_cbranch_execz .LBB130_27
; %bb.26:                               ;   in Loop: Header=BB130_25 Depth=1
	v_add_u32_e32 v7, v60, v1
	v_add_u32_e32 v2, s4, v7
	v_lshl_add_u64 v[8:9], v[2:3], 3, s[8:9]
	v_add_u32_e32 v2, s5, v7
	v_lshl_add_u64 v[10:11], v[2:3], 3, s[8:9]
	;; [unrolled: 2-line block ×9, first 2 shown]
	global_load_dwordx2 v[26:27], v[24:25], off
	global_load_dwordx2 v[28:29], v[8:9], off
	;; [unrolled: 1-line block ×9, first 2 shown]
	v_add_u32_e32 v2, s5, v6
	v_lshl_add_u64 v[8:9], v[2:3], 3, s[8:9]
	v_add_u32_e32 v2, s12, v6
	v_lshl_add_u64 v[12:13], v[2:3], 3, s[8:9]
	v_add_u32_e32 v2, s13, v6
	s_waitcnt vmcnt(7)
	v_fma_f64 v[10:11], -v[4:5], v[28:29], v[26:27]
	global_store_dwordx2 v[24:25], v[10:11], off
	global_load_dwordx2 v[10:11], v[8:9], off
	s_waitcnt vmcnt(0)
	v_fma_f64 v[10:11], -v[4:5], v[30:31], v[10:11]
	global_store_dwordx2 v[8:9], v[10:11], off
	global_load_dwordx2 v[8:9], v[12:13], off
	v_lshl_add_u64 v[10:11], v[2:3], 3, s[8:9]
	v_add_u32_e32 v2, s14, v6
	s_waitcnt vmcnt(0)
	v_fma_f64 v[8:9], -v[4:5], v[32:33], v[8:9]
	global_store_dwordx2 v[12:13], v[8:9], off
	global_load_dwordx2 v[8:9], v[10:11], off
	v_lshl_add_u64 v[12:13], v[2:3], 3, s[8:9]
	v_add_u32_e32 v2, s15, v6
	;; [unrolled: 6-line block ×4, first 2 shown]
	v_lshl_add_u64 v[6:7], v[2:3], 3, s[8:9]
	v_subrev_u32_e32 v2, s22, v1
	s_waitcnt vmcnt(0)
	v_fma_f64 v[8:9], -v[4:5], v[38:39], v[8:9]
	global_store_dwordx2 v[10:11], v[8:9], off
	global_load_dwordx2 v[8:9], v[12:13], off
	v_add_u32_e32 v10, v2, v0
	v_ashrrev_i32_e32 v11, 31, v10
	v_add_u32_e32 v2, s4, v10
	v_lshl_add_u64 v[14:15], v[2:3], 3, s[8:9]
	v_add_u32_e32 v2, s5, v10
	s_waitcnt vmcnt(0)
	v_fma_f64 v[8:9], -v[4:5], v[40:41], v[8:9]
	global_store_dwordx2 v[12:13], v[8:9], off
	global_load_dwordx2 v[8:9], v[6:7], off
	v_lshl_add_u64 v[12:13], v[10:11], 3, s[10:11]
	global_load_dwordx2 v[12:13], v[12:13], off
	s_waitcnt vmcnt(1)
	v_fma_f64 v[4:5], -v[4:5], v[42:43], v[8:9]
	global_store_dwordx2 v[6:7], v[4:5], off
	global_load_dwordx2 v[4:5], v[14:15], off
	v_lshl_add_u64 v[6:7], v[2:3], 3, s[8:9]
	v_add_u32_e32 v2, s12, v10
	v_lshl_add_u64 v[8:9], v[2:3], 3, s[8:9]
	v_add_u32_e32 v2, s13, v10
	s_waitcnt vmcnt(0)
	v_fma_f64 v[4:5], -v[12:13], v[28:29], v[4:5]
	global_store_dwordx2 v[14:15], v[4:5], off
	global_load_dwordx2 v[4:5], v[6:7], off
	s_waitcnt vmcnt(0)
	v_fma_f64 v[4:5], -v[12:13], v[30:31], v[4:5]
	global_store_dwordx2 v[6:7], v[4:5], off
	global_load_dwordx2 v[4:5], v[8:9], off
	v_lshl_add_u64 v[6:7], v[2:3], 3, s[8:9]
	v_add_u32_e32 v2, s14, v10
	s_waitcnt vmcnt(0)
	v_fma_f64 v[4:5], -v[12:13], v[32:33], v[4:5]
	global_store_dwordx2 v[8:9], v[4:5], off
	global_load_dwordx2 v[4:5], v[6:7], off
	v_lshl_add_u64 v[8:9], v[2:3], 3, s[8:9]
	v_add_u32_e32 v2, s15, v10
	;; [unrolled: 6-line block ×4, first 2 shown]
	s_waitcnt vmcnt(0)
	v_fma_f64 v[4:5], -v[12:13], v[38:39], v[4:5]
	global_store_dwordx2 v[6:7], v[4:5], off
	global_load_dwordx2 v[4:5], v[8:9], off
	s_waitcnt vmcnt(0)
	v_fma_f64 v[4:5], -v[12:13], v[40:41], v[4:5]
	global_store_dwordx2 v[8:9], v[4:5], off
	v_lshl_add_u64 v[4:5], v[2:3], 3, s[8:9]
	global_load_dwordx2 v[6:7], v[4:5], off
	s_waitcnt vmcnt(0)
	v_fma_f64 v[6:7], -v[12:13], v[42:43], v[6:7]
	global_store_dwordx2 v[4:5], v[6:7], off
                                        ; implicit-def: $vgpr6
                                        ; implicit-def: $vgpr4_vgpr5
.LBB130_27:                             ;   in Loop: Header=BB130_25 Depth=1
	s_or_saveexec_b64 s[2:3], s[2:3]
	v_mov_b32_e32 v2, s18
	s_xor_b64 exec, exec, s[2:3]
	s_cbranch_execz .LBB130_24
; %bb.28:                               ;   in Loop: Header=BB130_25 Depth=1
	v_add_u32_e32 v7, v60, v1
	v_add_u32_e32 v2, s4, v7
	v_lshl_add_u64 v[8:9], v[2:3], 3, s[8:9]
	v_add_u32_e32 v2, s4, v6
	v_lshl_add_u64 v[10:11], v[2:3], 3, s[8:9]
	global_load_dwordx2 v[12:13], v[8:9], off
	global_load_dwordx2 v[14:15], v[10:11], off
	v_add_u32_e32 v2, s5, v7
	v_lshl_add_u64 v[8:9], v[2:3], 3, s[8:9]
	v_add_u32_e32 v2, s5, v6
	v_lshl_add_u64 v[16:17], v[2:3], 3, s[8:9]
	v_add_u32_e32 v2, s12, v7
	s_waitcnt vmcnt(0)
	v_fma_f64 v[12:13], -v[4:5], v[12:13], v[14:15]
	global_store_dwordx2 v[10:11], v[12:13], off
	global_load_dwordx2 v[10:11], v[8:9], off
	s_nop 0
	global_load_dwordx2 v[12:13], v[16:17], off
	v_lshl_add_u64 v[8:9], v[2:3], 3, s[8:9]
	v_add_u32_e32 v2, s12, v6
	v_lshl_add_u64 v[14:15], v[2:3], 3, s[8:9]
	v_add_u32_e32 v2, s13, v7
	s_waitcnt vmcnt(0)
	v_fma_f64 v[10:11], -v[4:5], v[10:11], v[12:13]
	global_store_dwordx2 v[16:17], v[10:11], off
	global_load_dwordx2 v[10:11], v[8:9], off
	s_nop 0
	global_load_dwordx2 v[12:13], v[14:15], off
	;; [unrolled: 10-line block ×6, first 2 shown]
	v_lshl_add_u64 v[8:9], v[2:3], 3, s[8:9]
	v_add_u32_e32 v2, s17, v6
	v_lshl_add_u64 v[6:7], v[2:3], 3, s[8:9]
	v_mov_b32_e32 v2, s22
	s_waitcnt vmcnt(0)
	v_fma_f64 v[10:11], -v[4:5], v[10:11], v[12:13]
	global_store_dwordx2 v[14:15], v[10:11], off
	global_load_dwordx2 v[10:11], v[8:9], off
	s_nop 0
	global_load_dwordx2 v[12:13], v[6:7], off
	s_waitcnt vmcnt(0)
	v_fma_f64 v[4:5], -v[4:5], v[10:11], v[12:13]
	global_store_dwordx2 v[6:7], v[4:5], off
	s_branch .LBB130_24
.LBB130_29:
	s_endpgm
	.section	.rodata,"a",@progbits
	.p2align	6, 0x0
	.amdhsa_kernel _ZN9rocsparseL19gtsv_LBM_rhs_kernelILj256ELj16ELj8EdEEviiiPKT2_S3_S3_PS1_S3_PKi
		.amdhsa_group_segment_fixed_size 0
		.amdhsa_private_segment_fixed_size 0
		.amdhsa_kernarg_size 64
		.amdhsa_user_sgpr_count 2
		.amdhsa_user_sgpr_dispatch_ptr 0
		.amdhsa_user_sgpr_queue_ptr 0
		.amdhsa_user_sgpr_kernarg_segment_ptr 1
		.amdhsa_user_sgpr_dispatch_id 0
		.amdhsa_user_sgpr_kernarg_preload_length 0
		.amdhsa_user_sgpr_kernarg_preload_offset 0
		.amdhsa_user_sgpr_private_segment_size 0
		.amdhsa_uses_dynamic_stack 0
		.amdhsa_enable_private_segment 0
		.amdhsa_system_sgpr_workgroup_id_x 1
		.amdhsa_system_sgpr_workgroup_id_y 1
		.amdhsa_system_sgpr_workgroup_id_z 0
		.amdhsa_system_sgpr_workgroup_info 0
		.amdhsa_system_vgpr_workitem_id 0
		.amdhsa_next_free_vgpr 90
		.amdhsa_next_free_sgpr 37
		.amdhsa_accum_offset 92
		.amdhsa_reserve_vcc 1
		.amdhsa_float_round_mode_32 0
		.amdhsa_float_round_mode_16_64 0
		.amdhsa_float_denorm_mode_32 3
		.amdhsa_float_denorm_mode_16_64 3
		.amdhsa_dx10_clamp 1
		.amdhsa_ieee_mode 1
		.amdhsa_fp16_overflow 0
		.amdhsa_tg_split 0
		.amdhsa_exception_fp_ieee_invalid_op 0
		.amdhsa_exception_fp_denorm_src 0
		.amdhsa_exception_fp_ieee_div_zero 0
		.amdhsa_exception_fp_ieee_overflow 0
		.amdhsa_exception_fp_ieee_underflow 0
		.amdhsa_exception_fp_ieee_inexact 0
		.amdhsa_exception_int_div_zero 0
	.end_amdhsa_kernel
	.section	.text._ZN9rocsparseL19gtsv_LBM_rhs_kernelILj256ELj16ELj8EdEEviiiPKT2_S3_S3_PS1_S3_PKi,"axG",@progbits,_ZN9rocsparseL19gtsv_LBM_rhs_kernelILj256ELj16ELj8EdEEviiiPKT2_S3_S3_PS1_S3_PKi,comdat
.Lfunc_end130:
	.size	_ZN9rocsparseL19gtsv_LBM_rhs_kernelILj256ELj16ELj8EdEEviiiPKT2_S3_S3_PS1_S3_PKi, .Lfunc_end130-_ZN9rocsparseL19gtsv_LBM_rhs_kernelILj256ELj16ELj8EdEEviiiPKT2_S3_S3_PS1_S3_PKi
                                        ; -- End function
	.set _ZN9rocsparseL19gtsv_LBM_rhs_kernelILj256ELj16ELj8EdEEviiiPKT2_S3_S3_PS1_S3_PKi.num_vgpr, 90
	.set _ZN9rocsparseL19gtsv_LBM_rhs_kernelILj256ELj16ELj8EdEEviiiPKT2_S3_S3_PS1_S3_PKi.num_agpr, 0
	.set _ZN9rocsparseL19gtsv_LBM_rhs_kernelILj256ELj16ELj8EdEEviiiPKT2_S3_S3_PS1_S3_PKi.numbered_sgpr, 37
	.set _ZN9rocsparseL19gtsv_LBM_rhs_kernelILj256ELj16ELj8EdEEviiiPKT2_S3_S3_PS1_S3_PKi.num_named_barrier, 0
	.set _ZN9rocsparseL19gtsv_LBM_rhs_kernelILj256ELj16ELj8EdEEviiiPKT2_S3_S3_PS1_S3_PKi.private_seg_size, 0
	.set _ZN9rocsparseL19gtsv_LBM_rhs_kernelILj256ELj16ELj8EdEEviiiPKT2_S3_S3_PS1_S3_PKi.uses_vcc, 1
	.set _ZN9rocsparseL19gtsv_LBM_rhs_kernelILj256ELj16ELj8EdEEviiiPKT2_S3_S3_PS1_S3_PKi.uses_flat_scratch, 0
	.set _ZN9rocsparseL19gtsv_LBM_rhs_kernelILj256ELj16ELj8EdEEviiiPKT2_S3_S3_PS1_S3_PKi.has_dyn_sized_stack, 0
	.set _ZN9rocsparseL19gtsv_LBM_rhs_kernelILj256ELj16ELj8EdEEviiiPKT2_S3_S3_PS1_S3_PKi.has_recursion, 0
	.set _ZN9rocsparseL19gtsv_LBM_rhs_kernelILj256ELj16ELj8EdEEviiiPKT2_S3_S3_PS1_S3_PKi.has_indirect_call, 0
	.section	.AMDGPU.csdata,"",@progbits
; Kernel info:
; codeLenInByte = 4144
; TotalNumSgprs: 43
; NumVgprs: 90
; NumAgprs: 0
; TotalNumVgprs: 90
; ScratchSize: 0
; MemoryBound: 0
; FloatMode: 240
; IeeeMode: 1
; LDSByteSize: 0 bytes/workgroup (compile time only)
; SGPRBlocks: 5
; VGPRBlocks: 11
; NumSGPRsForWavesPerEU: 43
; NumVGPRsForWavesPerEU: 90
; AccumOffset: 92
; Occupancy: 5
; WaveLimiterHint : 0
; COMPUTE_PGM_RSRC2:SCRATCH_EN: 0
; COMPUTE_PGM_RSRC2:USER_SGPR: 2
; COMPUTE_PGM_RSRC2:TRAP_HANDLER: 0
; COMPUTE_PGM_RSRC2:TGID_X_EN: 1
; COMPUTE_PGM_RSRC2:TGID_Y_EN: 1
; COMPUTE_PGM_RSRC2:TGID_Z_EN: 0
; COMPUTE_PGM_RSRC2:TIDIG_COMP_CNT: 0
; COMPUTE_PGM_RSRC3_GFX90A:ACCUM_OFFSET: 22
; COMPUTE_PGM_RSRC3_GFX90A:TG_SPLIT: 0
	.section	.text._ZN9rocsparseL19gtsv_LBM_rhs_kernelILj256ELj16ELj4EdEEviiiPKT2_S3_S3_PS1_S3_PKi,"axG",@progbits,_ZN9rocsparseL19gtsv_LBM_rhs_kernelILj256ELj16ELj4EdEEviiiPKT2_S3_S3_PS1_S3_PKi,comdat
	.globl	_ZN9rocsparseL19gtsv_LBM_rhs_kernelILj256ELj16ELj4EdEEviiiPKT2_S3_S3_PS1_S3_PKi ; -- Begin function _ZN9rocsparseL19gtsv_LBM_rhs_kernelILj256ELj16ELj4EdEEviiiPKT2_S3_S3_PS1_S3_PKi
	.p2align	8
	.type	_ZN9rocsparseL19gtsv_LBM_rhs_kernelILj256ELj16ELj4EdEEviiiPKT2_S3_S3_PS1_S3_PKi,@function
_ZN9rocsparseL19gtsv_LBM_rhs_kernelILj256ELj16ELj4EdEEviiiPKT2_S3_S3_PS1_S3_PKi: ; @_ZN9rocsparseL19gtsv_LBM_rhs_kernelILj256ELj16ELj4EdEEviiiPKT2_S3_S3_PS1_S3_PKi
; %bb.0:
	s_load_dword s23, s[0:1], 0x0
	v_lshl_or_b32 v0, s2, 8, v0
	s_waitcnt lgkmcnt(0)
	s_lshr_b32 s22, s23, 4
	v_cmp_gt_i32_e32 vcc, s22, v0
	s_and_saveexec_b64 s[4:5], vcc
	s_cbranch_execz .LBB131_29
; %bb.1:
	s_load_dwordx4 s[8:11], s[0:1], 0x28
	s_load_dwordx2 s[6:7], s[0:1], 0x38
	s_cmp_lt_i32 s23, 1
	v_add_u32_e32 v42, s22, v0
	s_mul_i32 s24, s3, s23
	s_cbranch_scc1 .LBB131_21
; %bb.2:
	s_load_dwordx4 s[12:15], s[0:1], 0x10
	s_load_dwordx2 s[16:17], s[0:1], 0x20
	v_ashrrev_i32_e32 v1, 31, v0
	s_lshl_b32 s28, s24, 2
	s_add_i32 s29, s28, s23
	s_waitcnt lgkmcnt(0)
	v_lshl_add_u64 v[2:3], v[0:1], 3, s[14:15]
	global_load_dwordx2 v[4:5], v[2:3], off
	s_add_i32 s30, s29, s23
	s_mul_i32 s25, s22, 15
	s_mul_i32 s26, s22, 14
	s_lshl_b32 s27, s22, 1
	v_add_u32_e32 v43, s22, v42
	s_add_i32 s31, s30, s23
	v_mov_b32_e32 v3, 0
	s_mov_b64 s[18:19], 0
	v_mov_b32_e32 v1, 0
	s_branch .LBB131_5
.LBB131_3:                              ;   in Loop: Header=BB131_5 Depth=1
	s_or_b64 exec, exec, s[4:5]
	v_fma_f64 v[4:5], -v[4:5], v[14:15], v[8:9]
	v_mov_b32_e32 v2, s22
.LBB131_4:                              ;   in Loop: Header=BB131_5 Depth=1
	s_or_b64 exec, exec, s[2:3]
	v_add_u32_e32 v1, v2, v1
	v_cmp_le_i32_e32 vcc, s23, v1
	s_or_b64 s[18:19], vcc, s[18:19]
	s_andn2_b64 exec, exec, s[18:19]
	s_cbranch_execz .LBB131_20
.LBB131_5:                              ; =>This Inner Loop Header: Depth=1
	v_add_u32_e32 v14, v1, v0
	v_ashrrev_i32_e32 v15, 31, v14
	v_lshl_add_u64 v[6:7], v[14:15], 3, s[16:17]
	global_load_dwordx2 v[20:21], v[6:7], off
	v_cmp_gt_u32_e64 s[0:1], s25, v1
	v_mov_b64_e32 v[8:9], 0
	v_mov_b64_e32 v[6:7], 0
	s_and_saveexec_b64 s[2:3], s[0:1]
	s_cbranch_execz .LBB131_7
; %bb.6:                                ;   in Loop: Header=BB131_5 Depth=1
	v_add_u32_e32 v6, v42, v1
	v_ashrrev_i32_e32 v7, 31, v6
	v_lshl_add_u64 v[6:7], v[6:7], 3, s[12:13]
	global_load_dwordx2 v[6:7], v[6:7], off
.LBB131_7:                              ;   in Loop: Header=BB131_5 Depth=1
	s_or_b64 exec, exec, s[2:3]
	s_and_saveexec_b64 s[2:3], s[0:1]
	s_cbranch_execz .LBB131_9
; %bb.8:                                ;   in Loop: Header=BB131_5 Depth=1
	v_add_u32_e32 v8, v42, v1
	v_ashrrev_i32_e32 v9, 31, v8
	v_lshl_add_u64 v[8:9], v[8:9], 3, s[14:15]
	global_load_dwordx2 v[8:9], v[8:9], off
.LBB131_9:                              ;   in Loop: Header=BB131_5 Depth=1
	s_or_b64 exec, exec, s[2:3]
	v_mov_b64_e32 v[12:13], 0
	v_mov_b64_e32 v[10:11], 0
	s_and_saveexec_b64 s[2:3], s[0:1]
	s_cbranch_execz .LBB131_11
; %bb.10:                               ;   in Loop: Header=BB131_5 Depth=1
	v_add_u32_e32 v10, v42, v1
	v_ashrrev_i32_e32 v11, 31, v10
	v_lshl_add_u64 v[10:11], v[10:11], 3, s[16:17]
	global_load_dwordx2 v[10:11], v[10:11], off
.LBB131_11:                             ;   in Loop: Header=BB131_5 Depth=1
	s_or_b64 exec, exec, s[2:3]
	v_cmp_gt_u32_e64 s[2:3], s26, v1
	s_and_saveexec_b64 s[4:5], s[2:3]
	s_cbranch_execz .LBB131_13
; %bb.12:                               ;   in Loop: Header=BB131_5 Depth=1
	v_add_u32_e32 v12, v43, v1
	v_ashrrev_i32_e32 v13, 31, v12
	v_lshl_add_u64 v[12:13], v[12:13], 3, s[12:13]
	global_load_dwordx2 v[12:13], v[12:13], off
.LBB131_13:                             ;   in Loop: Header=BB131_5 Depth=1
	s_or_b64 exec, exec, s[4:5]
	v_add_u32_e32 v2, s28, v14
	v_lshl_add_u64 v[26:27], v[2:3], 3, s[8:9]
	v_add_u32_e32 v2, s29, v14
	v_lshl_add_u64 v[28:29], v[2:3], 3, s[8:9]
	v_add_u32_e32 v2, s30, v14
	s_waitcnt vmcnt(4)
	v_lshl_add_u64 v[16:17], v[14:15], 2, s[6:7]
	v_lshl_add_u64 v[30:31], v[2:3], 3, s[8:9]
	v_add_u32_e32 v2, s31, v14
	global_load_dword v15, v[16:17], off
	v_lshl_add_u64 v[34:35], v[2:3], 3, s[8:9]
	global_load_dwordx2 v[16:17], v[26:27], off
	global_load_dwordx2 v[18:19], v[28:29], off
	;; [unrolled: 1-line block ×4, first 2 shown]
	v_cmp_ne_u32_e64 s[4:5], s25, v1
	s_waitcnt vmcnt(4)
	v_cmp_ne_u32_e32 vcc, 1, v15
	s_and_b64 s[4:5], s[4:5], vcc
	v_mul_f64 v[14:15], v[20:21], v[6:7]
	s_and_saveexec_b64 s[20:21], s[4:5]
	s_xor_b64 s[4:5], exec, s[20:21]
	s_cbranch_execz .LBB131_17
; %bb.14:                               ;   in Loop: Header=BB131_5 Depth=1
	v_fma_f64 v[14:15], v[4:5], v[8:9], -v[14:15]
	v_div_scale_f64 v[22:23], s[20:21], v[14:15], v[14:15], 1.0
	v_rcp_f64_e32 v[24:25], v[22:23]
	s_nop 0
	v_fma_f64 v[38:39], -v[22:23], v[24:25], 1.0
	v_fmac_f64_e32 v[24:25], v[24:25], v[38:39]
	v_fma_f64 v[38:39], -v[22:23], v[24:25], 1.0
	v_fmac_f64_e32 v[24:25], v[24:25], v[38:39]
	v_div_scale_f64 v[38:39], vcc, 1.0, v[14:15], 1.0
	v_mul_f64 v[40:41], v[38:39], v[24:25]
	v_fma_f64 v[22:23], -v[22:23], v[40:41], v[38:39]
	s_nop 1
	v_div_fmas_f64 v[22:23], v[22:23], v[24:25], v[40:41]
	v_div_fixup_f64 v[14:15], v[22:23], v[14:15], 1.0
	s_waitcnt vmcnt(2)
	v_mul_f64 v[24:25], v[14:15], v[18:19]
	s_waitcnt vmcnt(0)
	v_mul_f64 v[18:19], v[14:15], v[36:37]
	v_add_u32_e32 v36, v42, v1
	v_add_u32_e32 v2, s28, v36
	v_lshl_add_u64 v[44:45], v[2:3], 3, s[8:9]
	v_mul_f64 v[22:23], v[14:15], v[16:17]
	v_mul_f64 v[16:17], v[14:15], v[32:33]
	global_load_dwordx2 v[32:33], v[44:45], off
	v_add_u32_e32 v2, s29, v36
	v_lshl_add_u64 v[46:47], v[2:3], 3, s[8:9]
	v_add_u32_e32 v2, s30, v36
	v_lshl_add_u64 v[48:49], v[2:3], 3, s[8:9]
	;; [unrolled: 2-line block ×3, first 2 shown]
	global_load_dwordx2 v[36:37], v[50:51], off
	s_waitcnt vmcnt(1)
	v_mul_f64 v[38:39], v[14:15], v[32:33]
	global_load_dwordx2 v[32:33], v[46:47], off
	v_mul_f64 v[52:53], v[20:21], v[38:39]
	v_fma_f64 v[52:53], v[8:9], v[22:23], -v[52:53]
	s_waitcnt vmcnt(1)
	v_mul_f64 v[36:37], v[14:15], v[36:37]
	s_waitcnt vmcnt(0)
	v_mul_f64 v[40:41], v[14:15], v[32:33]
	global_load_dwordx2 v[32:33], v[48:49], off
	s_waitcnt vmcnt(0)
	v_mul_f64 v[32:33], v[14:15], v[32:33]
	global_store_dwordx2 v[26:27], v[52:53], off
	v_mul_f64 v[26:27], v[20:21], v[40:41]
	v_fma_f64 v[26:27], v[8:9], v[24:25], -v[26:27]
	global_store_dwordx2 v[28:29], v[26:27], off
	v_mul_f64 v[26:27], v[20:21], v[32:33]
	v_mul_f64 v[20:21], v[20:21], v[36:37]
	v_fma_f64 v[26:27], v[8:9], v[16:17], -v[26:27]
	v_fma_f64 v[8:9], v[8:9], v[18:19], -v[20:21]
	global_store_dwordx2 v[30:31], v[26:27], off
	global_store_dwordx2 v[34:35], v[8:9], off
	v_mul_f64 v[8:9], v[6:7], v[22:23]
	v_fma_f64 v[8:9], v[4:5], v[38:39], -v[8:9]
	global_store_dwordx2 v[44:45], v[8:9], off
	v_mul_f64 v[8:9], v[6:7], v[24:25]
	v_fma_f64 v[8:9], v[4:5], v[40:41], -v[8:9]
	;; [unrolled: 3-line block ×4, first 2 shown]
	global_store_dwordx2 v[50:51], v[8:9], off
	v_mov_b64_e32 v[8:9], 0
	s_and_saveexec_b64 s[20:21], s[2:3]
	s_cbranch_execz .LBB131_16
; %bb.15:                               ;   in Loop: Header=BB131_5 Depth=1
	v_add_u32_e32 v8, v43, v1
	v_add_u32_e32 v2, s28, v8
	v_lshl_add_u64 v[20:21], v[2:3], 3, s[8:9]
	v_add_u32_e32 v2, s29, v8
	global_load_dwordx2 v[26:27], v[20:21], off
	v_lshl_add_u64 v[28:29], v[2:3], 3, s[8:9]
	global_load_dwordx2 v[30:31], v[28:29], off
	v_mul_f64 v[4:5], v[4:5], v[12:13]
	v_mul_f64 v[6:7], v[6:7], v[12:13]
	;; [unrolled: 1-line block ×4, first 2 shown]
	v_fma_f64 v[12:13], v[6:7], v[22:23], -v[12:13]
	v_fma_f64 v[22:23], v[6:7], v[24:25], -v[34:35]
	v_add_u32_e32 v2, s30, v8
	v_ashrrev_i32_e32 v9, 31, v8
	v_lshl_add_u64 v[24:25], v[2:3], 3, s[8:9]
	v_add_u32_e32 v2, s31, v8
	v_lshl_add_u64 v[34:35], v[2:3], 3, s[8:9]
	v_lshl_add_u64 v[8:9], v[8:9], 3, s[14:15]
	global_load_dwordx2 v[8:9], v[8:9], off
	s_waitcnt vmcnt(2)
	v_add_f64 v[12:13], v[12:13], v[26:27]
	global_store_dwordx2 v[20:21], v[12:13], off
	s_waitcnt vmcnt(2)
	v_add_f64 v[12:13], v[22:23], v[30:31]
	global_store_dwordx2 v[28:29], v[12:13], off
	global_load_dwordx2 v[20:21], v[24:25], off
	v_mul_f64 v[22:23], v[4:5], v[32:33]
	global_load_dwordx2 v[12:13], v[34:35], off
	v_mul_f64 v[26:27], v[4:5], v[36:37]
	v_mul_f64 v[4:5], v[10:11], v[4:5]
	v_fma_f64 v[10:11], v[6:7], v[16:17], -v[22:23]
	v_fma_f64 v[6:7], v[6:7], v[18:19], -v[26:27]
	s_waitcnt vmcnt(4)
	v_fma_f64 v[8:9], -v[14:15], v[4:5], v[8:9]
	s_waitcnt vmcnt(1)
	v_add_f64 v[10:11], v[10:11], v[20:21]
	global_store_dwordx2 v[24:25], v[10:11], off
	s_waitcnt vmcnt(1)
	v_add_f64 v[6:7], v[6:7], v[12:13]
	global_store_dwordx2 v[34:35], v[6:7], off
.LBB131_16:                             ;   in Loop: Header=BB131_5 Depth=1
	s_or_b64 exec, exec, s[20:21]
	v_mov_b64_e32 v[4:5], v[8:9]
                                        ; implicit-def: $vgpr6_vgpr7
                                        ; implicit-def: $vgpr8_vgpr9
                                        ; implicit-def: $vgpr14_vgpr15
                                        ; implicit-def: $vgpr26_vgpr27
                                        ; implicit-def: $vgpr16_vgpr17
                                        ; implicit-def: $vgpr28_vgpr29
                                        ; implicit-def: $vgpr18_vgpr19
                                        ; implicit-def: $vgpr30_vgpr31
                                        ; implicit-def: $vgpr32_vgpr33
                                        ; implicit-def: $vgpr34_vgpr35
                                        ; implicit-def: $vgpr36_vgpr37
.LBB131_17:                             ;   in Loop: Header=BB131_5 Depth=1
	s_or_saveexec_b64 s[2:3], s[4:5]
	v_mov_b32_e32 v2, s27
	s_xor_b64 exec, exec, s[2:3]
	s_cbranch_execz .LBB131_4
; %bb.18:                               ;   in Loop: Header=BB131_5 Depth=1
	v_div_scale_f64 v[10:11], s[4:5], v[4:5], v[4:5], 1.0
	v_rcp_f64_e32 v[12:13], v[10:11]
	v_div_scale_f64 v[20:21], vcc, 1.0, v[4:5], 1.0
	v_fma_f64 v[22:23], -v[10:11], v[12:13], 1.0
	v_fmac_f64_e32 v[12:13], v[12:13], v[22:23]
	v_fma_f64 v[22:23], -v[10:11], v[12:13], 1.0
	v_fmac_f64_e32 v[12:13], v[12:13], v[22:23]
	v_mul_f64 v[22:23], v[20:21], v[12:13]
	v_fma_f64 v[10:11], -v[10:11], v[22:23], v[20:21]
	v_div_fmas_f64 v[10:11], v[10:11], v[12:13], v[22:23]
	v_div_fixup_f64 v[4:5], v[10:11], v[4:5], 1.0
	s_waitcnt vmcnt(3)
	v_mul_f64 v[20:21], v[4:5], v[16:17]
	s_waitcnt vmcnt(2)
	v_mul_f64 v[16:17], v[4:5], v[18:19]
	;; [unrolled: 2-line block ×4, first 2 shown]
	global_store_dwordx2 v[26:27], v[20:21], off
	global_store_dwordx2 v[28:29], v[16:17], off
	;; [unrolled: 1-line block ×4, first 2 shown]
	s_and_saveexec_b64 s[4:5], s[0:1]
	s_cbranch_execz .LBB131_3
; %bb.19:                               ;   in Loop: Header=BB131_5 Depth=1
	v_add_u32_e32 v30, v42, v1
	v_add_u32_e32 v2, s28, v30
	v_lshl_add_u64 v[18:19], v[2:3], 3, s[8:9]
	v_add_u32_e32 v2, s29, v30
	v_lshl_add_u64 v[24:25], v[2:3], 3, s[8:9]
	global_load_dwordx2 v[22:23], v[18:19], off
	global_load_dwordx2 v[26:27], v[24:25], off
	v_add_u32_e32 v2, s30, v30
	v_lshl_add_u64 v[28:29], v[2:3], 3, s[8:9]
	v_add_u32_e32 v2, s31, v30
	v_lshl_add_u64 v[30:31], v[2:3], 3, s[8:9]
	s_waitcnt vmcnt(1)
	v_fma_f64 v[20:21], -v[6:7], v[20:21], v[22:23]
	s_waitcnt vmcnt(0)
	v_fma_f64 v[16:17], -v[6:7], v[16:17], v[26:27]
	global_store_dwordx2 v[18:19], v[20:21], off
	global_store_dwordx2 v[24:25], v[16:17], off
	global_load_dwordx2 v[18:19], v[28:29], off
	s_nop 0
	global_load_dwordx2 v[16:17], v[30:31], off
	s_waitcnt vmcnt(1)
	v_fma_f64 v[12:13], -v[6:7], v[12:13], v[18:19]
	global_store_dwordx2 v[28:29], v[12:13], off
	s_waitcnt vmcnt(1)
	v_fma_f64 v[6:7], -v[6:7], v[10:11], v[16:17]
	global_store_dwordx2 v[30:31], v[6:7], off
	s_branch .LBB131_3
.LBB131_20:
	s_or_b64 exec, exec, s[18:19]
	s_branch .LBB131_22
.LBB131_21:
	v_mov_b32_e32 v1, 0
.LBB131_22:
	v_subrev_u32_e32 v1, s22, v1
	v_add_u32_e32 v2, v1, v0
	v_ashrrev_i32_e32 v3, 31, v2
	s_waitcnt lgkmcnt(0)
	v_lshl_add_u64 v[2:3], v[2:3], 2, s[6:7]
	buffer_wbl2 sc1
	s_waitcnt vmcnt(0)
	buffer_inv sc1
	global_load_dword v2, v[2:3], off
	s_waitcnt vmcnt(0)
	v_mul_lo_u32 v2, v2, s22
	v_sub_u32_e32 v1, v1, v2
	v_cmp_lt_i32_e32 vcc, -1, v1
	s_and_b64 exec, exec, vcc
	s_cbranch_execz .LBB131_29
; %bb.23:
	s_lshl_b32 s4, s24, 2
	s_add_i32 s5, s4, s23
	s_add_i32 s12, s5, s23
	;; [unrolled: 1-line block ×3, first 2 shown]
	s_lshl_b32 s14, s22, 1
	s_mov_b64 s[0:1], 0
	v_mov_b32_e32 v3, 0
	s_branch .LBB131_25
.LBB131_24:                             ;   in Loop: Header=BB131_25 Depth=1
	s_or_b64 exec, exec, s[2:3]
	v_sub_u32_e32 v1, v1, v2
	v_cmp_gt_i32_e32 vcc, 0, v1
	s_or_b64 s[0:1], vcc, s[0:1]
	s_andn2_b64 exec, exec, s[0:1]
	s_cbranch_execz .LBB131_29
.LBB131_25:                             ; =>This Inner Loop Header: Depth=1
	v_add_u32_e32 v6, v1, v0
	v_ashrrev_i32_e32 v7, 31, v6
	s_waitcnt vmcnt(0)
	v_lshl_add_u64 v[4:5], v[6:7], 2, s[6:7]
	global_load_dword v2, v[4:5], off
	v_lshl_add_u64 v[4:5], v[6:7], 3, s[10:11]
	global_load_dwordx2 v[4:5], v[4:5], off
	s_waitcnt vmcnt(1)
	v_cmp_ne_u32_e32 vcc, 1, v2
	s_and_saveexec_b64 s[2:3], vcc
	s_xor_b64 s[2:3], exec, s[2:3]
	s_cbranch_execz .LBB131_27
; %bb.26:                               ;   in Loop: Header=BB131_25 Depth=1
	v_add_u32_e32 v7, v42, v1
	v_add_u32_e32 v2, s4, v7
	v_lshl_add_u64 v[8:9], v[2:3], 3, s[8:9]
	v_add_u32_e32 v2, s5, v7
	v_lshl_add_u64 v[10:11], v[2:3], 3, s[8:9]
	;; [unrolled: 2-line block ×5, first 2 shown]
	global_load_dwordx2 v[18:19], v[16:17], off
	global_load_dwordx2 v[20:21], v[8:9], off
	;; [unrolled: 1-line block ×5, first 2 shown]
	v_add_u32_e32 v2, s5, v6
	v_lshl_add_u64 v[8:9], v[2:3], 3, s[8:9]
	v_add_u32_e32 v2, s12, v6
	v_lshl_add_u64 v[12:13], v[2:3], 3, s[8:9]
	v_add_u32_e32 v2, s13, v6
	v_lshl_add_u64 v[6:7], v[2:3], 3, s[8:9]
	v_subrev_u32_e32 v2, s22, v1
	s_waitcnt vmcnt(3)
	v_fma_f64 v[10:11], -v[4:5], v[20:21], v[18:19]
	global_store_dwordx2 v[16:17], v[10:11], off
	global_load_dwordx2 v[10:11], v[8:9], off
	s_waitcnt vmcnt(0)
	v_fma_f64 v[10:11], -v[4:5], v[22:23], v[10:11]
	global_store_dwordx2 v[8:9], v[10:11], off
	global_load_dwordx2 v[8:9], v[12:13], off
	v_add_u32_e32 v10, v2, v0
	v_ashrrev_i32_e32 v11, 31, v10
	v_add_u32_e32 v2, s4, v10
	v_lshl_add_u64 v[14:15], v[2:3], 3, s[8:9]
	v_add_u32_e32 v2, s5, v10
	s_waitcnt vmcnt(0)
	v_fma_f64 v[8:9], -v[4:5], v[24:25], v[8:9]
	global_store_dwordx2 v[12:13], v[8:9], off
	global_load_dwordx2 v[8:9], v[6:7], off
	v_lshl_add_u64 v[12:13], v[10:11], 3, s[10:11]
	global_load_dwordx2 v[12:13], v[12:13], off
	s_waitcnt vmcnt(1)
	v_fma_f64 v[4:5], -v[4:5], v[26:27], v[8:9]
	global_store_dwordx2 v[6:7], v[4:5], off
	global_load_dwordx2 v[4:5], v[14:15], off
	v_lshl_add_u64 v[6:7], v[2:3], 3, s[8:9]
	v_add_u32_e32 v2, s12, v10
	v_lshl_add_u64 v[8:9], v[2:3], 3, s[8:9]
	v_add_u32_e32 v2, s13, v10
	s_waitcnt vmcnt(0)
	v_fma_f64 v[4:5], -v[12:13], v[20:21], v[4:5]
	global_store_dwordx2 v[14:15], v[4:5], off
	global_load_dwordx2 v[4:5], v[6:7], off
	s_waitcnt vmcnt(0)
	v_fma_f64 v[4:5], -v[12:13], v[22:23], v[4:5]
	global_store_dwordx2 v[6:7], v[4:5], off
	global_load_dwordx2 v[4:5], v[8:9], off
	s_waitcnt vmcnt(0)
	v_fma_f64 v[4:5], -v[12:13], v[24:25], v[4:5]
	global_store_dwordx2 v[8:9], v[4:5], off
	v_lshl_add_u64 v[4:5], v[2:3], 3, s[8:9]
	global_load_dwordx2 v[6:7], v[4:5], off
	s_waitcnt vmcnt(0)
	v_fma_f64 v[6:7], -v[12:13], v[26:27], v[6:7]
	global_store_dwordx2 v[4:5], v[6:7], off
                                        ; implicit-def: $vgpr6
                                        ; implicit-def: $vgpr4_vgpr5
.LBB131_27:                             ;   in Loop: Header=BB131_25 Depth=1
	s_or_saveexec_b64 s[2:3], s[2:3]
	v_mov_b32_e32 v2, s14
	s_xor_b64 exec, exec, s[2:3]
	s_cbranch_execz .LBB131_24
; %bb.28:                               ;   in Loop: Header=BB131_25 Depth=1
	v_add_u32_e32 v7, v42, v1
	v_add_u32_e32 v2, s4, v7
	v_lshl_add_u64 v[8:9], v[2:3], 3, s[8:9]
	v_add_u32_e32 v2, s4, v6
	v_lshl_add_u64 v[10:11], v[2:3], 3, s[8:9]
	global_load_dwordx2 v[12:13], v[8:9], off
	global_load_dwordx2 v[14:15], v[10:11], off
	v_add_u32_e32 v2, s5, v7
	v_lshl_add_u64 v[8:9], v[2:3], 3, s[8:9]
	v_add_u32_e32 v2, s5, v6
	v_lshl_add_u64 v[16:17], v[2:3], 3, s[8:9]
	v_add_u32_e32 v2, s12, v7
	s_waitcnt vmcnt(0)
	v_fma_f64 v[12:13], -v[4:5], v[12:13], v[14:15]
	global_store_dwordx2 v[10:11], v[12:13], off
	global_load_dwordx2 v[10:11], v[8:9], off
	s_nop 0
	global_load_dwordx2 v[12:13], v[16:17], off
	v_lshl_add_u64 v[8:9], v[2:3], 3, s[8:9]
	v_add_u32_e32 v2, s12, v6
	v_lshl_add_u64 v[14:15], v[2:3], 3, s[8:9]
	v_add_u32_e32 v2, s13, v7
	s_waitcnt vmcnt(0)
	v_fma_f64 v[10:11], -v[4:5], v[10:11], v[12:13]
	global_store_dwordx2 v[16:17], v[10:11], off
	global_load_dwordx2 v[10:11], v[8:9], off
	s_nop 0
	global_load_dwordx2 v[12:13], v[14:15], off
	v_lshl_add_u64 v[8:9], v[2:3], 3, s[8:9]
	v_add_u32_e32 v2, s13, v6
	v_lshl_add_u64 v[6:7], v[2:3], 3, s[8:9]
	v_mov_b32_e32 v2, s22
	s_waitcnt vmcnt(0)
	v_fma_f64 v[10:11], -v[4:5], v[10:11], v[12:13]
	global_store_dwordx2 v[14:15], v[10:11], off
	global_load_dwordx2 v[10:11], v[8:9], off
	s_nop 0
	global_load_dwordx2 v[12:13], v[6:7], off
	s_waitcnt vmcnt(0)
	v_fma_f64 v[4:5], -v[4:5], v[10:11], v[12:13]
	global_store_dwordx2 v[6:7], v[4:5], off
	s_branch .LBB131_24
.LBB131_29:
	s_endpgm
	.section	.rodata,"a",@progbits
	.p2align	6, 0x0
	.amdhsa_kernel _ZN9rocsparseL19gtsv_LBM_rhs_kernelILj256ELj16ELj4EdEEviiiPKT2_S3_S3_PS1_S3_PKi
		.amdhsa_group_segment_fixed_size 0
		.amdhsa_private_segment_fixed_size 0
		.amdhsa_kernarg_size 64
		.amdhsa_user_sgpr_count 2
		.amdhsa_user_sgpr_dispatch_ptr 0
		.amdhsa_user_sgpr_queue_ptr 0
		.amdhsa_user_sgpr_kernarg_segment_ptr 1
		.amdhsa_user_sgpr_dispatch_id 0
		.amdhsa_user_sgpr_kernarg_preload_length 0
		.amdhsa_user_sgpr_kernarg_preload_offset 0
		.amdhsa_user_sgpr_private_segment_size 0
		.amdhsa_uses_dynamic_stack 0
		.amdhsa_enable_private_segment 0
		.amdhsa_system_sgpr_workgroup_id_x 1
		.amdhsa_system_sgpr_workgroup_id_y 1
		.amdhsa_system_sgpr_workgroup_id_z 0
		.amdhsa_system_sgpr_workgroup_info 0
		.amdhsa_system_vgpr_workitem_id 0
		.amdhsa_next_free_vgpr 54
		.amdhsa_next_free_sgpr 32
		.amdhsa_accum_offset 56
		.amdhsa_reserve_vcc 1
		.amdhsa_float_round_mode_32 0
		.amdhsa_float_round_mode_16_64 0
		.amdhsa_float_denorm_mode_32 3
		.amdhsa_float_denorm_mode_16_64 3
		.amdhsa_dx10_clamp 1
		.amdhsa_ieee_mode 1
		.amdhsa_fp16_overflow 0
		.amdhsa_tg_split 0
		.amdhsa_exception_fp_ieee_invalid_op 0
		.amdhsa_exception_fp_denorm_src 0
		.amdhsa_exception_fp_ieee_div_zero 0
		.amdhsa_exception_fp_ieee_overflow 0
		.amdhsa_exception_fp_ieee_underflow 0
		.amdhsa_exception_fp_ieee_inexact 0
		.amdhsa_exception_int_div_zero 0
	.end_amdhsa_kernel
	.section	.text._ZN9rocsparseL19gtsv_LBM_rhs_kernelILj256ELj16ELj4EdEEviiiPKT2_S3_S3_PS1_S3_PKi,"axG",@progbits,_ZN9rocsparseL19gtsv_LBM_rhs_kernelILj256ELj16ELj4EdEEviiiPKT2_S3_S3_PS1_S3_PKi,comdat
.Lfunc_end131:
	.size	_ZN9rocsparseL19gtsv_LBM_rhs_kernelILj256ELj16ELj4EdEEviiiPKT2_S3_S3_PS1_S3_PKi, .Lfunc_end131-_ZN9rocsparseL19gtsv_LBM_rhs_kernelILj256ELj16ELj4EdEEviiiPKT2_S3_S3_PS1_S3_PKi
                                        ; -- End function
	.set _ZN9rocsparseL19gtsv_LBM_rhs_kernelILj256ELj16ELj4EdEEviiiPKT2_S3_S3_PS1_S3_PKi.num_vgpr, 54
	.set _ZN9rocsparseL19gtsv_LBM_rhs_kernelILj256ELj16ELj4EdEEviiiPKT2_S3_S3_PS1_S3_PKi.num_agpr, 0
	.set _ZN9rocsparseL19gtsv_LBM_rhs_kernelILj256ELj16ELj4EdEEviiiPKT2_S3_S3_PS1_S3_PKi.numbered_sgpr, 32
	.set _ZN9rocsparseL19gtsv_LBM_rhs_kernelILj256ELj16ELj4EdEEviiiPKT2_S3_S3_PS1_S3_PKi.num_named_barrier, 0
	.set _ZN9rocsparseL19gtsv_LBM_rhs_kernelILj256ELj16ELj4EdEEviiiPKT2_S3_S3_PS1_S3_PKi.private_seg_size, 0
	.set _ZN9rocsparseL19gtsv_LBM_rhs_kernelILj256ELj16ELj4EdEEviiiPKT2_S3_S3_PS1_S3_PKi.uses_vcc, 1
	.set _ZN9rocsparseL19gtsv_LBM_rhs_kernelILj256ELj16ELj4EdEEviiiPKT2_S3_S3_PS1_S3_PKi.uses_flat_scratch, 0
	.set _ZN9rocsparseL19gtsv_LBM_rhs_kernelILj256ELj16ELj4EdEEviiiPKT2_S3_S3_PS1_S3_PKi.has_dyn_sized_stack, 0
	.set _ZN9rocsparseL19gtsv_LBM_rhs_kernelILj256ELj16ELj4EdEEviiiPKT2_S3_S3_PS1_S3_PKi.has_recursion, 0
	.set _ZN9rocsparseL19gtsv_LBM_rhs_kernelILj256ELj16ELj4EdEEviiiPKT2_S3_S3_PS1_S3_PKi.has_indirect_call, 0
	.section	.AMDGPU.csdata,"",@progbits
; Kernel info:
; codeLenInByte = 2576
; TotalNumSgprs: 38
; NumVgprs: 54
; NumAgprs: 0
; TotalNumVgprs: 54
; ScratchSize: 0
; MemoryBound: 0
; FloatMode: 240
; IeeeMode: 1
; LDSByteSize: 0 bytes/workgroup (compile time only)
; SGPRBlocks: 4
; VGPRBlocks: 6
; NumSGPRsForWavesPerEU: 38
; NumVGPRsForWavesPerEU: 54
; AccumOffset: 56
; Occupancy: 8
; WaveLimiterHint : 0
; COMPUTE_PGM_RSRC2:SCRATCH_EN: 0
; COMPUTE_PGM_RSRC2:USER_SGPR: 2
; COMPUTE_PGM_RSRC2:TRAP_HANDLER: 0
; COMPUTE_PGM_RSRC2:TGID_X_EN: 1
; COMPUTE_PGM_RSRC2:TGID_Y_EN: 1
; COMPUTE_PGM_RSRC2:TGID_Z_EN: 0
; COMPUTE_PGM_RSRC2:TIDIG_COMP_CNT: 0
; COMPUTE_PGM_RSRC3_GFX90A:ACCUM_OFFSET: 13
; COMPUTE_PGM_RSRC3_GFX90A:TG_SPLIT: 0
	.section	.text._ZN9rocsparseL19gtsv_LBM_rhs_kernelILj256ELj16ELj2EdEEviiiPKT2_S3_S3_PS1_S3_PKi,"axG",@progbits,_ZN9rocsparseL19gtsv_LBM_rhs_kernelILj256ELj16ELj2EdEEviiiPKT2_S3_S3_PS1_S3_PKi,comdat
	.globl	_ZN9rocsparseL19gtsv_LBM_rhs_kernelILj256ELj16ELj2EdEEviiiPKT2_S3_S3_PS1_S3_PKi ; -- Begin function _ZN9rocsparseL19gtsv_LBM_rhs_kernelILj256ELj16ELj2EdEEviiiPKT2_S3_S3_PS1_S3_PKi
	.p2align	8
	.type	_ZN9rocsparseL19gtsv_LBM_rhs_kernelILj256ELj16ELj2EdEEviiiPKT2_S3_S3_PS1_S3_PKi,@function
_ZN9rocsparseL19gtsv_LBM_rhs_kernelILj256ELj16ELj2EdEEviiiPKT2_S3_S3_PS1_S3_PKi: ; @_ZN9rocsparseL19gtsv_LBM_rhs_kernelILj256ELj16ELj2EdEEviiiPKT2_S3_S3_PS1_S3_PKi
; %bb.0:
	s_load_dword s23, s[0:1], 0x0
	v_lshl_or_b32 v0, s2, 8, v0
	s_waitcnt lgkmcnt(0)
	s_lshr_b32 s22, s23, 4
	v_cmp_gt_i32_e32 vcc, s22, v0
	s_and_saveexec_b64 s[4:5], vcc
	s_cbranch_execz .LBB132_29
; %bb.1:
	s_load_dwordx4 s[8:11], s[0:1], 0x28
	s_load_dwordx2 s[6:7], s[0:1], 0x38
	s_cmp_lt_i32 s23, 1
	v_add_u32_e32 v30, s22, v0
	s_mul_i32 s24, s3, s23
	s_cbranch_scc1 .LBB132_21
; %bb.2:
	s_load_dwordx4 s[12:15], s[0:1], 0x10
	s_load_dwordx2 s[16:17], s[0:1], 0x20
	v_ashrrev_i32_e32 v1, 31, v0
	s_lshl_b32 s28, s24, 1
	s_mul_i32 s25, s22, 15
	s_waitcnt lgkmcnt(0)
	v_lshl_add_u64 v[2:3], v[0:1], 3, s[14:15]
	global_load_dwordx2 v[4:5], v[2:3], off
	s_mul_i32 s26, s22, 14
	s_lshl_b32 s27, s22, 1
	v_add_u32_e32 v31, s22, v30
	s_add_i32 s29, s28, s23
	v_mov_b32_e32 v3, 0
	s_mov_b64 s[18:19], 0
	v_mov_b32_e32 v1, 0
	s_branch .LBB132_5
.LBB132_3:                              ;   in Loop: Header=BB132_5 Depth=1
	s_or_b64 exec, exec, s[4:5]
	v_fma_f64 v[4:5], -v[4:5], v[20:21], v[8:9]
	v_mov_b32_e32 v2, s22
.LBB132_4:                              ;   in Loop: Header=BB132_5 Depth=1
	s_or_b64 exec, exec, s[2:3]
	v_add_u32_e32 v1, v2, v1
	v_cmp_le_i32_e32 vcc, s23, v1
	s_or_b64 s[18:19], vcc, s[18:19]
	s_andn2_b64 exec, exec, s[18:19]
	s_cbranch_execz .LBB132_20
.LBB132_5:                              ; =>This Inner Loop Header: Depth=1
	v_add_u32_e32 v18, v1, v0
	v_ashrrev_i32_e32 v19, 31, v18
	v_lshl_add_u64 v[6:7], v[18:19], 3, s[16:17]
	global_load_dwordx2 v[12:13], v[6:7], off
	v_cmp_gt_u32_e64 s[0:1], s25, v1
	v_mov_b64_e32 v[8:9], 0
	v_mov_b64_e32 v[6:7], 0
	s_and_saveexec_b64 s[2:3], s[0:1]
	s_cbranch_execz .LBB132_7
; %bb.6:                                ;   in Loop: Header=BB132_5 Depth=1
	v_add_u32_e32 v6, v30, v1
	v_ashrrev_i32_e32 v7, 31, v6
	v_lshl_add_u64 v[6:7], v[6:7], 3, s[12:13]
	global_load_dwordx2 v[6:7], v[6:7], off
.LBB132_7:                              ;   in Loop: Header=BB132_5 Depth=1
	s_or_b64 exec, exec, s[2:3]
	s_and_saveexec_b64 s[2:3], s[0:1]
	s_cbranch_execz .LBB132_9
; %bb.8:                                ;   in Loop: Header=BB132_5 Depth=1
	v_add_u32_e32 v8, v30, v1
	v_ashrrev_i32_e32 v9, 31, v8
	v_lshl_add_u64 v[8:9], v[8:9], 3, s[14:15]
	global_load_dwordx2 v[8:9], v[8:9], off
.LBB132_9:                              ;   in Loop: Header=BB132_5 Depth=1
	s_or_b64 exec, exec, s[2:3]
	v_mov_b64_e32 v[14:15], 0
	v_mov_b64_e32 v[10:11], 0
	s_and_saveexec_b64 s[2:3], s[0:1]
	s_cbranch_execz .LBB132_11
; %bb.10:                               ;   in Loop: Header=BB132_5 Depth=1
	v_add_u32_e32 v10, v30, v1
	v_ashrrev_i32_e32 v11, 31, v10
	v_lshl_add_u64 v[10:11], v[10:11], 3, s[16:17]
	global_load_dwordx2 v[10:11], v[10:11], off
.LBB132_11:                             ;   in Loop: Header=BB132_5 Depth=1
	s_or_b64 exec, exec, s[2:3]
	v_cmp_gt_u32_e64 s[2:3], s26, v1
	s_and_saveexec_b64 s[4:5], s[2:3]
	s_cbranch_execz .LBB132_13
; %bb.12:                               ;   in Loop: Header=BB132_5 Depth=1
	v_add_u32_e32 v14, v31, v1
	v_ashrrev_i32_e32 v15, 31, v14
	v_lshl_add_u64 v[14:15], v[14:15], 3, s[12:13]
	global_load_dwordx2 v[14:15], v[14:15], off
.LBB132_13:                             ;   in Loop: Header=BB132_5 Depth=1
	s_or_b64 exec, exec, s[4:5]
	v_lshl_add_u64 v[16:17], v[18:19], 2, s[6:7]
	global_load_dword v20, v[16:17], off
	v_add_u32_e32 v2, s28, v18
	v_lshl_add_u64 v[16:17], v[2:3], 3, s[8:9]
	v_add_u32_e32 v2, s29, v18
	v_lshl_add_u64 v[18:19], v[2:3], 3, s[8:9]
	global_load_dwordx2 v[22:23], v[16:17], off
	global_load_dwordx2 v[24:25], v[18:19], off
	v_cmp_ne_u32_e32 vcc, s25, v1
	s_waitcnt vmcnt(2)
	v_cmp_ne_u32_e64 s[4:5], 1, v20
	s_and_b64 s[4:5], vcc, s[4:5]
	v_mul_f64 v[20:21], v[12:13], v[6:7]
	s_and_saveexec_b64 s[20:21], s[4:5]
	s_xor_b64 s[4:5], exec, s[20:21]
	s_cbranch_execz .LBB132_17
; %bb.14:                               ;   in Loop: Header=BB132_5 Depth=1
	v_add_u32_e32 v26, v30, v1
	v_add_u32_e32 v2, s28, v26
	v_lshl_add_u64 v[32:33], v[2:3], 3, s[8:9]
	v_add_u32_e32 v2, s29, v26
	v_lshl_add_u64 v[34:35], v[2:3], 3, s[8:9]
	global_load_dwordx2 v[26:27], v[32:33], off
	global_load_dwordx2 v[28:29], v[34:35], off
	v_fma_f64 v[20:21], v[4:5], v[8:9], -v[20:21]
	v_div_scale_f64 v[36:37], s[20:21], v[20:21], v[20:21], 1.0
	v_rcp_f64_e32 v[38:39], v[36:37]
	v_div_scale_f64 v[40:41], vcc, 1.0, v[20:21], 1.0
	v_fma_f64 v[42:43], -v[36:37], v[38:39], 1.0
	v_fmac_f64_e32 v[38:39], v[38:39], v[42:43]
	v_fma_f64 v[42:43], -v[36:37], v[38:39], 1.0
	v_fmac_f64_e32 v[38:39], v[38:39], v[42:43]
	v_mul_f64 v[42:43], v[40:41], v[38:39]
	v_fma_f64 v[36:37], -v[36:37], v[42:43], v[40:41]
	v_div_fmas_f64 v[36:37], v[36:37], v[38:39], v[42:43]
	v_div_fixup_f64 v[20:21], v[36:37], v[20:21], 1.0
	s_waitcnt vmcnt(3)
	v_mul_f64 v[22:23], v[20:21], v[22:23]
	s_waitcnt vmcnt(2)
	v_mul_f64 v[24:25], v[20:21], v[24:25]
	v_mul_f64 v[36:37], v[6:7], v[22:23]
	;; [unrolled: 1-line block ×3, first 2 shown]
	s_waitcnt vmcnt(1)
	v_mul_f64 v[26:27], v[20:21], v[26:27]
	s_waitcnt vmcnt(0)
	v_mul_f64 v[28:29], v[20:21], v[28:29]
	v_mul_f64 v[40:41], v[12:13], v[26:27]
	;; [unrolled: 1-line block ×3, first 2 shown]
	v_fma_f64 v[40:41], v[8:9], v[22:23], -v[40:41]
	v_fma_f64 v[8:9], v[8:9], v[24:25], -v[12:13]
	;; [unrolled: 1-line block ×4, first 2 shown]
	global_store_dwordx2 v[16:17], v[40:41], off
	global_store_dwordx2 v[18:19], v[8:9], off
	;; [unrolled: 1-line block ×4, first 2 shown]
	v_mov_b64_e32 v[8:9], 0
	s_and_saveexec_b64 s[20:21], s[2:3]
	s_cbranch_execz .LBB132_16
; %bb.15:                               ;   in Loop: Header=BB132_5 Depth=1
	v_add_u32_e32 v8, v31, v1
	v_add_u32_e32 v2, s28, v8
	v_ashrrev_i32_e32 v9, 31, v8
	v_lshl_add_u64 v[12:13], v[2:3], 3, s[8:9]
	v_add_u32_e32 v2, s29, v8
	v_lshl_add_u64 v[8:9], v[8:9], 3, s[14:15]
	v_lshl_add_u64 v[16:17], v[2:3], 3, s[8:9]
	global_load_dwordx2 v[18:19], v[12:13], off
	global_load_dwordx2 v[32:33], v[16:17], off
	v_mul_f64 v[4:5], v[4:5], v[14:15]
	global_load_dwordx2 v[8:9], v[8:9], off
	v_mul_f64 v[6:7], v[6:7], v[14:15]
	v_mul_f64 v[14:15], v[4:5], v[26:27]
	;; [unrolled: 1-line block ×4, first 2 shown]
	v_fma_f64 v[10:11], v[6:7], v[22:23], -v[14:15]
	v_fma_f64 v[6:7], v[6:7], v[24:25], -v[26:27]
	s_waitcnt vmcnt(2)
	v_add_f64 v[10:11], v[10:11], v[18:19]
	s_waitcnt vmcnt(1)
	v_add_f64 v[6:7], v[6:7], v[32:33]
	global_store_dwordx2 v[12:13], v[10:11], off
	s_waitcnt vmcnt(1)
	v_fma_f64 v[8:9], -v[20:21], v[4:5], v[8:9]
	global_store_dwordx2 v[16:17], v[6:7], off
.LBB132_16:                             ;   in Loop: Header=BB132_5 Depth=1
	s_or_b64 exec, exec, s[20:21]
	v_mov_b64_e32 v[4:5], v[8:9]
                                        ; implicit-def: $vgpr20_vgpr21
                                        ; implicit-def: $vgpr8_vgpr9
                                        ; implicit-def: $vgpr22_vgpr23
                                        ; implicit-def: $vgpr24_vgpr25
                                        ; implicit-def: $vgpr16_vgpr17
                                        ; implicit-def: $vgpr18_vgpr19
                                        ; implicit-def: $vgpr6_vgpr7
.LBB132_17:                             ;   in Loop: Header=BB132_5 Depth=1
	s_or_saveexec_b64 s[2:3], s[4:5]
	v_mov_b32_e32 v2, s27
	s_xor_b64 exec, exec, s[2:3]
	s_cbranch_execz .LBB132_4
; %bb.18:                               ;   in Loop: Header=BB132_5 Depth=1
	v_div_scale_f64 v[10:11], s[4:5], v[4:5], v[4:5], 1.0
	v_rcp_f64_e32 v[12:13], v[10:11]
	v_div_scale_f64 v[14:15], vcc, 1.0, v[4:5], 1.0
	v_fma_f64 v[26:27], -v[10:11], v[12:13], 1.0
	v_fmac_f64_e32 v[12:13], v[12:13], v[26:27]
	v_fma_f64 v[26:27], -v[10:11], v[12:13], 1.0
	v_fmac_f64_e32 v[12:13], v[12:13], v[26:27]
	v_mul_f64 v[26:27], v[14:15], v[12:13]
	v_fma_f64 v[10:11], -v[10:11], v[26:27], v[14:15]
	v_div_fmas_f64 v[10:11], v[10:11], v[12:13], v[26:27]
	v_div_fixup_f64 v[4:5], v[10:11], v[4:5], 1.0
	s_waitcnt vmcnt(1)
	v_mul_f64 v[12:13], v[4:5], v[22:23]
	s_waitcnt vmcnt(0)
	v_mul_f64 v[10:11], v[4:5], v[24:25]
	global_store_dwordx2 v[16:17], v[12:13], off
	global_store_dwordx2 v[18:19], v[10:11], off
	s_and_saveexec_b64 s[4:5], s[0:1]
	s_cbranch_execz .LBB132_3
; %bb.19:                               ;   in Loop: Header=BB132_5 Depth=1
	v_add_u32_e32 v18, v30, v1
	v_add_u32_e32 v2, s28, v18
	v_lshl_add_u64 v[14:15], v[2:3], 3, s[8:9]
	v_add_u32_e32 v2, s29, v18
	v_lshl_add_u64 v[18:19], v[2:3], 3, s[8:9]
	global_load_dwordx2 v[16:17], v[14:15], off
	global_load_dwordx2 v[22:23], v[18:19], off
	s_waitcnt vmcnt(1)
	v_fma_f64 v[12:13], -v[6:7], v[12:13], v[16:17]
	s_waitcnt vmcnt(0)
	v_fma_f64 v[6:7], -v[6:7], v[10:11], v[22:23]
	global_store_dwordx2 v[14:15], v[12:13], off
	global_store_dwordx2 v[18:19], v[6:7], off
	s_branch .LBB132_3
.LBB132_20:
	s_or_b64 exec, exec, s[18:19]
	s_branch .LBB132_22
.LBB132_21:
	v_mov_b32_e32 v1, 0
.LBB132_22:
	v_subrev_u32_e32 v1, s22, v1
	v_add_u32_e32 v2, v1, v0
	v_ashrrev_i32_e32 v3, 31, v2
	s_waitcnt lgkmcnt(0)
	v_lshl_add_u64 v[2:3], v[2:3], 2, s[6:7]
	buffer_wbl2 sc1
	s_waitcnt vmcnt(0)
	buffer_inv sc1
	global_load_dword v2, v[2:3], off
	s_waitcnt vmcnt(0)
	v_mul_lo_u32 v2, v2, s22
	v_sub_u32_e32 v1, v1, v2
	v_cmp_lt_i32_e32 vcc, -1, v1
	s_and_b64 exec, exec, vcc
	s_cbranch_execz .LBB132_29
; %bb.23:
	s_lshl_b32 s4, s24, 1
	s_add_i32 s5, s4, s23
	s_lshl_b32 s12, s22, 1
	s_mov_b64 s[0:1], 0
	v_mov_b32_e32 v3, 0
	s_branch .LBB132_25
.LBB132_24:                             ;   in Loop: Header=BB132_25 Depth=1
	s_or_b64 exec, exec, s[2:3]
	v_sub_u32_e32 v1, v1, v2
	v_cmp_gt_i32_e32 vcc, 0, v1
	s_or_b64 s[0:1], vcc, s[0:1]
	s_andn2_b64 exec, exec, s[0:1]
	s_cbranch_execz .LBB132_29
.LBB132_25:                             ; =>This Inner Loop Header: Depth=1
	v_add_u32_e32 v6, v1, v0
	v_ashrrev_i32_e32 v7, 31, v6
	s_waitcnt vmcnt(0)
	v_lshl_add_u64 v[4:5], v[6:7], 2, s[6:7]
	global_load_dword v2, v[4:5], off
	v_lshl_add_u64 v[4:5], v[6:7], 3, s[10:11]
	global_load_dwordx2 v[4:5], v[4:5], off
	s_waitcnt vmcnt(1)
	v_cmp_ne_u32_e32 vcc, 1, v2
	s_and_saveexec_b64 s[2:3], vcc
	s_xor_b64 s[2:3], exec, s[2:3]
	s_cbranch_execz .LBB132_27
; %bb.26:                               ;   in Loop: Header=BB132_25 Depth=1
	v_add_u32_e32 v7, v30, v1
	v_add_u32_e32 v2, s4, v7
	v_lshl_add_u64 v[8:9], v[2:3], 3, s[8:9]
	v_add_u32_e32 v2, s5, v7
	v_lshl_add_u64 v[10:11], v[2:3], 3, s[8:9]
	;; [unrolled: 2-line block ×3, first 2 shown]
	global_load_dwordx2 v[14:15], v[8:9], off
	global_load_dwordx2 v[16:17], v[12:13], off
	;; [unrolled: 1-line block ×3, first 2 shown]
	v_add_u32_e32 v2, s5, v6
	v_lshl_add_u64 v[6:7], v[2:3], 3, s[8:9]
	v_subrev_u32_e32 v2, s22, v1
	v_add_u32_e32 v10, v2, v0
	v_ashrrev_i32_e32 v11, 31, v10
	v_add_u32_e32 v2, s4, v10
	s_waitcnt vmcnt(1)
	v_fma_f64 v[8:9], -v[4:5], v[14:15], v[16:17]
	global_store_dwordx2 v[12:13], v[8:9], off
	global_load_dwordx2 v[8:9], v[6:7], off
	v_lshl_add_u64 v[12:13], v[10:11], 3, s[10:11]
	v_lshl_add_u64 v[16:17], v[2:3], 3, s[8:9]
	global_load_dwordx2 v[12:13], v[12:13], off
	v_add_u32_e32 v2, s5, v10
	s_waitcnt vmcnt(1)
	v_fma_f64 v[4:5], -v[4:5], v[18:19], v[8:9]
	global_store_dwordx2 v[6:7], v[4:5], off
	global_load_dwordx2 v[4:5], v[16:17], off
	s_waitcnt vmcnt(0)
	v_fma_f64 v[4:5], -v[12:13], v[14:15], v[4:5]
	global_store_dwordx2 v[16:17], v[4:5], off
	v_lshl_add_u64 v[4:5], v[2:3], 3, s[8:9]
	global_load_dwordx2 v[6:7], v[4:5], off
	s_waitcnt vmcnt(0)
	v_fma_f64 v[6:7], -v[12:13], v[18:19], v[6:7]
	global_store_dwordx2 v[4:5], v[6:7], off
                                        ; implicit-def: $vgpr6
                                        ; implicit-def: $vgpr4_vgpr5
.LBB132_27:                             ;   in Loop: Header=BB132_25 Depth=1
	s_or_saveexec_b64 s[2:3], s[2:3]
	v_mov_b32_e32 v2, s12
	s_xor_b64 exec, exec, s[2:3]
	s_cbranch_execz .LBB132_24
; %bb.28:                               ;   in Loop: Header=BB132_25 Depth=1
	v_add_u32_e32 v7, v30, v1
	v_add_u32_e32 v2, s4, v7
	v_lshl_add_u64 v[8:9], v[2:3], 3, s[8:9]
	v_add_u32_e32 v2, s4, v6
	v_lshl_add_u64 v[10:11], v[2:3], 3, s[8:9]
	global_load_dwordx2 v[12:13], v[8:9], off
	global_load_dwordx2 v[14:15], v[10:11], off
	v_add_u32_e32 v2, s5, v7
	v_lshl_add_u64 v[8:9], v[2:3], 3, s[8:9]
	v_add_u32_e32 v2, s5, v6
	v_lshl_add_u64 v[6:7], v[2:3], 3, s[8:9]
	v_mov_b32_e32 v2, s22
	s_waitcnt vmcnt(0)
	v_fma_f64 v[12:13], -v[4:5], v[12:13], v[14:15]
	global_store_dwordx2 v[10:11], v[12:13], off
	global_load_dwordx2 v[10:11], v[8:9], off
	s_nop 0
	global_load_dwordx2 v[12:13], v[6:7], off
	s_waitcnt vmcnt(0)
	v_fma_f64 v[4:5], -v[4:5], v[10:11], v[12:13]
	global_store_dwordx2 v[6:7], v[4:5], off
	s_branch .LBB132_24
.LBB132_29:
	s_endpgm
	.section	.rodata,"a",@progbits
	.p2align	6, 0x0
	.amdhsa_kernel _ZN9rocsparseL19gtsv_LBM_rhs_kernelILj256ELj16ELj2EdEEviiiPKT2_S3_S3_PS1_S3_PKi
		.amdhsa_group_segment_fixed_size 0
		.amdhsa_private_segment_fixed_size 0
		.amdhsa_kernarg_size 64
		.amdhsa_user_sgpr_count 2
		.amdhsa_user_sgpr_dispatch_ptr 0
		.amdhsa_user_sgpr_queue_ptr 0
		.amdhsa_user_sgpr_kernarg_segment_ptr 1
		.amdhsa_user_sgpr_dispatch_id 0
		.amdhsa_user_sgpr_kernarg_preload_length 0
		.amdhsa_user_sgpr_kernarg_preload_offset 0
		.amdhsa_user_sgpr_private_segment_size 0
		.amdhsa_uses_dynamic_stack 0
		.amdhsa_enable_private_segment 0
		.amdhsa_system_sgpr_workgroup_id_x 1
		.amdhsa_system_sgpr_workgroup_id_y 1
		.amdhsa_system_sgpr_workgroup_id_z 0
		.amdhsa_system_sgpr_workgroup_info 0
		.amdhsa_system_vgpr_workitem_id 0
		.amdhsa_next_free_vgpr 44
		.amdhsa_next_free_sgpr 30
		.amdhsa_accum_offset 44
		.amdhsa_reserve_vcc 1
		.amdhsa_float_round_mode_32 0
		.amdhsa_float_round_mode_16_64 0
		.amdhsa_float_denorm_mode_32 3
		.amdhsa_float_denorm_mode_16_64 3
		.amdhsa_dx10_clamp 1
		.amdhsa_ieee_mode 1
		.amdhsa_fp16_overflow 0
		.amdhsa_tg_split 0
		.amdhsa_exception_fp_ieee_invalid_op 0
		.amdhsa_exception_fp_denorm_src 0
		.amdhsa_exception_fp_ieee_div_zero 0
		.amdhsa_exception_fp_ieee_overflow 0
		.amdhsa_exception_fp_ieee_underflow 0
		.amdhsa_exception_fp_ieee_inexact 0
		.amdhsa_exception_int_div_zero 0
	.end_amdhsa_kernel
	.section	.text._ZN9rocsparseL19gtsv_LBM_rhs_kernelILj256ELj16ELj2EdEEviiiPKT2_S3_S3_PS1_S3_PKi,"axG",@progbits,_ZN9rocsparseL19gtsv_LBM_rhs_kernelILj256ELj16ELj2EdEEviiiPKT2_S3_S3_PS1_S3_PKi,comdat
.Lfunc_end132:
	.size	_ZN9rocsparseL19gtsv_LBM_rhs_kernelILj256ELj16ELj2EdEEviiiPKT2_S3_S3_PS1_S3_PKi, .Lfunc_end132-_ZN9rocsparseL19gtsv_LBM_rhs_kernelILj256ELj16ELj2EdEEviiiPKT2_S3_S3_PS1_S3_PKi
                                        ; -- End function
	.set _ZN9rocsparseL19gtsv_LBM_rhs_kernelILj256ELj16ELj2EdEEviiiPKT2_S3_S3_PS1_S3_PKi.num_vgpr, 44
	.set _ZN9rocsparseL19gtsv_LBM_rhs_kernelILj256ELj16ELj2EdEEviiiPKT2_S3_S3_PS1_S3_PKi.num_agpr, 0
	.set _ZN9rocsparseL19gtsv_LBM_rhs_kernelILj256ELj16ELj2EdEEviiiPKT2_S3_S3_PS1_S3_PKi.numbered_sgpr, 30
	.set _ZN9rocsparseL19gtsv_LBM_rhs_kernelILj256ELj16ELj2EdEEviiiPKT2_S3_S3_PS1_S3_PKi.num_named_barrier, 0
	.set _ZN9rocsparseL19gtsv_LBM_rhs_kernelILj256ELj16ELj2EdEEviiiPKT2_S3_S3_PS1_S3_PKi.private_seg_size, 0
	.set _ZN9rocsparseL19gtsv_LBM_rhs_kernelILj256ELj16ELj2EdEEviiiPKT2_S3_S3_PS1_S3_PKi.uses_vcc, 1
	.set _ZN9rocsparseL19gtsv_LBM_rhs_kernelILj256ELj16ELj2EdEEviiiPKT2_S3_S3_PS1_S3_PKi.uses_flat_scratch, 0
	.set _ZN9rocsparseL19gtsv_LBM_rhs_kernelILj256ELj16ELj2EdEEviiiPKT2_S3_S3_PS1_S3_PKi.has_dyn_sized_stack, 0
	.set _ZN9rocsparseL19gtsv_LBM_rhs_kernelILj256ELj16ELj2EdEEviiiPKT2_S3_S3_PS1_S3_PKi.has_recursion, 0
	.set _ZN9rocsparseL19gtsv_LBM_rhs_kernelILj256ELj16ELj2EdEEviiiPKT2_S3_S3_PS1_S3_PKi.has_indirect_call, 0
	.section	.AMDGPU.csdata,"",@progbits
; Kernel info:
; codeLenInByte = 1768
; TotalNumSgprs: 36
; NumVgprs: 44
; NumAgprs: 0
; TotalNumVgprs: 44
; ScratchSize: 0
; MemoryBound: 0
; FloatMode: 240
; IeeeMode: 1
; LDSByteSize: 0 bytes/workgroup (compile time only)
; SGPRBlocks: 4
; VGPRBlocks: 5
; NumSGPRsForWavesPerEU: 36
; NumVGPRsForWavesPerEU: 44
; AccumOffset: 44
; Occupancy: 8
; WaveLimiterHint : 0
; COMPUTE_PGM_RSRC2:SCRATCH_EN: 0
; COMPUTE_PGM_RSRC2:USER_SGPR: 2
; COMPUTE_PGM_RSRC2:TRAP_HANDLER: 0
; COMPUTE_PGM_RSRC2:TGID_X_EN: 1
; COMPUTE_PGM_RSRC2:TGID_Y_EN: 1
; COMPUTE_PGM_RSRC2:TGID_Z_EN: 0
; COMPUTE_PGM_RSRC2:TIDIG_COMP_CNT: 0
; COMPUTE_PGM_RSRC3_GFX90A:ACCUM_OFFSET: 10
; COMPUTE_PGM_RSRC3_GFX90A:TG_SPLIT: 0
	.section	.text._ZN9rocsparseL19gtsv_LBM_rhs_kernelILj256ELj16ELj1EdEEviiiPKT2_S3_S3_PS1_S3_PKi,"axG",@progbits,_ZN9rocsparseL19gtsv_LBM_rhs_kernelILj256ELj16ELj1EdEEviiiPKT2_S3_S3_PS1_S3_PKi,comdat
	.globl	_ZN9rocsparseL19gtsv_LBM_rhs_kernelILj256ELj16ELj1EdEEviiiPKT2_S3_S3_PS1_S3_PKi ; -- Begin function _ZN9rocsparseL19gtsv_LBM_rhs_kernelILj256ELj16ELj1EdEEviiiPKT2_S3_S3_PS1_S3_PKi
	.p2align	8
	.type	_ZN9rocsparseL19gtsv_LBM_rhs_kernelILj256ELj16ELj1EdEEviiiPKT2_S3_S3_PS1_S3_PKi,@function
_ZN9rocsparseL19gtsv_LBM_rhs_kernelILj256ELj16ELj1EdEEviiiPKT2_S3_S3_PS1_S3_PKi: ; @_ZN9rocsparseL19gtsv_LBM_rhs_kernelILj256ELj16ELj1EdEEviiiPKT2_S3_S3_PS1_S3_PKi
; %bb.0:
	s_load_dword s24, s[0:1], 0x0
	v_lshl_or_b32 v0, s2, 8, v0
	s_waitcnt lgkmcnt(0)
	s_lshr_b32 s22, s24, 4
	v_cmp_gt_i32_e32 vcc, s22, v0
	s_and_saveexec_b64 s[4:5], vcc
	s_cbranch_execz .LBB133_29
; %bb.1:
	s_load_dwordx4 s[8:11], s[0:1], 0x28
	s_load_dwordx2 s[6:7], s[0:1], 0x38
	s_cmp_lt_i32 s24, 1
	s_mul_i32 s23, s24, s3
	s_cbranch_scc1 .LBB133_21
; %bb.2:
	s_load_dwordx4 s[12:15], s[0:1], 0x10
	s_load_dwordx2 s[16:17], s[0:1], 0x20
	v_ashrrev_i32_e32 v1, 31, v0
	v_add_u32_e32 v24, s22, v0
	s_mul_i32 s25, s22, 15
	s_waitcnt lgkmcnt(0)
	v_lshl_add_u64 v[2:3], v[0:1], 3, s[14:15]
	global_load_dwordx2 v[4:5], v[2:3], off
	s_mul_i32 s26, s22, 14
	s_lshl_b32 s27, s22, 1
	v_add_u32_e32 v25, s22, v24
	v_add_u32_e32 v26, s23, v24
	v_mov_b32_e32 v3, 0
	s_mov_b64 s[18:19], 0
	v_mov_b32_e32 v1, 0
	s_branch .LBB133_5
.LBB133_3:                              ;   in Loop: Header=BB133_5 Depth=1
	s_or_b64 exec, exec, s[4:5]
	v_fma_f64 v[4:5], -v[4:5], v[18:19], v[8:9]
	v_mov_b32_e32 v2, s22
.LBB133_4:                              ;   in Loop: Header=BB133_5 Depth=1
	s_or_b64 exec, exec, s[2:3]
	v_add_u32_e32 v1, v2, v1
	v_cmp_le_i32_e32 vcc, s24, v1
	s_or_b64 s[18:19], vcc, s[18:19]
	s_andn2_b64 exec, exec, s[18:19]
	s_cbranch_execz .LBB133_20
.LBB133_5:                              ; =>This Inner Loop Header: Depth=1
	v_add_u32_e32 v16, v1, v0
	v_ashrrev_i32_e32 v17, 31, v16
	v_lshl_add_u64 v[6:7], v[16:17], 3, s[16:17]
	global_load_dwordx2 v[10:11], v[6:7], off
	v_cmp_gt_u32_e64 s[0:1], s25, v1
	v_mov_b64_e32 v[8:9], 0
	v_add_u32_e32 v18, v24, v1
	v_mov_b64_e32 v[6:7], 0
	s_and_saveexec_b64 s[2:3], s[0:1]
	s_cbranch_execz .LBB133_7
; %bb.6:                                ;   in Loop: Header=BB133_5 Depth=1
	v_ashrrev_i32_e32 v19, 31, v18
	v_lshl_add_u64 v[6:7], v[18:19], 3, s[12:13]
	global_load_dwordx2 v[6:7], v[6:7], off
.LBB133_7:                              ;   in Loop: Header=BB133_5 Depth=1
	s_or_b64 exec, exec, s[2:3]
	s_and_saveexec_b64 s[2:3], s[0:1]
	s_cbranch_execz .LBB133_9
; %bb.8:                                ;   in Loop: Header=BB133_5 Depth=1
	v_ashrrev_i32_e32 v19, 31, v18
	v_lshl_add_u64 v[8:9], v[18:19], 3, s[14:15]
	global_load_dwordx2 v[8:9], v[8:9], off
.LBB133_9:                              ;   in Loop: Header=BB133_5 Depth=1
	s_or_b64 exec, exec, s[2:3]
	v_mov_b64_e32 v[14:15], 0
	v_mov_b64_e32 v[12:13], 0
	s_and_saveexec_b64 s[2:3], s[0:1]
	s_cbranch_execz .LBB133_11
; %bb.10:                               ;   in Loop: Header=BB133_5 Depth=1
	v_ashrrev_i32_e32 v19, 31, v18
	v_lshl_add_u64 v[12:13], v[18:19], 3, s[16:17]
	global_load_dwordx2 v[12:13], v[12:13], off
.LBB133_11:                             ;   in Loop: Header=BB133_5 Depth=1
	s_or_b64 exec, exec, s[2:3]
	v_cmp_gt_u32_e64 s[2:3], s26, v1
	s_and_saveexec_b64 s[4:5], s[2:3]
	s_cbranch_execz .LBB133_13
; %bb.12:                               ;   in Loop: Header=BB133_5 Depth=1
	v_add_u32_e32 v14, v25, v1
	v_ashrrev_i32_e32 v15, 31, v14
	v_lshl_add_u64 v[14:15], v[14:15], 3, s[12:13]
	global_load_dwordx2 v[14:15], v[14:15], off
.LBB133_13:                             ;   in Loop: Header=BB133_5 Depth=1
	s_or_b64 exec, exec, s[4:5]
	v_lshl_add_u64 v[18:19], v[16:17], 2, s[6:7]
	global_load_dword v18, v[18:19], off
	v_add_u32_e32 v2, s23, v16
	v_lshl_add_u64 v[16:17], v[2:3], 3, s[8:9]
	global_load_dwordx2 v[20:21], v[16:17], off
	v_cmp_ne_u32_e32 vcc, s25, v1
	s_waitcnt vmcnt(1)
	v_cmp_ne_u32_e64 s[4:5], 1, v18
	s_and_b64 s[4:5], vcc, s[4:5]
	v_mul_f64 v[18:19], v[10:11], v[6:7]
	s_and_saveexec_b64 s[20:21], s[4:5]
	s_xor_b64 s[4:5], exec, s[20:21]
	s_cbranch_execz .LBB133_17
; %bb.14:                               ;   in Loop: Header=BB133_5 Depth=1
	v_add_u32_e32 v2, v26, v1
	v_lshl_add_u64 v[28:29], v[2:3], 3, s[8:9]
	global_load_dwordx2 v[22:23], v[28:29], off
	v_fma_f64 v[18:19], v[4:5], v[8:9], -v[18:19]
	v_div_scale_f64 v[30:31], s[20:21], v[18:19], v[18:19], 1.0
	v_rcp_f64_e32 v[32:33], v[30:31]
	v_div_scale_f64 v[34:35], vcc, 1.0, v[18:19], 1.0
	v_fma_f64 v[36:37], -v[30:31], v[32:33], 1.0
	v_fmac_f64_e32 v[32:33], v[32:33], v[36:37]
	v_fma_f64 v[36:37], -v[30:31], v[32:33], 1.0
	v_fmac_f64_e32 v[32:33], v[32:33], v[36:37]
	v_mul_f64 v[36:37], v[34:35], v[32:33]
	v_fma_f64 v[30:31], -v[30:31], v[36:37], v[34:35]
	v_div_fmas_f64 v[30:31], v[30:31], v[32:33], v[36:37]
	v_div_fixup_f64 v[18:19], v[30:31], v[18:19], 1.0
	s_waitcnt vmcnt(1)
	v_mul_f64 v[20:21], v[18:19], v[20:21]
	v_mul_f64 v[30:31], v[6:7], v[20:21]
	s_waitcnt vmcnt(0)
	v_mul_f64 v[22:23], v[18:19], v[22:23]
	v_mul_f64 v[10:11], v[10:11], v[22:23]
	v_fma_f64 v[8:9], v[8:9], v[20:21], -v[10:11]
	v_fma_f64 v[30:31], v[4:5], v[22:23], -v[30:31]
	global_store_dwordx2 v[16:17], v[8:9], off
	global_store_dwordx2 v[28:29], v[30:31], off
	v_mov_b64_e32 v[8:9], 0
	s_and_saveexec_b64 s[20:21], s[2:3]
	s_cbranch_execz .LBB133_16
; %bb.15:                               ;   in Loop: Header=BB133_5 Depth=1
	v_add_u32_e32 v8, v25, v1
	v_add_u32_e32 v2, s23, v8
	v_ashrrev_i32_e32 v9, 31, v8
	v_lshl_add_u64 v[10:11], v[2:3], 3, s[8:9]
	v_lshl_add_u64 v[8:9], v[8:9], 3, s[14:15]
	global_load_dwordx2 v[16:17], v[10:11], off
	v_mul_f64 v[4:5], v[4:5], v[14:15]
	global_load_dwordx2 v[8:9], v[8:9], off
	v_mul_f64 v[6:7], v[6:7], v[14:15]
	v_mul_f64 v[14:15], v[4:5], v[22:23]
	;; [unrolled: 1-line block ×3, first 2 shown]
	v_fma_f64 v[6:7], v[6:7], v[20:21], -v[14:15]
	s_waitcnt vmcnt(1)
	v_add_f64 v[6:7], v[6:7], v[16:17]
	global_store_dwordx2 v[10:11], v[6:7], off
	s_waitcnt vmcnt(1)
	v_fma_f64 v[8:9], -v[18:19], v[4:5], v[8:9]
.LBB133_16:                             ;   in Loop: Header=BB133_5 Depth=1
	s_or_b64 exec, exec, s[20:21]
	v_mov_b64_e32 v[4:5], v[8:9]
                                        ; implicit-def: $vgpr18_vgpr19
                                        ; implicit-def: $vgpr8_vgpr9
                                        ; implicit-def: $vgpr20_vgpr21
                                        ; implicit-def: $vgpr16_vgpr17
                                        ; implicit-def: $vgpr6_vgpr7
.LBB133_17:                             ;   in Loop: Header=BB133_5 Depth=1
	s_or_saveexec_b64 s[2:3], s[4:5]
	v_mov_b32_e32 v2, s27
	s_xor_b64 exec, exec, s[2:3]
	s_cbranch_execz .LBB133_4
; %bb.18:                               ;   in Loop: Header=BB133_5 Depth=1
	v_div_scale_f64 v[10:11], s[4:5], v[4:5], v[4:5], 1.0
	v_rcp_f64_e32 v[12:13], v[10:11]
	v_div_scale_f64 v[14:15], vcc, 1.0, v[4:5], 1.0
	v_fma_f64 v[22:23], -v[10:11], v[12:13], 1.0
	v_fmac_f64_e32 v[12:13], v[12:13], v[22:23]
	v_fma_f64 v[22:23], -v[10:11], v[12:13], 1.0
	v_fmac_f64_e32 v[12:13], v[12:13], v[22:23]
	v_mul_f64 v[22:23], v[14:15], v[12:13]
	v_fma_f64 v[10:11], -v[10:11], v[22:23], v[14:15]
	v_div_fmas_f64 v[10:11], v[10:11], v[12:13], v[22:23]
	v_div_fixup_f64 v[4:5], v[10:11], v[4:5], 1.0
	s_waitcnt vmcnt(0)
	v_mul_f64 v[10:11], v[4:5], v[20:21]
	global_store_dwordx2 v[16:17], v[10:11], off
	s_and_saveexec_b64 s[4:5], s[0:1]
	s_cbranch_execz .LBB133_3
; %bb.19:                               ;   in Loop: Header=BB133_5 Depth=1
	v_add_u32_e32 v2, v26, v1
	v_lshl_add_u64 v[12:13], v[2:3], 3, s[8:9]
	global_load_dwordx2 v[14:15], v[12:13], off
	s_waitcnt vmcnt(0)
	v_fma_f64 v[6:7], -v[6:7], v[10:11], v[14:15]
	global_store_dwordx2 v[12:13], v[6:7], off
	s_branch .LBB133_3
.LBB133_20:
	s_or_b64 exec, exec, s[18:19]
	s_branch .LBB133_22
.LBB133_21:
	v_mov_b32_e32 v1, 0
.LBB133_22:
	v_subrev_u32_e32 v1, s22, v1
	v_add_u32_e32 v2, v1, v0
	v_ashrrev_i32_e32 v3, 31, v2
	s_waitcnt lgkmcnt(0)
	v_lshl_add_u64 v[2:3], v[2:3], 2, s[6:7]
	buffer_wbl2 sc1
	s_waitcnt vmcnt(0)
	buffer_inv sc1
	global_load_dword v2, v[2:3], off
	s_waitcnt vmcnt(0)
	v_mul_lo_u32 v2, v2, s22
	v_sub_u32_e32 v1, v1, v2
	v_cmp_lt_i32_e32 vcc, -1, v1
	s_and_b64 exec, exec, vcc
	s_cbranch_execz .LBB133_29
; %bb.23:
	s_add_i32 s0, s23, s22
	v_add_u32_e32 v8, s0, v0
	s_lshl_b32 s4, s22, 1
	s_mov_b64 s[0:1], 0
	v_mov_b32_e32 v3, 0
	s_branch .LBB133_25
.LBB133_24:                             ;   in Loop: Header=BB133_25 Depth=1
	s_or_b64 exec, exec, s[2:3]
	v_sub_u32_e32 v1, v1, v2
	v_cmp_gt_i32_e32 vcc, 0, v1
	s_or_b64 s[0:1], vcc, s[0:1]
	s_andn2_b64 exec, exec, s[0:1]
	s_cbranch_execz .LBB133_29
.LBB133_25:                             ; =>This Inner Loop Header: Depth=1
	v_add_u32_e32 v6, v1, v0
	v_ashrrev_i32_e32 v7, 31, v6
	s_waitcnt vmcnt(0)
	v_lshl_add_u64 v[4:5], v[6:7], 2, s[6:7]
	global_load_dword v2, v[4:5], off
	v_lshl_add_u64 v[4:5], v[6:7], 3, s[10:11]
	global_load_dwordx2 v[4:5], v[4:5], off
	s_waitcnt vmcnt(1)
	v_cmp_ne_u32_e32 vcc, 1, v2
	s_and_saveexec_b64 s[2:3], vcc
	s_xor_b64 s[2:3], exec, s[2:3]
	s_cbranch_execz .LBB133_27
; %bb.26:                               ;   in Loop: Header=BB133_25 Depth=1
	v_add_u32_e32 v2, v8, v1
	v_lshl_add_u64 v[10:11], v[2:3], 3, s[8:9]
	v_add_u32_e32 v2, s23, v6
	v_lshl_add_u64 v[6:7], v[2:3], 3, s[8:9]
	global_load_dwordx2 v[12:13], v[10:11], off
	global_load_dwordx2 v[14:15], v[6:7], off
	v_subrev_u32_e32 v2, s22, v1
	v_add_u32_e32 v10, v2, v0
	v_ashrrev_i32_e32 v11, 31, v10
	v_add_u32_e32 v2, s23, v10
	v_lshl_add_u64 v[10:11], v[10:11], 3, s[10:11]
	global_load_dwordx2 v[10:11], v[10:11], off
	s_waitcnt vmcnt(1)
	v_fma_f64 v[4:5], -v[4:5], v[12:13], v[14:15]
	global_store_dwordx2 v[6:7], v[4:5], off
	v_lshl_add_u64 v[4:5], v[2:3], 3, s[8:9]
	global_load_dwordx2 v[6:7], v[4:5], off
	s_waitcnt vmcnt(0)
	v_fma_f64 v[6:7], -v[10:11], v[12:13], v[6:7]
	global_store_dwordx2 v[4:5], v[6:7], off
                                        ; implicit-def: $vgpr6
                                        ; implicit-def: $vgpr4_vgpr5
.LBB133_27:                             ;   in Loop: Header=BB133_25 Depth=1
	s_or_saveexec_b64 s[2:3], s[2:3]
	v_mov_b32_e32 v2, s4
	s_xor_b64 exec, exec, s[2:3]
	s_cbranch_execz .LBB133_24
; %bb.28:                               ;   in Loop: Header=BB133_25 Depth=1
	v_add_u32_e32 v2, v8, v1
	v_lshl_add_u64 v[10:11], v[2:3], 3, s[8:9]
	v_add_u32_e32 v2, s23, v6
	v_lshl_add_u64 v[6:7], v[2:3], 3, s[8:9]
	global_load_dwordx2 v[12:13], v[10:11], off
	global_load_dwordx2 v[14:15], v[6:7], off
	v_mov_b32_e32 v2, s22
	s_waitcnt vmcnt(0)
	v_fma_f64 v[4:5], -v[4:5], v[12:13], v[14:15]
	global_store_dwordx2 v[6:7], v[4:5], off
	s_branch .LBB133_24
.LBB133_29:
	s_endpgm
	.section	.rodata,"a",@progbits
	.p2align	6, 0x0
	.amdhsa_kernel _ZN9rocsparseL19gtsv_LBM_rhs_kernelILj256ELj16ELj1EdEEviiiPKT2_S3_S3_PS1_S3_PKi
		.amdhsa_group_segment_fixed_size 0
		.amdhsa_private_segment_fixed_size 0
		.amdhsa_kernarg_size 64
		.amdhsa_user_sgpr_count 2
		.amdhsa_user_sgpr_dispatch_ptr 0
		.amdhsa_user_sgpr_queue_ptr 0
		.amdhsa_user_sgpr_kernarg_segment_ptr 1
		.amdhsa_user_sgpr_dispatch_id 0
		.amdhsa_user_sgpr_kernarg_preload_length 0
		.amdhsa_user_sgpr_kernarg_preload_offset 0
		.amdhsa_user_sgpr_private_segment_size 0
		.amdhsa_uses_dynamic_stack 0
		.amdhsa_enable_private_segment 0
		.amdhsa_system_sgpr_workgroup_id_x 1
		.amdhsa_system_sgpr_workgroup_id_y 1
		.amdhsa_system_sgpr_workgroup_id_z 0
		.amdhsa_system_sgpr_workgroup_info 0
		.amdhsa_system_vgpr_workitem_id 0
		.amdhsa_next_free_vgpr 38
		.amdhsa_next_free_sgpr 28
		.amdhsa_accum_offset 40
		.amdhsa_reserve_vcc 1
		.amdhsa_float_round_mode_32 0
		.amdhsa_float_round_mode_16_64 0
		.amdhsa_float_denorm_mode_32 3
		.amdhsa_float_denorm_mode_16_64 3
		.amdhsa_dx10_clamp 1
		.amdhsa_ieee_mode 1
		.amdhsa_fp16_overflow 0
		.amdhsa_tg_split 0
		.amdhsa_exception_fp_ieee_invalid_op 0
		.amdhsa_exception_fp_denorm_src 0
		.amdhsa_exception_fp_ieee_div_zero 0
		.amdhsa_exception_fp_ieee_overflow 0
		.amdhsa_exception_fp_ieee_underflow 0
		.amdhsa_exception_fp_ieee_inexact 0
		.amdhsa_exception_int_div_zero 0
	.end_amdhsa_kernel
	.section	.text._ZN9rocsparseL19gtsv_LBM_rhs_kernelILj256ELj16ELj1EdEEviiiPKT2_S3_S3_PS1_S3_PKi,"axG",@progbits,_ZN9rocsparseL19gtsv_LBM_rhs_kernelILj256ELj16ELj1EdEEviiiPKT2_S3_S3_PS1_S3_PKi,comdat
.Lfunc_end133:
	.size	_ZN9rocsparseL19gtsv_LBM_rhs_kernelILj256ELj16ELj1EdEEviiiPKT2_S3_S3_PS1_S3_PKi, .Lfunc_end133-_ZN9rocsparseL19gtsv_LBM_rhs_kernelILj256ELj16ELj1EdEEviiiPKT2_S3_S3_PS1_S3_PKi
                                        ; -- End function
	.set _ZN9rocsparseL19gtsv_LBM_rhs_kernelILj256ELj16ELj1EdEEviiiPKT2_S3_S3_PS1_S3_PKi.num_vgpr, 38
	.set _ZN9rocsparseL19gtsv_LBM_rhs_kernelILj256ELj16ELj1EdEEviiiPKT2_S3_S3_PS1_S3_PKi.num_agpr, 0
	.set _ZN9rocsparseL19gtsv_LBM_rhs_kernelILj256ELj16ELj1EdEEviiiPKT2_S3_S3_PS1_S3_PKi.numbered_sgpr, 28
	.set _ZN9rocsparseL19gtsv_LBM_rhs_kernelILj256ELj16ELj1EdEEviiiPKT2_S3_S3_PS1_S3_PKi.num_named_barrier, 0
	.set _ZN9rocsparseL19gtsv_LBM_rhs_kernelILj256ELj16ELj1EdEEviiiPKT2_S3_S3_PS1_S3_PKi.private_seg_size, 0
	.set _ZN9rocsparseL19gtsv_LBM_rhs_kernelILj256ELj16ELj1EdEEviiiPKT2_S3_S3_PS1_S3_PKi.uses_vcc, 1
	.set _ZN9rocsparseL19gtsv_LBM_rhs_kernelILj256ELj16ELj1EdEEviiiPKT2_S3_S3_PS1_S3_PKi.uses_flat_scratch, 0
	.set _ZN9rocsparseL19gtsv_LBM_rhs_kernelILj256ELj16ELj1EdEEviiiPKT2_S3_S3_PS1_S3_PKi.has_dyn_sized_stack, 0
	.set _ZN9rocsparseL19gtsv_LBM_rhs_kernelILj256ELj16ELj1EdEEviiiPKT2_S3_S3_PS1_S3_PKi.has_recursion, 0
	.set _ZN9rocsparseL19gtsv_LBM_rhs_kernelILj256ELj16ELj1EdEEviiiPKT2_S3_S3_PS1_S3_PKi.has_indirect_call, 0
	.section	.AMDGPU.csdata,"",@progbits
; Kernel info:
; codeLenInByte = 1348
; TotalNumSgprs: 34
; NumVgprs: 38
; NumAgprs: 0
; TotalNumVgprs: 38
; ScratchSize: 0
; MemoryBound: 0
; FloatMode: 240
; IeeeMode: 1
; LDSByteSize: 0 bytes/workgroup (compile time only)
; SGPRBlocks: 4
; VGPRBlocks: 4
; NumSGPRsForWavesPerEU: 34
; NumVGPRsForWavesPerEU: 38
; AccumOffset: 40
; Occupancy: 8
; WaveLimiterHint : 0
; COMPUTE_PGM_RSRC2:SCRATCH_EN: 0
; COMPUTE_PGM_RSRC2:USER_SGPR: 2
; COMPUTE_PGM_RSRC2:TRAP_HANDLER: 0
; COMPUTE_PGM_RSRC2:TGID_X_EN: 1
; COMPUTE_PGM_RSRC2:TGID_Y_EN: 1
; COMPUTE_PGM_RSRC2:TGID_Z_EN: 0
; COMPUTE_PGM_RSRC2:TIDIG_COMP_CNT: 0
; COMPUTE_PGM_RSRC3_GFX90A:ACCUM_OFFSET: 9
; COMPUTE_PGM_RSRC3_GFX90A:TG_SPLIT: 0
	.section	.text._ZN9rocsparseL29gtsv_spike_block_level_kernelILj256ELj16EdEEviiiPT1_PKS1_S4_S2_S2_S2_S2_S2_,"axG",@progbits,_ZN9rocsparseL29gtsv_spike_block_level_kernelILj256ELj16EdEEviiiPT1_PKS1_S4_S2_S2_S2_S2_S2_,comdat
	.globl	_ZN9rocsparseL29gtsv_spike_block_level_kernelILj256ELj16EdEEviiiPT1_PKS1_S4_S2_S2_S2_S2_S2_ ; -- Begin function _ZN9rocsparseL29gtsv_spike_block_level_kernelILj256ELj16EdEEviiiPT1_PKS1_S4_S2_S2_S2_S2_S2_
	.p2align	8
	.type	_ZN9rocsparseL29gtsv_spike_block_level_kernelILj256ELj16EdEEviiiPT1_PKS1_S4_S2_S2_S2_S2_S2_,@function
_ZN9rocsparseL29gtsv_spike_block_level_kernelILj256ELj16EdEEviiiPT1_PKS1_S4_S2_S2_S2_S2_S2_: ; @_ZN9rocsparseL29gtsv_spike_block_level_kernelILj256ELj16EdEEviiiPT1_PKS1_S4_S2_S2_S2_S2_S2_
; %bb.0:
	s_load_dword s14, s[0:1], 0x0
	s_load_dwordx2 s[8:9], s[0:1], 0x18
	v_lshl_or_b32 v2, s2, 8, v0
	v_mov_b64_e32 v[4:5], 0
	v_mov_b64_e32 v[8:9], 0
	s_waitcnt lgkmcnt(0)
	s_lshr_b32 s18, s14, 4
	v_cmp_gt_i32_e64 s[4:5], s18, v2
	s_and_saveexec_b64 s[6:7], s[4:5]
	s_cbranch_execz .LBB134_2
; %bb.1:
	v_ashrrev_i32_e32 v3, 31, v2
	v_lshl_add_u64 v[6:7], v[2:3], 3, s[8:9]
	global_load_dwordx2 v[8:9], v[6:7], off
.LBB134_2:
	s_or_b64 exec, exec, s[6:7]
	s_load_dwordx2 s[6:7], s[0:1], 0x20
	v_lshlrev_b32_e32 v1, 3, v0
	v_or_b32_e32 v6, 0x1000, v1
	s_waitcnt vmcnt(0)
	ds_write_b64 v1, v[8:9] offset:4096
	s_and_saveexec_b64 s[10:11], s[4:5]
	s_cbranch_execz .LBB134_4
; %bb.3:
	v_mad_u64_u32 v[4:5], s[12:13], s18, 15, v[2:3]
	v_mov_b32_e32 v5, 0
	v_lshl_add_u64 v[4:5], v[4:5], 3, s[8:9]
	global_load_dwordx2 v[4:5], v[4:5], off
.LBB134_4:
	s_or_b64 exec, exec, s[10:11]
	s_waitcnt vmcnt(0)
	ds_write_b64 v6, v[4:5] offset:2048
	v_mov_b64_e32 v[4:5], 0
	v_mov_b64_e32 v[8:9], 0
	s_and_saveexec_b64 s[8:9], s[4:5]
	s_cbranch_execz .LBB134_6
; %bb.5:
	v_ashrrev_i32_e32 v3, 31, v2
	s_waitcnt lgkmcnt(0)
	v_lshl_add_u64 v[8:9], v[2:3], 3, s[6:7]
	global_load_dwordx2 v[8:9], v[8:9], off
.LBB134_6:
	s_or_b64 exec, exec, s[8:9]
	s_load_dwordx2 s[12:13], s[0:1], 0x10
	s_waitcnt vmcnt(0)
	ds_write_b64 v1, v[8:9]
	s_and_saveexec_b64 s[8:9], s[4:5]
	s_cbranch_execz .LBB134_8
; %bb.7:
	v_mad_u64_u32 v[4:5], s[10:11], s18, 15, v[2:3]
	v_mov_b32_e32 v5, 0
	s_waitcnt lgkmcnt(0)
	v_lshl_add_u64 v[4:5], v[4:5], 3, s[6:7]
	global_load_dwordx2 v[4:5], v[4:5], off
.LBB134_8:
	s_or_b64 exec, exec, s[8:9]
	s_mul_i32 s14, s14, s3
	s_waitcnt vmcnt(0)
	ds_write_b64 v1, v[4:5] offset:2048
	v_mov_b64_e32 v[8:9], 0
	v_add_u32_e32 v4, s14, v2
	v_mov_b64_e32 v[10:11], 0
	s_waitcnt lgkmcnt(0)
	s_and_saveexec_b64 s[6:7], s[4:5]
	s_cbranch_execz .LBB134_10
; %bb.9:
	v_ashrrev_i32_e32 v5, 31, v4
	v_lshl_add_u64 v[10:11], v[4:5], 3, s[12:13]
	global_load_dwordx2 v[10:11], v[10:11], off
.LBB134_10:
	s_or_b64 exec, exec, s[6:7]
	v_or_b32_e32 v5, 0x2000, v1
	s_mul_i32 s19, s18, 15
	s_waitcnt vmcnt(0)
	ds_write_b64 v1, v[10:11] offset:8192
	s_and_saveexec_b64 s[6:7], s[4:5]
	s_cbranch_execz .LBB134_12
; %bb.11:
	s_mul_i32 s8, s18, 15
	s_add_i32 s8, s8, s14
	v_add_u32_e32 v8, s8, v2
	v_mov_b32_e32 v9, 0
	v_lshl_add_u64 v[8:9], v[8:9], 3, s[12:13]
	global_load_dwordx2 v[8:9], v[8:9], off
.LBB134_12:
	s_or_b64 exec, exec, s[6:7]
	s_movk_i32 s6, 0x80
	v_cmp_gt_u32_e32 vcc, s6, v0
	s_waitcnt vmcnt(0)
	ds_write_b64 v5, v[8:9] offset:2048
	s_waitcnt lgkmcnt(0)
	s_barrier
	s_and_saveexec_b64 s[6:7], vcc
	s_cbranch_execz .LBB134_14
; %bb.13:
	v_add_u32_e32 v3, v6, v1
	ds_read_b128 v[8:11], v3
	v_add_u32_e32 v7, v1, v1
	ds_read_b128 v[12:15], v7 offset:2048
	ds_read_b128 v[16:19], v7
	ds_read_b128 v[20:23], v3 offset:2048
	v_add_u32_e32 v42, v5, v1
	s_waitcnt lgkmcnt(2)
	v_fma_f64 v[32:33], -v[10:11], v[12:13], 1.0
	v_div_scale_f64 v[34:35], s[8:9], v[32:33], v[32:33], 1.0
	v_rcp_f64_e32 v[36:37], v[34:35]
	v_div_scale_f64 v[38:39], vcc, 1.0, v[32:33], 1.0
	v_fma_f64 v[24:25], -v[34:35], v[36:37], 1.0
	v_fmac_f64_e32 v[36:37], v[36:37], v[24:25]
	v_fma_f64 v[24:25], -v[34:35], v[36:37], 1.0
	v_fmac_f64_e32 v[36:37], v[36:37], v[24:25]
	ds_read_b128 v[24:27], v42 offset:2048
	ds_read_b128 v[28:31], v42
	v_mul_f64 v[40:41], v[38:39], v[36:37]
	v_fma_f64 v[34:35], -v[34:35], v[40:41], v[38:39]
	v_div_fmas_f64 v[34:35], v[34:35], v[36:37], v[40:41]
	v_div_fixup_f64 v[36:37], v[34:35], v[32:33], 1.0
	s_waitcnt lgkmcnt(0)
	v_fma_f64 v[32:33], -v[12:13], v[30:31], v[24:25]
	v_fma_f64 v[24:25], -v[10:11], v[24:25], v[30:31]
	v_mul_f64 v[12:13], v[12:13], v[18:19]
	v_mul_f64 v[10:11], v[10:11], v[20:21]
	v_mul_f64 v[32:33], v[36:37], v[32:33]
	v_mul_f64 v[30:31], v[24:25], v[36:37]
	v_mul_f64 v[12:13], v[12:13], -v[36:37]
	v_mul_f64 v[18:19], v[36:37], v[18:19]
	v_mul_f64 v[10:11], v[10:11], -v[36:37]
	v_mul_f64 v[20:21], v[36:37], v[20:21]
	v_fma_f64 v[28:29], -v[30:31], v[16:17], v[28:29]
	v_fma_f64 v[34:35], -v[22:23], v[32:33], v[26:27]
	v_fma_f64 v[8:9], -v[10:11], v[16:17], v[8:9]
	v_mul_f64 v[16:17], v[18:19], -v[16:17]
	v_fma_f64 v[14:15], -v[12:13], v[22:23], v[14:15]
	v_mul_f64 v[22:23], v[20:21], -v[22:23]
	ds_write_b128 v42, v[28:31]
	ds_write_b128 v42, v[32:35] offset:2048
	ds_write_b128 v3, v[8:11]
	ds_write_b128 v7, v[16:19]
	ds_write_b128 v7, v[12:15] offset:2048
	ds_write_b128 v3, v[20:23] offset:2048
.LBB134_14:
	s_or_b64 exec, exec, s[6:7]
	v_cmp_gt_u32_e32 vcc, 64, v0
	s_waitcnt lgkmcnt(0)
	s_barrier
	s_and_saveexec_b64 s[6:7], vcc
	s_cbranch_execz .LBB134_16
; %bb.15:
	v_lshlrev_b32_e32 v3, 5, v0
	v_add_u32_e32 v7, 0x1000, v3
	v_add_u32_e32 v36, 0x800, v3
	ds_read2_b64 v[8:11], v7 offset1:2
	ds_read2_b64 v[12:15], v36 offset0:1 offset1:3
	v_mad_u32_u24 v37, v0, 24, v5
	v_add_u32_e32 v38, 0x800, v37
	v_add_u32_e32 v39, 0x1800, v3
	s_waitcnt lgkmcnt(0)
	v_fma_f64 v[24:25], -v[10:11], v[12:13], 1.0
	v_div_scale_f64 v[26:27], s[8:9], v[24:25], v[24:25], 1.0
	v_rcp_f64_e32 v[28:29], v[26:27]
	v_div_scale_f64 v[30:31], vcc, 1.0, v[24:25], 1.0
	v_fma_f64 v[16:17], -v[26:27], v[28:29], 1.0
	v_fmac_f64_e32 v[28:29], v[28:29], v[16:17]
	v_fma_f64 v[16:17], -v[26:27], v[28:29], 1.0
	v_fmac_f64_e32 v[28:29], v[28:29], v[16:17]
	ds_read2_b64 v[16:19], v38 offset0:1 offset1:3
	ds_read2_b64 v[20:23], v37 offset1:2
	v_mul_f64 v[32:33], v[30:31], v[28:29]
	v_fma_f64 v[26:27], -v[26:27], v[32:33], v[30:31]
	v_div_fmas_f64 v[26:27], v[26:27], v[28:29], v[32:33]
	v_div_fixup_f64 v[32:33], v[26:27], v[24:25], 1.0
	s_waitcnt lgkmcnt(0)
	v_fma_f64 v[24:25], -v[12:13], v[22:23], v[16:17]
	v_mul_f64 v[34:35], v[32:33], v[24:25]
	ds_read2_b64 v[24:27], v3 offset1:2
	ds_read2_b64 v[28:31], v39 offset0:1 offset1:3
	v_fma_f64 v[16:17], -v[10:11], v[16:17], v[22:23]
	v_mul_f64 v[16:17], v[16:17], v[32:33]
	s_waitcnt lgkmcnt(1)
	v_fma_f64 v[20:21], -v[16:17], v[24:25], v[20:21]
	s_waitcnt lgkmcnt(0)
	v_mul_f64 v[10:11], v[10:11], v[28:29]
	ds_write2_b64 v37, v[20:21], v[16:17] offset1:2
	v_fma_f64 v[16:17], -v[30:31], v[34:35], v[18:19]
	v_mul_f64 v[10:11], v[10:11], -v[32:33]
	ds_write2_b64 v38, v[34:35], v[16:17] offset0:1 offset1:3
	v_mul_f64 v[12:13], v[12:13], v[26:27]
	v_mul_f64 v[16:17], v[32:33], v[26:27]
	v_fma_f64 v[8:9], -v[10:11], v[24:25], v[8:9]
	v_mul_f64 v[12:13], v[12:13], -v[32:33]
	ds_write2_b64 v7, v[8:9], v[10:11] offset1:2
	v_mul_f64 v[8:9], v[16:17], -v[24:25]
	v_mul_f64 v[18:19], v[32:33], v[28:29]
	ds_write2_b64 v3, v[8:9], v[16:17] offset1:2
	v_fma_f64 v[8:9], -v[12:13], v[30:31], v[14:15]
	ds_write2_b64 v36, v[12:13], v[8:9] offset0:1 offset1:3
	v_mul_f64 v[8:9], v[18:19], -v[30:31]
	ds_write2_b64 v39, v[18:19], v[8:9] offset0:1 offset1:3
.LBB134_16:
	s_or_b64 exec, exec, s[6:7]
	v_cmp_gt_u32_e32 vcc, 32, v0
	s_waitcnt lgkmcnt(0)
	s_barrier
	s_and_saveexec_b64 s[6:7], vcc
	s_cbranch_execz .LBB134_18
; %bb.17:
	v_lshlrev_b32_e32 v3, 6, v0
	v_add_u32_e32 v7, 0x1000, v3
	v_add_u32_e32 v36, 0x800, v3
	ds_read2_b64 v[8:11], v7 offset1:4
	ds_read2_b64 v[12:15], v36 offset0:3 offset1:7
	v_add_u32_e32 v37, 0x2800, v3
	v_add_u32_e32 v38, 0x2000, v3
	ds_read2_b64 v[16:19], v37 offset0:3 offset1:7
	v_add_u32_e32 v39, 0x1800, v3
	s_waitcnt lgkmcnt(1)
	v_fma_f64 v[24:25], -v[10:11], v[12:13], 1.0
	v_div_scale_f64 v[26:27], s[8:9], v[24:25], v[24:25], 1.0
	v_rcp_f64_e32 v[28:29], v[26:27]
	v_div_scale_f64 v[30:31], vcc, 1.0, v[24:25], 1.0
	v_fma_f64 v[20:21], -v[26:27], v[28:29], 1.0
	v_fmac_f64_e32 v[28:29], v[28:29], v[20:21]
	v_fma_f64 v[20:21], -v[26:27], v[28:29], 1.0
	v_fmac_f64_e32 v[28:29], v[28:29], v[20:21]
	ds_read2_b64 v[20:23], v38 offset1:4
	v_mul_f64 v[32:33], v[30:31], v[28:29]
	v_fma_f64 v[26:27], -v[26:27], v[32:33], v[30:31]
	v_div_fmas_f64 v[26:27], v[26:27], v[28:29], v[32:33]
	v_div_fixup_f64 v[32:33], v[26:27], v[24:25], 1.0
	s_waitcnt lgkmcnt(0)
	v_fma_f64 v[24:25], -v[12:13], v[22:23], v[16:17]
	v_mul_f64 v[34:35], v[32:33], v[24:25]
	ds_read2_b64 v[24:27], v3 offset1:4
	ds_read2_b64 v[28:31], v39 offset0:3 offset1:7
	v_fma_f64 v[16:17], -v[10:11], v[16:17], v[22:23]
	v_mul_f64 v[16:17], v[16:17], v[32:33]
	s_waitcnt lgkmcnt(1)
	v_fma_f64 v[20:21], -v[16:17], v[24:25], v[20:21]
	s_waitcnt lgkmcnt(0)
	v_mul_f64 v[10:11], v[10:11], v[28:29]
	ds_write2_b64 v38, v[20:21], v[16:17] offset1:4
	v_fma_f64 v[16:17], -v[30:31], v[34:35], v[18:19]
	v_mul_f64 v[10:11], v[10:11], -v[32:33]
	ds_write2_b64 v37, v[34:35], v[16:17] offset0:3 offset1:7
	v_mul_f64 v[12:13], v[12:13], v[26:27]
	v_mul_f64 v[16:17], v[32:33], v[26:27]
	v_fma_f64 v[8:9], -v[10:11], v[24:25], v[8:9]
	v_mul_f64 v[12:13], v[12:13], -v[32:33]
	ds_write2_b64 v7, v[8:9], v[10:11] offset1:4
	v_mul_f64 v[8:9], v[16:17], -v[24:25]
	v_mul_f64 v[18:19], v[32:33], v[28:29]
	ds_write2_b64 v3, v[8:9], v[16:17] offset1:4
	v_fma_f64 v[8:9], -v[12:13], v[30:31], v[14:15]
	ds_write2_b64 v36, v[12:13], v[8:9] offset0:3 offset1:7
	v_mul_f64 v[8:9], v[18:19], -v[30:31]
	ds_write2_b64 v39, v[18:19], v[8:9] offset0:3 offset1:7
.LBB134_18:
	s_or_b64 exec, exec, s[6:7]
	v_cmp_gt_u32_e32 vcc, 16, v0
	s_waitcnt lgkmcnt(0)
	s_barrier
	s_and_saveexec_b64 s[6:7], vcc
	s_cbranch_execz .LBB134_20
; %bb.19:
	v_lshlrev_b32_e32 v3, 7, v0
	v_add_u32_e32 v7, 0x1000, v3
	v_add_u32_e32 v36, 0x800, v3
	ds_read2_b64 v[8:11], v7 offset1:8
	ds_read2_b64 v[12:15], v36 offset0:7 offset1:15
	v_add_u32_e32 v37, 0x2800, v3
	v_add_u32_e32 v38, 0x2000, v3
	ds_read2_b64 v[16:19], v37 offset0:7 offset1:15
	v_add_u32_e32 v39, 0x1800, v3
	s_waitcnt lgkmcnt(1)
	v_fma_f64 v[24:25], -v[10:11], v[12:13], 1.0
	v_div_scale_f64 v[26:27], s[8:9], v[24:25], v[24:25], 1.0
	v_rcp_f64_e32 v[28:29], v[26:27]
	v_div_scale_f64 v[30:31], vcc, 1.0, v[24:25], 1.0
	v_fma_f64 v[20:21], -v[26:27], v[28:29], 1.0
	v_fmac_f64_e32 v[28:29], v[28:29], v[20:21]
	v_fma_f64 v[20:21], -v[26:27], v[28:29], 1.0
	v_fmac_f64_e32 v[28:29], v[28:29], v[20:21]
	ds_read2_b64 v[20:23], v38 offset1:8
	v_mul_f64 v[32:33], v[30:31], v[28:29]
	v_fma_f64 v[26:27], -v[26:27], v[32:33], v[30:31]
	v_div_fmas_f64 v[26:27], v[26:27], v[28:29], v[32:33]
	v_div_fixup_f64 v[32:33], v[26:27], v[24:25], 1.0
	s_waitcnt lgkmcnt(0)
	v_fma_f64 v[24:25], -v[12:13], v[22:23], v[16:17]
	v_mul_f64 v[34:35], v[32:33], v[24:25]
	ds_read2_b64 v[24:27], v3 offset1:8
	ds_read2_b64 v[28:31], v39 offset0:7 offset1:15
	v_fma_f64 v[16:17], -v[10:11], v[16:17], v[22:23]
	v_mul_f64 v[16:17], v[16:17], v[32:33]
	s_waitcnt lgkmcnt(1)
	v_fma_f64 v[20:21], -v[16:17], v[24:25], v[20:21]
	s_waitcnt lgkmcnt(0)
	v_mul_f64 v[10:11], v[10:11], v[28:29]
	ds_write2_b64 v38, v[20:21], v[16:17] offset1:8
	v_fma_f64 v[16:17], -v[30:31], v[34:35], v[18:19]
	v_mul_f64 v[10:11], v[10:11], -v[32:33]
	ds_write2_b64 v37, v[34:35], v[16:17] offset0:7 offset1:15
	v_mul_f64 v[12:13], v[12:13], v[26:27]
	v_mul_f64 v[16:17], v[32:33], v[26:27]
	v_fma_f64 v[8:9], -v[10:11], v[24:25], v[8:9]
	v_mul_f64 v[12:13], v[12:13], -v[32:33]
	ds_write2_b64 v7, v[8:9], v[10:11] offset1:8
	v_mul_f64 v[8:9], v[16:17], -v[24:25]
	v_mul_f64 v[18:19], v[32:33], v[28:29]
	ds_write2_b64 v3, v[8:9], v[16:17] offset1:8
	v_fma_f64 v[8:9], -v[12:13], v[30:31], v[14:15]
	ds_write2_b64 v36, v[12:13], v[8:9] offset0:7 offset1:15
	v_mul_f64 v[8:9], v[18:19], -v[30:31]
	ds_write2_b64 v39, v[18:19], v[8:9] offset0:7 offset1:15
.LBB134_20:
	;; [unrolled: 58-line block ×4, first 2 shown]
	s_or_b64 exec, exec, s[6:7]
	v_cmp_gt_u32_e32 vcc, 2, v0
	s_waitcnt lgkmcnt(0)
	s_barrier
	s_and_saveexec_b64 s[6:7], vcc
	s_cbranch_execz .LBB134_26
; %bb.25:
	v_lshlrev_b32_e32 v3, 10, v0
	v_add_u32_e32 v7, 0x1f8, v3
	ds_read2st64_b64 v[8:11], v7 offset0:4 offset1:5
	ds_read2st64_b64 v[12:15], v3 offset0:8 offset1:9
	ds_read2st64_b64 v[16:19], v3 offset1:1
	ds_read2st64_b64 v[20:23], v7 offset0:12 offset1:13
	ds_read2st64_b64 v[24:27], v7 offset0:20 offset1:21
	s_waitcnt lgkmcnt(3)
	v_fma_f64 v[32:33], -v[14:15], v[8:9], 1.0
	v_div_scale_f64 v[34:35], s[8:9], v[32:33], v[32:33], 1.0
	v_rcp_f64_e32 v[36:37], v[34:35]
	v_div_scale_f64 v[38:39], vcc, 1.0, v[32:33], 1.0
	v_fma_f64 v[28:29], -v[34:35], v[36:37], 1.0
	v_fmac_f64_e32 v[36:37], v[36:37], v[28:29]
	v_fma_f64 v[28:29], -v[34:35], v[36:37], 1.0
	v_fmac_f64_e32 v[36:37], v[36:37], v[28:29]
	ds_read2st64_b64 v[28:31], v3 offset0:16 offset1:17
	v_mul_f64 v[40:41], v[38:39], v[36:37]
	v_fma_f64 v[34:35], -v[34:35], v[40:41], v[38:39]
	v_div_fmas_f64 v[34:35], v[34:35], v[36:37], v[40:41]
	v_div_fixup_f64 v[32:33], v[34:35], v[32:33], 1.0
	s_waitcnt lgkmcnt(0)
	v_fma_f64 v[34:35], -v[8:9], v[30:31], v[24:25]
	v_fma_f64 v[24:25], -v[14:15], v[24:25], v[30:31]
	v_mul_f64 v[8:9], v[8:9], v[18:19]
	v_mul_f64 v[14:15], v[14:15], v[20:21]
	v_mul_f64 v[24:25], v[24:25], v[32:33]
	v_mul_f64 v[8:9], v[8:9], -v[32:33]
	v_mul_f64 v[14:15], v[14:15], -v[32:33]
	v_mul_f64 v[34:35], v[32:33], v[34:35]
	v_fma_f64 v[28:29], -v[24:25], v[16:17], v[28:29]
	v_mul_f64 v[18:19], v[32:33], v[18:19]
	v_mul_f64 v[20:21], v[32:33], v[20:21]
	v_fma_f64 v[12:13], -v[14:15], v[16:17], v[12:13]
	v_fma_f64 v[10:11], -v[8:9], v[22:23], v[10:11]
	ds_write2st64_b64 v3, v[28:29], v[24:25] offset0:16 offset1:17
	v_fma_f64 v[24:25], -v[22:23], v[34:35], v[26:27]
	ds_write2st64_b64 v3, v[12:13], v[14:15] offset0:8 offset1:9
	v_mul_f64 v[12:13], v[18:19], -v[16:17]
	ds_write2st64_b64 v7, v[8:9], v[10:11] offset0:4 offset1:5
	v_mul_f64 v[8:9], v[20:21], -v[22:23]
	ds_write2st64_b64 v7, v[34:35], v[24:25] offset0:20 offset1:21
	ds_write2st64_b64 v3, v[12:13], v[18:19] offset1:1
	ds_write2st64_b64 v7, v[20:21], v[8:9] offset0:12 offset1:13
.LBB134_26:
	s_or_b64 exec, exec, s[6:7]
	v_cmp_eq_u32_e64 s[6:7], 0, v0
	s_waitcnt lgkmcnt(0)
	s_barrier
	s_and_saveexec_b64 s[8:9], s[6:7]
	s_cbranch_execz .LBB134_28
; %bb.27:
	s_movk_i32 s10, 0x1400
	v_add_u32_e64 v3, s10, 0
	v_mov_b32_e32 v0, 0
	ds_read2_b64 v[8:11], v3 offset1:255
	ds_read_b64 v[24:25], v0 offset:3064
	ds_read_b64 v[26:27], v0 offset:12280
	v_mov_b32_e32 v34, 0x1ff8
	s_waitcnt lgkmcnt(1)
	v_fma_f64 v[16:17], -v[8:9], v[24:25], 1.0
	v_div_scale_f64 v[18:19], s[10:11], v[16:17], v[16:17], 1.0
	v_rcp_f64_e32 v[20:21], v[18:19]
	s_movk_i32 s10, 0x2400
	v_add_u32_e64 v7, s10, 0
	v_div_scale_f64 v[22:23], vcc, 1.0, v[16:17], 1.0
	v_fma_f64 v[12:13], -v[18:19], v[20:21], 1.0
	v_fmac_f64_e32 v[20:21], v[20:21], v[12:13]
	v_fma_f64 v[12:13], -v[18:19], v[20:21], 1.0
	v_fmac_f64_e32 v[20:21], v[20:21], v[12:13]
	ds_read2_b64 v[12:15], v7 offset1:255
	v_mul_f64 v[28:29], v[22:23], v[20:21]
	v_fma_f64 v[18:19], -v[18:19], v[28:29], v[22:23]
	v_div_fmas_f64 v[18:19], v[18:19], v[20:21], v[28:29]
	v_div_fixup_f64 v[28:29], v[18:19], v[16:17], 1.0
	s_waitcnt lgkmcnt(0)
	v_fma_f64 v[16:17], -v[24:25], v[12:13], v[14:15]
	v_fma_f64 v[20:21], -v[8:9], v[14:15], v[12:13]
	v_mul_f64 v[30:31], v[28:29], v[16:17]
	v_mul_f64 v[32:33], v[20:21], v[28:29]
	ds_read2_b64 v[12:15], v34 offset1:1
	ds_read2st64_b64 v[16:19], v0 offset1:2
	ds_write2_b64 v7, v[32:33], v[30:31] offset1:255
	v_mov_b32_e32 v7, 0xff8
	ds_read2_b64 v[20:23], v7 offset1:1
	v_mul_f64 v[8:9], v[8:9], v[10:11]
	s_waitcnt lgkmcnt(2)
	v_mul_f64 v[24:25], v[24:25], v[18:19]
	v_mul_f64 v[18:19], v[28:29], v[18:19]
	v_mul_f64 v[8:9], v[8:9], -v[28:29]
	v_mul_f64 v[10:11], v[28:29], v[10:11]
	v_fma_f64 v[14:15], -v[32:33], v[16:17], v[14:15]
	v_mul_f64 v[24:25], v[24:25], -v[28:29]
	ds_write2_b64 v3, v[8:9], v[10:11] offset1:255
	s_waitcnt lgkmcnt(1)
	v_fma_f64 v[8:9], -v[8:9], v[16:17], v[22:23]
	v_mul_f64 v[16:17], v[18:19], -v[16:17]
	ds_write2st64_b64 v0, v[16:17], v[18:19] offset1:2
	v_fma_f64 v[16:17], -v[24:25], v[12:13], v[20:21]
	v_fma_f64 v[26:27], -v[12:13], v[30:31], v[26:27]
	ds_write2_b64 v7, v[16:17], v[8:9] offset1:1
	v_mul_f64 v[8:9], v[10:11], -v[12:13]
	ds_write_b64 v0, v[26:27] offset:12280
	ds_write_b64 v0, v[24:25] offset:3064
	ds_write2_b64 v34, v[8:9], v[14:15] offset1:1
.LBB134_28:
	s_or_b64 exec, exec, s[8:9]
	s_load_dwordx2 s[14:15], s[0:1], 0x48
	s_load_dwordx4 s[8:11], s[0:1], 0x38
	s_waitcnt lgkmcnt(0)
	s_barrier
	s_and_saveexec_b64 s[16:17], s[4:5]
	s_cbranch_execnz .LBB134_31
; %bb.29:
	s_or_b64 exec, exec, s[16:17]
	s_and_saveexec_b64 s[4:5], s[6:7]
	s_cbranch_execnz .LBB134_35
.LBB134_30:
	s_endpgm
.LBB134_31:
	s_cmp_eq_u32 s3, 0
	s_cbranch_scc1 .LBB134_39
; %bb.32:
	s_mul_i32 s18, s18, 15
	s_cbranch_execnz .LBB134_34
.LBB134_33:
	s_load_dwordx4 s[20:23], s[0:1], 0x28
	ds_read2st64_b64 v[6:9], v6 offset1:4
	v_ashrrev_i32_e32 v3, 31, v2
	v_lshlrev_b64 v[12:13], 3, v[2:3]
	v_add_u32_e32 v10, s19, v2
	s_waitcnt lgkmcnt(0)
	v_lshl_add_u64 v[2:3], s[20:21], 0, v[12:13]
	global_store_dwordx2 v[2:3], v[6:7], off
	ds_read2st64_b64 v[0:3], v1 offset1:4
	v_mov_b32_e32 v11, 0
	v_lshlrev_b64 v[6:7], 3, v[10:11]
	v_lshl_add_u64 v[10:11], s[20:21], 0, v[6:7]
	global_store_dwordx2 v[10:11], v[8:9], off
	v_lshl_add_u64 v[8:9], s[22:23], 0, v[12:13]
	s_waitcnt lgkmcnt(0)
	global_store_dwordx2 v[8:9], v[0:1], off
	v_lshl_add_u64 v[0:1], s[22:23], 0, v[6:7]
	s_mov_b32 s18, s19
	global_store_dwordx2 v[0:1], v[2:3], off
.LBB134_34:
	ds_read2st64_b64 v[0:3], v5 offset1:4
	v_ashrrev_i32_e32 v5, 31, v4
	v_add_u32_e32 v6, s18, v4
	v_mov_b32_e32 v7, 0
	v_lshl_add_u64 v[4:5], v[4:5], 3, s[12:13]
	s_waitcnt lgkmcnt(0)
	global_store_dwordx2 v[4:5], v[0:1], off
	v_lshl_add_u64 v[0:1], v[6:7], 3, s[12:13]
	global_store_dwordx2 v[0:1], v[2:3], off
	s_or_b64 exec, exec, s[16:17]
	s_and_saveexec_b64 s[4:5], s[6:7]
	s_cbranch_execz .LBB134_30
.LBB134_35:
	s_cmp_eq_u32 s3, 0
	s_cbranch_scc1 .LBB134_40
; %bb.36:
	s_load_dword s6, s[0:1], 0x50
	s_cbranch_execnz .LBB134_38
.LBB134_37:
	s_waitcnt lgkmcnt(0)
	s_load_dword s6, s[0:1], 0x50
	v_mov_b32_e32 v0, 0xff8
	ds_read2_b64 v[6:9], v0 offset1:1
	s_mov_b32 s4, s3
	s_ashr_i32 s3, s2, 31
	s_lshl_b64 s[12:13], s[2:3], 3
	v_mov_b32_e32 v4, 0
	s_mov_b32 s3, s4
	s_add_u32 s4, s10, s12
	ds_read_b64 v[2:3], v4 offset:8184
	s_addc_u32 s5, s11, s13
	s_waitcnt lgkmcnt(0)
	s_add_i32 s0, s6, s2
	s_mov_b32 s1, 0
	s_lshl_b64 s[0:1], s[0:1], 3
	global_store_dwordx2 v4, v[8:9], s[4:5]
	s_add_u32 s4, s10, s0
	ds_read_b64 v[0:1], v4
	s_addc_u32 s5, s11, s1
	global_store_dwordx2 v4, v[2:3], s[4:5]
	s_add_u32 s4, s14, s12
	s_addc_u32 s5, s15, s13
	s_add_u32 s0, s14, s0
	s_addc_u32 s1, s15, s1
	s_waitcnt lgkmcnt(0)
	global_store_dwordx2 v4, v[0:1], s[4:5]
	global_store_dwordx2 v4, v[6:7], s[0:1]
.LBB134_38:
	s_waitcnt lgkmcnt(0)
	s_mul_i32 s0, s6, s3
	s_lshl_b32 s0, s0, 1
	s_add_i32 s0, s0, s2
	s_mov_b32 s1, 0
	v_mov_b32_e32 v4, 0
	s_lshl_b64 s[2:3], s[0:1], 3
	ds_read_b64 v[0:1], v4 offset:8192
	ds_read_b64 v[2:3], v4 offset:12280
	s_add_u32 s2, s8, s2
	s_addc_u32 s3, s9, s3
	s_add_i32 s0, s0, s6
	s_lshl_b64 s[0:1], s[0:1], 3
	s_add_u32 s0, s8, s0
	s_addc_u32 s1, s9, s1
	s_waitcnt lgkmcnt(1)
	global_store_dwordx2 v4, v[0:1], s[2:3]
	s_waitcnt lgkmcnt(0)
	global_store_dwordx2 v4, v[2:3], s[0:1]
	s_endpgm
.LBB134_39:
                                        ; implicit-def: $sgpr18
	s_branch .LBB134_33
.LBB134_40:
                                        ; implicit-def: $sgpr6
	s_branch .LBB134_37
	.section	.rodata,"a",@progbits
	.p2align	6, 0x0
	.amdhsa_kernel _ZN9rocsparseL29gtsv_spike_block_level_kernelILj256ELj16EdEEviiiPT1_PKS1_S4_S2_S2_S2_S2_S2_
		.amdhsa_group_segment_fixed_size 12288
		.amdhsa_private_segment_fixed_size 0
		.amdhsa_kernarg_size 336
		.amdhsa_user_sgpr_count 2
		.amdhsa_user_sgpr_dispatch_ptr 0
		.amdhsa_user_sgpr_queue_ptr 0
		.amdhsa_user_sgpr_kernarg_segment_ptr 1
		.amdhsa_user_sgpr_dispatch_id 0
		.amdhsa_user_sgpr_kernarg_preload_length 0
		.amdhsa_user_sgpr_kernarg_preload_offset 0
		.amdhsa_user_sgpr_private_segment_size 0
		.amdhsa_uses_dynamic_stack 0
		.amdhsa_enable_private_segment 0
		.amdhsa_system_sgpr_workgroup_id_x 1
		.amdhsa_system_sgpr_workgroup_id_y 1
		.amdhsa_system_sgpr_workgroup_id_z 0
		.amdhsa_system_sgpr_workgroup_info 0
		.amdhsa_system_vgpr_workitem_id 0
		.amdhsa_next_free_vgpr 43
		.amdhsa_next_free_sgpr 24
		.amdhsa_accum_offset 44
		.amdhsa_reserve_vcc 1
		.amdhsa_float_round_mode_32 0
		.amdhsa_float_round_mode_16_64 0
		.amdhsa_float_denorm_mode_32 3
		.amdhsa_float_denorm_mode_16_64 3
		.amdhsa_dx10_clamp 1
		.amdhsa_ieee_mode 1
		.amdhsa_fp16_overflow 0
		.amdhsa_tg_split 0
		.amdhsa_exception_fp_ieee_invalid_op 0
		.amdhsa_exception_fp_denorm_src 0
		.amdhsa_exception_fp_ieee_div_zero 0
		.amdhsa_exception_fp_ieee_overflow 0
		.amdhsa_exception_fp_ieee_underflow 0
		.amdhsa_exception_fp_ieee_inexact 0
		.amdhsa_exception_int_div_zero 0
	.end_amdhsa_kernel
	.section	.text._ZN9rocsparseL29gtsv_spike_block_level_kernelILj256ELj16EdEEviiiPT1_PKS1_S4_S2_S2_S2_S2_S2_,"axG",@progbits,_ZN9rocsparseL29gtsv_spike_block_level_kernelILj256ELj16EdEEviiiPT1_PKS1_S4_S2_S2_S2_S2_S2_,comdat
.Lfunc_end134:
	.size	_ZN9rocsparseL29gtsv_spike_block_level_kernelILj256ELj16EdEEviiiPT1_PKS1_S4_S2_S2_S2_S2_S2_, .Lfunc_end134-_ZN9rocsparseL29gtsv_spike_block_level_kernelILj256ELj16EdEEviiiPT1_PKS1_S4_S2_S2_S2_S2_S2_
                                        ; -- End function
	.set _ZN9rocsparseL29gtsv_spike_block_level_kernelILj256ELj16EdEEviiiPT1_PKS1_S4_S2_S2_S2_S2_S2_.num_vgpr, 43
	.set _ZN9rocsparseL29gtsv_spike_block_level_kernelILj256ELj16EdEEviiiPT1_PKS1_S4_S2_S2_S2_S2_S2_.num_agpr, 0
	.set _ZN9rocsparseL29gtsv_spike_block_level_kernelILj256ELj16EdEEviiiPT1_PKS1_S4_S2_S2_S2_S2_S2_.numbered_sgpr, 24
	.set _ZN9rocsparseL29gtsv_spike_block_level_kernelILj256ELj16EdEEviiiPT1_PKS1_S4_S2_S2_S2_S2_S2_.num_named_barrier, 0
	.set _ZN9rocsparseL29gtsv_spike_block_level_kernelILj256ELj16EdEEviiiPT1_PKS1_S4_S2_S2_S2_S2_S2_.private_seg_size, 0
	.set _ZN9rocsparseL29gtsv_spike_block_level_kernelILj256ELj16EdEEviiiPT1_PKS1_S4_S2_S2_S2_S2_S2_.uses_vcc, 1
	.set _ZN9rocsparseL29gtsv_spike_block_level_kernelILj256ELj16EdEEviiiPT1_PKS1_S4_S2_S2_S2_S2_S2_.uses_flat_scratch, 0
	.set _ZN9rocsparseL29gtsv_spike_block_level_kernelILj256ELj16EdEEviiiPT1_PKS1_S4_S2_S2_S2_S2_S2_.has_dyn_sized_stack, 0
	.set _ZN9rocsparseL29gtsv_spike_block_level_kernelILj256ELj16EdEEviiiPT1_PKS1_S4_S2_S2_S2_S2_S2_.has_recursion, 0
	.set _ZN9rocsparseL29gtsv_spike_block_level_kernelILj256ELj16EdEEviiiPT1_PKS1_S4_S2_S2_S2_S2_S2_.has_indirect_call, 0
	.section	.AMDGPU.csdata,"",@progbits
; Kernel info:
; codeLenInByte = 4028
; TotalNumSgprs: 30
; NumVgprs: 43
; NumAgprs: 0
; TotalNumVgprs: 43
; ScratchSize: 0
; MemoryBound: 0
; FloatMode: 240
; IeeeMode: 1
; LDSByteSize: 12288 bytes/workgroup (compile time only)
; SGPRBlocks: 3
; VGPRBlocks: 5
; NumSGPRsForWavesPerEU: 30
; NumVGPRsForWavesPerEU: 43
; AccumOffset: 44
; Occupancy: 8
; WaveLimiterHint : 0
; COMPUTE_PGM_RSRC2:SCRATCH_EN: 0
; COMPUTE_PGM_RSRC2:USER_SGPR: 2
; COMPUTE_PGM_RSRC2:TRAP_HANDLER: 0
; COMPUTE_PGM_RSRC2:TGID_X_EN: 1
; COMPUTE_PGM_RSRC2:TGID_Y_EN: 1
; COMPUTE_PGM_RSRC2:TGID_Z_EN: 0
; COMPUTE_PGM_RSRC2:TIDIG_COMP_CNT: 0
; COMPUTE_PGM_RSRC3_GFX90A:ACCUM_OFFSET: 10
; COMPUTE_PGM_RSRC3_GFX90A:TG_SPLIT: 0
	.section	.text._ZN9rocsparseL33gtsv_solve_spike_propagate_kernelILj256ELj16EdEEviiiPT1_PKS1_S4_S4_,"axG",@progbits,_ZN9rocsparseL33gtsv_solve_spike_propagate_kernelILj256ELj16EdEEviiiPT1_PKS1_S4_S4_,comdat
	.globl	_ZN9rocsparseL33gtsv_solve_spike_propagate_kernelILj256ELj16EdEEviiiPT1_PKS1_S4_S4_ ; -- Begin function _ZN9rocsparseL33gtsv_solve_spike_propagate_kernelILj256ELj16EdEEviiiPT1_PKS1_S4_S4_
	.p2align	8
	.type	_ZN9rocsparseL33gtsv_solve_spike_propagate_kernelILj256ELj16EdEEviiiPT1_PKS1_S4_S4_,@function
_ZN9rocsparseL33gtsv_solve_spike_propagate_kernelILj256ELj16EdEEviiiPT1_PKS1_S4_S4_: ; @_ZN9rocsparseL33gtsv_solve_spike_propagate_kernelILj256ELj16EdEEviiiPT1_PKS1_S4_S4_
; %bb.0:
	s_load_dword s8, s[0:1], 0x0
	v_lshl_or_b32 v2, s2, 8, v0
	v_mov_b64_e32 v[4:5], 0
	v_ashrrev_i32_e32 v3, 31, v2
	v_mov_b64_e32 v[6:7], 0
	s_waitcnt lgkmcnt(0)
	s_lshr_b32 s14, s8, 4
	v_cmp_le_i32_e64 s[4:5], s14, v2
	v_cmp_gt_i32_e32 vcc, s14, v2
	s_and_saveexec_b64 s[6:7], vcc
	s_cbranch_execz .LBB135_2
; %bb.1:
	s_load_dwordx2 s[10:11], s[0:1], 0x18
	v_mad_u64_u32 v[4:5], s[12:13], s14, 15, v[2:3]
	v_mov_b32_e32 v5, 0
	s_waitcnt lgkmcnt(0)
	v_lshl_add_u64 v[8:9], v[2:3], 3, s[10:11]
	v_lshl_add_u64 v[10:11], v[4:5], 3, s[10:11]
	global_load_dwordx2 v[4:5], v[8:9], off
	global_load_dwordx2 v[6:7], v[10:11], off
.LBB135_2:
	s_or_b64 exec, exec, s[6:7]
	s_load_dwordx2 s[6:7], s[0:1], 0x10
	v_lshlrev_b32_e32 v1, 3, v0
	v_add_u32_e32 v8, 16, v1
	s_waitcnt vmcnt(0)
	ds_write2st64_b64 v8, v[4:5], v[6:7] offset0:16 offset1:20
	s_and_saveexec_b64 s[10:11], s[4:5]
	s_xor_b64 s[4:5], exec, s[10:11]
; %bb.3:
	s_mov_b32 s10, 0
	s_mov_b32 s11, s10
	v_mov_b64_e32 v[4:5], s[10:11]
	ds_write2st64_b64 v8, v[4:5], v[4:5] offset0:8 offset1:12
; %bb.4:
	s_or_saveexec_b64 s[4:5], s[4:5]
	v_mov_b64_e32 v[4:5], 0
	s_mul_i32 s8, s8, s3
	v_mov_b64_e32 v[6:7], 0
	s_xor_b64 exec, exec, s[4:5]
	s_cbranch_execz .LBB135_6
; %bb.5:
	s_load_dwordx2 s[10:11], s[0:1], 0x20
	v_mad_u64_u32 v[6:7], s[12:13], s14, 15, v[2:3]
	v_mov_b32_e32 v7, 0
	s_waitcnt lgkmcnt(0)
	v_lshl_add_u64 v[10:11], v[6:7], 3, s[10:11]
	v_add_u32_e32 v6, s8, v6
	v_lshl_add_u64 v[8:9], v[2:3], 3, s[10:11]
	v_lshl_add_u64 v[6:7], v[6:7], 3, s[6:7]
	global_load_dwordx2 v[12:13], v[8:9], off
	global_load_dwordx2 v[14:15], v[10:11], off
	v_add_u32_e32 v3, 16, v1
	global_load_dwordx2 v[6:7], v[6:7], off
	s_waitcnt vmcnt(1)
	ds_write2st64_b64 v3, v[12:13], v[14:15] offset0:8 offset1:12
.LBB135_6:
	s_or_b64 exec, exec, s[4:5]
	v_add_u32_e32 v2, s8, v2
	s_waitcnt vmcnt(0)
	ds_write_b64 v1, v[6:7] offset:8
	s_and_saveexec_b64 s[4:5], vcc
	s_cbranch_execz .LBB135_8
; %bb.7:
	v_ashrrev_i32_e32 v3, 31, v2
	s_waitcnt lgkmcnt(0)
	v_lshl_add_u64 v[4:5], v[2:3], 3, s[6:7]
	global_load_dwordx2 v[4:5], v[4:5], off
.LBB135_8:
	s_or_b64 exec, exec, s[4:5]
	v_cmp_eq_u32_e64 s[4:5], 0, v0
	s_waitcnt vmcnt(0)
	ds_write_b64 v1, v[4:5] offset:2056
	s_waitcnt lgkmcnt(0)
	s_barrier
	s_and_saveexec_b64 s[8:9], s[4:5]
	s_cbranch_execz .LBB135_14
; %bb.9:
	s_load_dword s15, s[0:1], 0x30
	s_load_dwordx2 s[10:11], s[0:1], 0x28
	s_cmp_lt_i32 s2, 1
	s_mov_b64 s[0:1], 0
	s_mov_b64 s[12:13], 0
	s_waitcnt lgkmcnt(0)
	s_mul_i32 s3, s3, s15
	s_cbranch_scc1 .LBB135_11
; %bb.10:
	s_lshl_b32 s12, s3, 1
	s_add_i32 s13, s2, s15
	s_add_i32 s12, s13, s12
	s_add_i32 s12, s12, -1
	s_mov_b32 s13, 0
	s_lshl_b64 s[12:13], s[12:13], 3
	s_add_u32 s12, s10, s12
	s_addc_u32 s13, s11, s13
	s_load_dwordx2 s[12:13], s[12:13], 0x0
.LBB135_11:
	s_waitcnt lgkmcnt(0)
	v_mov_b64_e32 v[4:5], s[12:13]
	s_add_i32 s12, s15, -1
	v_mov_b32_e32 v3, 0
	s_cmp_ge_u32 s2, s12
	ds_write_b64 v3, v[4:5]
	s_cbranch_scc1 .LBB135_13
; %bb.12:
	s_lshl_b32 s0, s3, 1
	s_add_i32 s0, s2, s0
	s_add_i32 s0, s0, 1
	s_mov_b32 s1, 0
	s_lshl_b64 s[0:1], s[0:1], 3
	s_add_u32 s0, s10, s0
	s_addc_u32 s1, s11, s1
	s_load_dwordx2 s[0:1], s[0:1], 0x0
.LBB135_13:
	s_lshl_b32 s3, s3, 1
	s_add_i32 s2, s3, s2
	s_mov_b32 s3, 0
	s_lshl_b64 s[12:13], s[2:3], 3
	s_add_u32 s12, s10, s12
	s_addc_u32 s13, s11, s13
	s_add_i32 s2, s2, s15
	s_lshl_b64 s[2:3], s[2:3], 3
	s_add_u32 s2, s10, s2
	s_addc_u32 s3, s11, s3
	s_load_dwordx2 s[10:11], s[2:3], 0x0
	s_load_dwordx2 s[16:17], s[12:13], 0x0
	s_waitcnt lgkmcnt(0)
	v_mov_b64_e32 v[4:5], s[0:1]
	ds_write_b64 v3, v[4:5] offset:4104
	v_mov_b32_e32 v4, s10
	v_mov_b32_e32 v5, s11
	;; [unrolled: 1-line block ×4, first 2 shown]
	ds_write_b128 v3, v[4:7] offset:2048
.LBB135_14:
	s_or_b64 exec, exec, s[8:9]
	s_waitcnt lgkmcnt(0)
	s_barrier
	s_and_saveexec_b64 s[0:1], s[4:5]
	s_cbranch_execz .LBB135_16
; %bb.15:
	s_movk_i32 s2, 0x1410
	v_mov_b32_e32 v3, 0
	v_add_u32_e64 v8, s2, 0
	v_add_u32_e64 v12, 8, 0
	s_movk_i32 s2, 0x2410
	ds_read2st64_b64 v[4:7], v3 offset1:2
	ds_read2_b64 v[8:11], v8 offset1:255
	ds_read2st64_b64 v[12:15], v12 offset0:6 offset1:8
	v_add_u32_e64 v16, s2, 0
	ds_read2_b64 v[16:19], v16 offset1:255
	s_waitcnt lgkmcnt(1)
	v_fma_f64 v[6:7], -v[10:11], v[14:15], v[6:7]
	s_waitcnt lgkmcnt(0)
	v_fma_f64 v[6:7], -v[18:19], v[4:5], v[6:7]
	ds_write_b64 v3, v[6:7] offset:1024
	v_fma_f64 v[6:7], -v[8:9], v[14:15], v[12:13]
	v_fma_f64 v[4:5], -v[16:17], v[4:5], v[6:7]
	ds_write_b64 v3, v[4:5] offset:3080
.LBB135_16:
	s_or_b64 exec, exec, s[0:1]
	v_cmp_gt_u32_e64 s[0:1], 2, v0
	s_waitcnt lgkmcnt(0)
	s_barrier
	s_and_saveexec_b64 s[2:3], s[0:1]
	s_cbranch_execz .LBB135_18
; %bb.17:
	s_movk_i32 s0, 0x3f8
	v_mad_u32_u24 v3, v0, s0, v1
	v_lshlrev_b32_e32 v16, 10, v0
	v_add_u32_e32 v8, 0x1210, v16
	v_add_u32_e32 v12, 8, v3
	ds_read2st64_b64 v[4:7], v3 offset1:1
	ds_read2_b64 v[8:11], v8 offset1:255
	ds_read2st64_b64 v[12:15], v12 offset0:5 offset1:6
	v_add_u32_e32 v16, 0x2210, v16
	ds_read2_b64 v[16:19], v16 offset1:255
	s_waitcnt lgkmcnt(1)
	v_fma_f64 v[6:7], -v[10:11], v[14:15], v[6:7]
	s_waitcnt lgkmcnt(0)
	v_fma_f64 v[6:7], -v[18:19], v[4:5], v[6:7]
	ds_write_b64 v3, v[6:7] offset:512
	v_fma_f64 v[6:7], -v[8:9], v[14:15], v[12:13]
	v_fma_f64 v[4:5], -v[16:17], v[4:5], v[6:7]
	ds_write_b64 v3, v[4:5] offset:2568
.LBB135_18:
	s_or_b64 exec, exec, s[2:3]
	v_cmp_gt_u32_e64 s[0:1], 4, v0
	s_waitcnt lgkmcnt(0)
	s_barrier
	s_and_saveexec_b64 s[2:3], s[0:1]
	s_cbranch_execz .LBB135_20
; %bb.19:
	v_lshlrev_b32_e32 v3, 9, v0
	v_add_u32_e32 v8, 0x1110, v3
	v_add_u32_e32 v12, 0x800, v3
	ds_read2_b64 v[4:7], v3 offset1:32
	ds_read2_b64 v[8:11], v8 offset1:255
	ds_read2_b64 v[12:15], v12 offset0:33 offset1:65
	v_add_u32_e32 v16, 0x2110, v3
	ds_read2_b64 v[16:19], v16 offset1:255
	s_waitcnt lgkmcnt(1)
	v_fma_f64 v[6:7], -v[10:11], v[14:15], v[6:7]
	s_waitcnt lgkmcnt(0)
	v_fma_f64 v[6:7], -v[18:19], v[4:5], v[6:7]
	ds_write_b64 v3, v[6:7] offset:256
	v_fma_f64 v[6:7], -v[8:9], v[14:15], v[12:13]
	v_fma_f64 v[4:5], -v[16:17], v[4:5], v[6:7]
	ds_write_b64 v3, v[4:5] offset:2312
.LBB135_20:
	s_or_b64 exec, exec, s[2:3]
	v_cmp_gt_u32_e64 s[0:1], 8, v0
	s_waitcnt lgkmcnt(0)
	s_barrier
	s_and_saveexec_b64 s[2:3], s[0:1]
	s_cbranch_execz .LBB135_22
; %bb.21:
	v_lshlrev_b32_e32 v3, 8, v0
	v_add_u32_e32 v8, 0x1090, v3
	v_add_u32_e32 v12, 0x800, v3
	ds_read2_b64 v[4:7], v3 offset1:16
	ds_read2_b64 v[8:11], v8 offset1:255
	ds_read2_b64 v[12:15], v12 offset0:17 offset1:33
	v_add_u32_e32 v16, 0x2090, v3
	ds_read2_b64 v[16:19], v16 offset1:255
	s_waitcnt lgkmcnt(1)
	v_fma_f64 v[6:7], -v[10:11], v[14:15], v[6:7]
	s_waitcnt lgkmcnt(0)
	v_fma_f64 v[6:7], -v[18:19], v[4:5], v[6:7]
	ds_write_b64 v3, v[6:7] offset:128
	v_fma_f64 v[6:7], -v[8:9], v[14:15], v[12:13]
	v_fma_f64 v[4:5], -v[16:17], v[4:5], v[6:7]
	ds_write_b64 v3, v[4:5] offset:2184
.LBB135_22:
	;; [unrolled: 24-line block ×5, first 2 shown]
	s_or_b64 exec, exec, s[2:3]
	s_movk_i32 s0, 0x80
	v_cmp_gt_u32_e64 s[0:1], s0, v0
	s_waitcnt lgkmcnt(0)
	s_barrier
	s_and_saveexec_b64 s[2:3], s[0:1]
	s_cbranch_execz .LBB135_30
; %bb.29:
	v_lshlrev_b32_e32 v0, 4, v0
	v_add_u32_e32 v3, 0x1018, v0
	ds_read2_b64 v[4:7], v3 offset1:255
	ds_read_b128 v[8:11], v0
	ds_read_b128 v[12:15], v0 offset:2064
	v_add_u32_e32 v3, 0x2018, v0
	ds_read2_b64 v[16:19], v3 offset1:255
	s_waitcnt lgkmcnt(1)
	v_fma_f64 v[6:7], -v[6:7], v[14:15], v[10:11]
	v_fma_f64 v[4:5], -v[4:5], v[14:15], v[12:13]
	s_waitcnt lgkmcnt(0)
	v_fma_f64 v[6:7], -v[18:19], v[8:9], v[6:7]
	v_fma_f64 v[4:5], -v[16:17], v[8:9], v[4:5]
	ds_write_b64 v0, v[6:7] offset:8
	ds_write_b64 v0, v[4:5] offset:2064
.LBB135_30:
	s_or_b64 exec, exec, s[2:3]
	s_waitcnt lgkmcnt(0)
	s_barrier
	s_and_saveexec_b64 s[0:1], vcc
	s_cbranch_execz .LBB135_32
; %bb.31:
	v_add_u32_e32 v0, 8, v1
	ds_read2st64_b64 v[4:7], v0 offset1:4
	v_ashrrev_i32_e32 v3, 31, v2
	v_lshl_add_u64 v[0:1], v[2:3], 3, s[6:7]
	v_mad_u64_u32 v[2:3], s[0:1], s14, 15, v[2:3]
	v_mov_b32_e32 v3, 0
	s_waitcnt lgkmcnt(0)
	global_store_dwordx2 v[0:1], v[6:7], off
	v_lshl_add_u64 v[0:1], v[2:3], 3, s[6:7]
	global_store_dwordx2 v[0:1], v[4:5], off
.LBB135_32:
	s_endpgm
	.section	.rodata,"a",@progbits
	.p2align	6, 0x0
	.amdhsa_kernel _ZN9rocsparseL33gtsv_solve_spike_propagate_kernelILj256ELj16EdEEviiiPT1_PKS1_S4_S4_
		.amdhsa_group_segment_fixed_size 12304
		.amdhsa_private_segment_fixed_size 0
		.amdhsa_kernarg_size 304
		.amdhsa_user_sgpr_count 2
		.amdhsa_user_sgpr_dispatch_ptr 0
		.amdhsa_user_sgpr_queue_ptr 0
		.amdhsa_user_sgpr_kernarg_segment_ptr 1
		.amdhsa_user_sgpr_dispatch_id 0
		.amdhsa_user_sgpr_kernarg_preload_length 0
		.amdhsa_user_sgpr_kernarg_preload_offset 0
		.amdhsa_user_sgpr_private_segment_size 0
		.amdhsa_uses_dynamic_stack 0
		.amdhsa_enable_private_segment 0
		.amdhsa_system_sgpr_workgroup_id_x 1
		.amdhsa_system_sgpr_workgroup_id_y 1
		.amdhsa_system_sgpr_workgroup_id_z 0
		.amdhsa_system_sgpr_workgroup_info 0
		.amdhsa_system_vgpr_workitem_id 0
		.amdhsa_next_free_vgpr 20
		.amdhsa_next_free_sgpr 18
		.amdhsa_accum_offset 20
		.amdhsa_reserve_vcc 1
		.amdhsa_float_round_mode_32 0
		.amdhsa_float_round_mode_16_64 0
		.amdhsa_float_denorm_mode_32 3
		.amdhsa_float_denorm_mode_16_64 3
		.amdhsa_dx10_clamp 1
		.amdhsa_ieee_mode 1
		.amdhsa_fp16_overflow 0
		.amdhsa_tg_split 0
		.amdhsa_exception_fp_ieee_invalid_op 0
		.amdhsa_exception_fp_denorm_src 0
		.amdhsa_exception_fp_ieee_div_zero 0
		.amdhsa_exception_fp_ieee_overflow 0
		.amdhsa_exception_fp_ieee_underflow 0
		.amdhsa_exception_fp_ieee_inexact 0
		.amdhsa_exception_int_div_zero 0
	.end_amdhsa_kernel
	.section	.text._ZN9rocsparseL33gtsv_solve_spike_propagate_kernelILj256ELj16EdEEviiiPT1_PKS1_S4_S4_,"axG",@progbits,_ZN9rocsparseL33gtsv_solve_spike_propagate_kernelILj256ELj16EdEEviiiPT1_PKS1_S4_S4_,comdat
.Lfunc_end135:
	.size	_ZN9rocsparseL33gtsv_solve_spike_propagate_kernelILj256ELj16EdEEviiiPT1_PKS1_S4_S4_, .Lfunc_end135-_ZN9rocsparseL33gtsv_solve_spike_propagate_kernelILj256ELj16EdEEviiiPT1_PKS1_S4_S4_
                                        ; -- End function
	.set _ZN9rocsparseL33gtsv_solve_spike_propagate_kernelILj256ELj16EdEEviiiPT1_PKS1_S4_S4_.num_vgpr, 20
	.set _ZN9rocsparseL33gtsv_solve_spike_propagate_kernelILj256ELj16EdEEviiiPT1_PKS1_S4_S4_.num_agpr, 0
	.set _ZN9rocsparseL33gtsv_solve_spike_propagate_kernelILj256ELj16EdEEviiiPT1_PKS1_S4_S4_.numbered_sgpr, 18
	.set _ZN9rocsparseL33gtsv_solve_spike_propagate_kernelILj256ELj16EdEEviiiPT1_PKS1_S4_S4_.num_named_barrier, 0
	.set _ZN9rocsparseL33gtsv_solve_spike_propagate_kernelILj256ELj16EdEEviiiPT1_PKS1_S4_S4_.private_seg_size, 0
	.set _ZN9rocsparseL33gtsv_solve_spike_propagate_kernelILj256ELj16EdEEviiiPT1_PKS1_S4_S4_.uses_vcc, 1
	.set _ZN9rocsparseL33gtsv_solve_spike_propagate_kernelILj256ELj16EdEEviiiPT1_PKS1_S4_S4_.uses_flat_scratch, 0
	.set _ZN9rocsparseL33gtsv_solve_spike_propagate_kernelILj256ELj16EdEEviiiPT1_PKS1_S4_S4_.has_dyn_sized_stack, 0
	.set _ZN9rocsparseL33gtsv_solve_spike_propagate_kernelILj256ELj16EdEEviiiPT1_PKS1_S4_S4_.has_recursion, 0
	.set _ZN9rocsparseL33gtsv_solve_spike_propagate_kernelILj256ELj16EdEEviiiPT1_PKS1_S4_S4_.has_indirect_call, 0
	.section	.AMDGPU.csdata,"",@progbits
; Kernel info:
; codeLenInByte = 1868
; TotalNumSgprs: 24
; NumVgprs: 20
; NumAgprs: 0
; TotalNumVgprs: 20
; ScratchSize: 0
; MemoryBound: 0
; FloatMode: 240
; IeeeMode: 1
; LDSByteSize: 12304 bytes/workgroup (compile time only)
; SGPRBlocks: 2
; VGPRBlocks: 2
; NumSGPRsForWavesPerEU: 24
; NumVGPRsForWavesPerEU: 20
; AccumOffset: 20
; Occupancy: 8
; WaveLimiterHint : 0
; COMPUTE_PGM_RSRC2:SCRATCH_EN: 0
; COMPUTE_PGM_RSRC2:USER_SGPR: 2
; COMPUTE_PGM_RSRC2:TRAP_HANDLER: 0
; COMPUTE_PGM_RSRC2:TGID_X_EN: 1
; COMPUTE_PGM_RSRC2:TGID_Y_EN: 1
; COMPUTE_PGM_RSRC2:TGID_Z_EN: 0
; COMPUTE_PGM_RSRC2:TIDIG_COMP_CNT: 0
; COMPUTE_PGM_RSRC3_GFX90A:ACCUM_OFFSET: 4
; COMPUTE_PGM_RSRC3_GFX90A:TG_SPLIT: 0
	.section	.text._ZN9rocsparseL39gtsv_spike_backward_substitution_kernelILj256ELj16EdEEviiiPT1_PKS1_S4_,"axG",@progbits,_ZN9rocsparseL39gtsv_spike_backward_substitution_kernelILj256ELj16EdEEviiiPT1_PKS1_S4_,comdat
	.globl	_ZN9rocsparseL39gtsv_spike_backward_substitution_kernelILj256ELj16EdEEviiiPT1_PKS1_S4_ ; -- Begin function _ZN9rocsparseL39gtsv_spike_backward_substitution_kernelILj256ELj16EdEEviiiPT1_PKS1_S4_
	.p2align	8
	.type	_ZN9rocsparseL39gtsv_spike_backward_substitution_kernelILj256ELj16EdEEviiiPT1_PKS1_S4_,@function
_ZN9rocsparseL39gtsv_spike_backward_substitution_kernelILj256ELj16EdEEviiiPT1_PKS1_S4_: ; @_ZN9rocsparseL39gtsv_spike_backward_substitution_kernelILj256ELj16EdEEviiiPT1_PKS1_S4_
; %bb.0:
	s_load_dword s6, s[0:1], 0x0
	v_lshl_or_b32 v4, s2, 8, v0
	s_waitcnt lgkmcnt(0)
	s_lshr_b32 s12, s6, 4
	v_cmp_gt_i32_e32 vcc, s12, v4
	s_and_saveexec_b64 s[4:5], vcc
	s_cbranch_execz .LBB136_6
; %bb.1:
	s_load_dwordx2 s[8:9], s[0:1], 0x10
	v_cmp_lt_i32_e32 vcc, 0, v4
	v_mov_b64_e32 v[0:1], 0
	s_mul_i32 s2, s6, s3
	s_and_saveexec_b64 s[4:5], vcc
	s_cbranch_execz .LBB136_3
; %bb.2:
	s_mul_i32 s7, s12, 15
	s_mul_i32 s3, s6, s3
	s_add_i32 s7, s7, s3
	v_add3_u32 v0, v4, s7, -1
	v_mov_b32_e32 v1, 0
	s_waitcnt lgkmcnt(0)
	v_lshl_add_u64 v[0:1], v[0:1], 3, s[8:9]
	global_load_dwordx2 v[0:1], v[0:1], off
.LBB136_3:
	s_or_b64 exec, exec, s[4:5]
	v_add_u32_e32 v2, 16, v4
	v_cmp_le_u32_e32 vcc, s6, v2
	s_and_saveexec_b64 s[4:5], vcc
	s_xor_b64 s[4:5], exec, s[4:5]
	s_or_saveexec_b64 s[10:11], s[4:5]
	s_load_dwordx4 s[4:7], s[0:1], 0x18
	v_mov_b64_e32 v[2:3], 0
	v_mov_b32_e32 v5, s2
	s_xor_b64 exec, exec, s[10:11]
	s_cbranch_execz .LBB136_5
; %bb.4:
	s_ashr_i32 s3, s2, 31
	v_ashrrev_i32_e32 v5, 31, v4
	v_lshl_add_u64 v[2:3], v[4:5], 0, s[2:3]
	s_waitcnt lgkmcnt(0)
	v_lshl_add_u64 v[2:3], v[2:3], 3, s[8:9]
	global_load_dwordx2 v[2:3], v[2:3], off offset:8
	v_mov_b32_e32 v5, s2
.LBB136_5:
	s_or_b64 exec, exec, s[10:11]
	v_add_u32_e32 v6, s12, v4
	v_add_u32_e32 v8, v6, v5
	v_ashrrev_i32_e32 v7, 31, v6
	v_ashrrev_i32_e32 v9, 31, v8
	v_lshlrev_b64 v[12:13], 3, v[6:7]
	s_waitcnt lgkmcnt(0)
	v_lshl_add_u64 v[8:9], v[8:9], 3, s[8:9]
	v_lshl_add_u64 v[14:15], s[4:5], 0, v[12:13]
	global_load_dwordx2 v[10:11], v[8:9], off
	v_lshl_add_u64 v[12:13], s[6:7], 0, v[12:13]
	global_load_dwordx2 v[14:15], v[14:15], off
	v_add_u32_e32 v6, s12, v6
	global_load_dwordx2 v[12:13], v[12:13], off
	v_ashrrev_i32_e32 v7, 31, v6
	v_lshlrev_b64 v[18:19], 3, v[6:7]
	v_lshl_add_u64 v[20:21], s[4:5], 0, v[18:19]
	v_add_u32_e32 v16, v6, v5
	global_load_dwordx2 v[20:21], v[20:21], off
	v_ashrrev_i32_e32 v17, 31, v16
	v_lshl_add_u64 v[16:17], v[16:17], 3, s[8:9]
	v_lshl_add_u64 v[18:19], s[6:7], 0, v[18:19]
	v_add_u32_e32 v6, s12, v6
	v_ashrrev_i32_e32 v7, 31, v6
	s_waitcnt vmcnt(2)
	v_fma_f64 v[10:11], -v[0:1], v[14:15], v[10:11]
	v_lshlrev_b64 v[14:15], 3, v[6:7]
	s_waitcnt vmcnt(1)
	v_fma_f64 v[10:11], -v[2:3], v[12:13], v[10:11]
	global_store_dwordx2 v[8:9], v[10:11], off
	global_load_dwordx2 v[8:9], v[16:17], off
	s_nop 0
	global_load_dwordx2 v[10:11], v[18:19], off
	v_add_u32_e32 v12, v6, v5
	v_ashrrev_i32_e32 v13, 31, v12
	v_lshl_add_u64 v[18:19], s[4:5], 0, v[14:15]
	v_lshl_add_u64 v[12:13], v[12:13], 3, s[8:9]
	global_load_dwordx2 v[18:19], v[18:19], off
	v_lshl_add_u64 v[14:15], s[6:7], 0, v[14:15]
	v_add_u32_e32 v6, s12, v6
	v_ashrrev_i32_e32 v7, 31, v6
	s_waitcnt vmcnt(2)
	v_fma_f64 v[8:9], -v[0:1], v[20:21], v[8:9]
	s_waitcnt vmcnt(1)
	v_fma_f64 v[8:9], -v[2:3], v[10:11], v[8:9]
	global_store_dwordx2 v[16:17], v[8:9], off
	global_load_dwordx2 v[8:9], v[12:13], off
	s_nop 0
	global_load_dwordx2 v[10:11], v[14:15], off
	v_add_u32_e32 v14, v6, v5
	v_lshlrev_b64 v[16:17], 3, v[6:7]
	v_ashrrev_i32_e32 v15, 31, v14
	v_lshl_add_u64 v[20:21], s[4:5], 0, v[16:17]
	v_lshl_add_u64 v[14:15], v[14:15], 3, s[8:9]
	global_load_dwordx2 v[20:21], v[20:21], off
	v_lshl_add_u64 v[16:17], s[6:7], 0, v[16:17]
	v_add_u32_e32 v6, s12, v6
	v_ashrrev_i32_e32 v7, 31, v6
	s_waitcnt vmcnt(2)
	v_fma_f64 v[8:9], -v[0:1], v[18:19], v[8:9]
	s_waitcnt vmcnt(1)
	v_fma_f64 v[8:9], -v[2:3], v[10:11], v[8:9]
	global_store_dwordx2 v[12:13], v[8:9], off
	global_load_dwordx2 v[8:9], v[14:15], off
	s_nop 0
	global_load_dwordx2 v[10:11], v[16:17], off
	v_add_u32_e32 v12, v6, v5
	v_lshlrev_b64 v[16:17], 3, v[6:7]
	;; [unrolled: 17-line block ×9, first 2 shown]
	v_ashrrev_i32_e32 v15, 31, v14
	v_lshl_add_u64 v[20:21], s[4:5], 0, v[16:17]
	v_lshl_add_u64 v[14:15], v[14:15], 3, s[8:9]
	global_load_dwordx2 v[20:21], v[20:21], off
	v_lshl_add_u64 v[16:17], s[6:7], 0, v[16:17]
	v_add_u32_e32 v6, s12, v6
	v_ashrrev_i32_e32 v7, 31, v6
	v_add_u32_e32 v4, s12, v6
	s_waitcnt vmcnt(2)
	v_fma_f64 v[8:9], -v[0:1], v[18:19], v[8:9]
	s_waitcnt vmcnt(1)
	v_fma_f64 v[8:9], -v[2:3], v[10:11], v[8:9]
	global_store_dwordx2 v[12:13], v[8:9], off
	global_load_dwordx2 v[8:9], v[14:15], off
	s_nop 0
	global_load_dwordx2 v[10:11], v[16:17], off
	v_add_u32_e32 v12, v6, v5
	v_lshlrev_b64 v[16:17], 3, v[6:7]
	v_ashrrev_i32_e32 v13, 31, v12
	v_lshl_add_u64 v[18:19], s[4:5], 0, v[16:17]
	v_lshl_add_u64 v[12:13], v[12:13], 3, s[8:9]
	global_load_dwordx2 v[18:19], v[18:19], off
	v_lshl_add_u64 v[16:17], s[6:7], 0, v[16:17]
	v_add_u32_e32 v6, v4, v5
	v_ashrrev_i32_e32 v5, 31, v4
	v_ashrrev_i32_e32 v7, 31, v6
	v_lshlrev_b64 v[4:5], 3, v[4:5]
	v_lshl_add_u64 v[6:7], v[6:7], 3, s[8:9]
	s_waitcnt vmcnt(2)
	v_fma_f64 v[8:9], -v[0:1], v[20:21], v[8:9]
	s_waitcnt vmcnt(1)
	v_fma_f64 v[8:9], -v[2:3], v[10:11], v[8:9]
	global_store_dwordx2 v[14:15], v[8:9], off
	global_load_dwordx2 v[8:9], v[12:13], off
	s_nop 0
	global_load_dwordx2 v[10:11], v[16:17], off
	v_lshl_add_u64 v[14:15], s[4:5], 0, v[4:5]
	global_load_dwordx2 v[14:15], v[14:15], off
	v_lshl_add_u64 v[4:5], s[6:7], 0, v[4:5]
	global_load_dwordx2 v[4:5], v[4:5], off
	s_waitcnt vmcnt(3)
	v_fma_f64 v[8:9], -v[0:1], v[18:19], v[8:9]
	s_waitcnt vmcnt(2)
	v_fma_f64 v[8:9], -v[2:3], v[10:11], v[8:9]
	global_store_dwordx2 v[12:13], v[8:9], off
	global_load_dwordx2 v[8:9], v[6:7], off
	s_waitcnt vmcnt(0)
	v_fma_f64 v[0:1], -v[0:1], v[14:15], v[8:9]
	v_fma_f64 v[0:1], -v[2:3], v[4:5], v[0:1]
	global_store_dwordx2 v[6:7], v[0:1], off
.LBB136_6:
	s_endpgm
	.section	.rodata,"a",@progbits
	.p2align	6, 0x0
	.amdhsa_kernel _ZN9rocsparseL39gtsv_spike_backward_substitution_kernelILj256ELj16EdEEviiiPT1_PKS1_S4_
		.amdhsa_group_segment_fixed_size 0
		.amdhsa_private_segment_fixed_size 0
		.amdhsa_kernarg_size 40
		.amdhsa_user_sgpr_count 2
		.amdhsa_user_sgpr_dispatch_ptr 0
		.amdhsa_user_sgpr_queue_ptr 0
		.amdhsa_user_sgpr_kernarg_segment_ptr 1
		.amdhsa_user_sgpr_dispatch_id 0
		.amdhsa_user_sgpr_kernarg_preload_length 0
		.amdhsa_user_sgpr_kernarg_preload_offset 0
		.amdhsa_user_sgpr_private_segment_size 0
		.amdhsa_uses_dynamic_stack 0
		.amdhsa_enable_private_segment 0
		.amdhsa_system_sgpr_workgroup_id_x 1
		.amdhsa_system_sgpr_workgroup_id_y 1
		.amdhsa_system_sgpr_workgroup_id_z 0
		.amdhsa_system_sgpr_workgroup_info 0
		.amdhsa_system_vgpr_workitem_id 0
		.amdhsa_next_free_vgpr 22
		.amdhsa_next_free_sgpr 13
		.amdhsa_accum_offset 24
		.amdhsa_reserve_vcc 1
		.amdhsa_float_round_mode_32 0
		.amdhsa_float_round_mode_16_64 0
		.amdhsa_float_denorm_mode_32 3
		.amdhsa_float_denorm_mode_16_64 3
		.amdhsa_dx10_clamp 1
		.amdhsa_ieee_mode 1
		.amdhsa_fp16_overflow 0
		.amdhsa_tg_split 0
		.amdhsa_exception_fp_ieee_invalid_op 0
		.amdhsa_exception_fp_denorm_src 0
		.amdhsa_exception_fp_ieee_div_zero 0
		.amdhsa_exception_fp_ieee_overflow 0
		.amdhsa_exception_fp_ieee_underflow 0
		.amdhsa_exception_fp_ieee_inexact 0
		.amdhsa_exception_int_div_zero 0
	.end_amdhsa_kernel
	.section	.text._ZN9rocsparseL39gtsv_spike_backward_substitution_kernelILj256ELj16EdEEviiiPT1_PKS1_S4_,"axG",@progbits,_ZN9rocsparseL39gtsv_spike_backward_substitution_kernelILj256ELj16EdEEviiiPT1_PKS1_S4_,comdat
.Lfunc_end136:
	.size	_ZN9rocsparseL39gtsv_spike_backward_substitution_kernelILj256ELj16EdEEviiiPT1_PKS1_S4_, .Lfunc_end136-_ZN9rocsparseL39gtsv_spike_backward_substitution_kernelILj256ELj16EdEEviiiPT1_PKS1_S4_
                                        ; -- End function
	.set _ZN9rocsparseL39gtsv_spike_backward_substitution_kernelILj256ELj16EdEEviiiPT1_PKS1_S4_.num_vgpr, 22
	.set _ZN9rocsparseL39gtsv_spike_backward_substitution_kernelILj256ELj16EdEEviiiPT1_PKS1_S4_.num_agpr, 0
	.set _ZN9rocsparseL39gtsv_spike_backward_substitution_kernelILj256ELj16EdEEviiiPT1_PKS1_S4_.numbered_sgpr, 13
	.set _ZN9rocsparseL39gtsv_spike_backward_substitution_kernelILj256ELj16EdEEviiiPT1_PKS1_S4_.num_named_barrier, 0
	.set _ZN9rocsparseL39gtsv_spike_backward_substitution_kernelILj256ELj16EdEEviiiPT1_PKS1_S4_.private_seg_size, 0
	.set _ZN9rocsparseL39gtsv_spike_backward_substitution_kernelILj256ELj16EdEEviiiPT1_PKS1_S4_.uses_vcc, 1
	.set _ZN9rocsparseL39gtsv_spike_backward_substitution_kernelILj256ELj16EdEEviiiPT1_PKS1_S4_.uses_flat_scratch, 0
	.set _ZN9rocsparseL39gtsv_spike_backward_substitution_kernelILj256ELj16EdEEviiiPT1_PKS1_S4_.has_dyn_sized_stack, 0
	.set _ZN9rocsparseL39gtsv_spike_backward_substitution_kernelILj256ELj16EdEEviiiPT1_PKS1_S4_.has_recursion, 0
	.set _ZN9rocsparseL39gtsv_spike_backward_substitution_kernelILj256ELj16EdEEviiiPT1_PKS1_S4_.has_indirect_call, 0
	.section	.AMDGPU.csdata,"",@progbits
; Kernel info:
; codeLenInByte = 1708
; TotalNumSgprs: 19
; NumVgprs: 22
; NumAgprs: 0
; TotalNumVgprs: 22
; ScratchSize: 0
; MemoryBound: 0
; FloatMode: 240
; IeeeMode: 1
; LDSByteSize: 0 bytes/workgroup (compile time only)
; SGPRBlocks: 2
; VGPRBlocks: 2
; NumSGPRsForWavesPerEU: 19
; NumVGPRsForWavesPerEU: 22
; AccumOffset: 24
; Occupancy: 8
; WaveLimiterHint : 0
; COMPUTE_PGM_RSRC2:SCRATCH_EN: 0
; COMPUTE_PGM_RSRC2:USER_SGPR: 2
; COMPUTE_PGM_RSRC2:TRAP_HANDLER: 0
; COMPUTE_PGM_RSRC2:TGID_X_EN: 1
; COMPUTE_PGM_RSRC2:TGID_Y_EN: 1
; COMPUTE_PGM_RSRC2:TGID_Z_EN: 0
; COMPUTE_PGM_RSRC2:TIDIG_COMP_CNT: 0
; COMPUTE_PGM_RSRC3_GFX90A:ACCUM_OFFSET: 5
; COMPUTE_PGM_RSRC3_GFX90A:TG_SPLIT: 0
	.section	.text._ZN9rocsparseL32gtsv_transpose_back_array_kernelILj256ELj16EdEEviiiPKT1_PS1_,"axG",@progbits,_ZN9rocsparseL32gtsv_transpose_back_array_kernelILj256ELj16EdEEviiiPKT1_PS1_,comdat
	.globl	_ZN9rocsparseL32gtsv_transpose_back_array_kernelILj256ELj16EdEEviiiPKT1_PS1_ ; -- Begin function _ZN9rocsparseL32gtsv_transpose_back_array_kernelILj256ELj16EdEEviiiPKT1_PS1_
	.p2align	8
	.type	_ZN9rocsparseL32gtsv_transpose_back_array_kernelILj256ELj16EdEEviiiPKT1_PS1_,@function
_ZN9rocsparseL32gtsv_transpose_back_array_kernelILj256ELj16EdEEviiiPKT1_PS1_: ; @_ZN9rocsparseL32gtsv_transpose_back_array_kernelILj256ELj16EdEEviiiPKT1_PS1_
; %bb.0:
	s_load_dwordx4 s[4:7], s[0:1], 0x0
	v_lshl_or_b32 v0, s2, 8, v0
	v_lshlrev_b32_e32 v2, 4, v0
	s_waitcnt lgkmcnt(0)
	v_cvt_f32_u32_e32 v1, s5
	s_sub_i32 s2, 0, s5
	v_rcp_iflag_f32_e32 v1, v1
	s_nop 0
	v_mul_f32_e32 v1, 0x4f7ffffe, v1
	v_cvt_u32_f32_e32 v1, v1
	v_mul_lo_u32 v3, s2, v1
	v_mul_hi_u32 v3, v1, v3
	v_add_u32_e32 v1, v1, v3
	v_mul_hi_u32 v1, v2, v1
	v_mul_lo_u32 v3, v1, s5
	v_sub_u32_e32 v3, v2, v3
	v_add_u32_e32 v4, 1, v1
	v_cmp_le_u32_e32 vcc, s5, v3
	s_nop 1
	v_cndmask_b32_e32 v1, v1, v4, vcc
	v_subrev_u32_e32 v4, s5, v3
	v_cndmask_b32_e32 v3, v3, v4, vcc
	v_add_u32_e32 v4, 1, v1
	v_cmp_le_u32_e32 vcc, s5, v3
	s_nop 1
	v_cndmask_b32_e32 v1, v1, v4, vcc
	v_mul_lo_u32 v3, v1, s5
	v_sub_u32_e32 v2, v2, v3
	v_add_u32_e32 v1, v1, v2
	v_cmp_gt_i32_e32 vcc, s4, v1
	s_and_saveexec_b64 s[8:9], vcc
	s_cbranch_execz .LBB137_2
; %bb.1:
	s_load_dwordx4 s[8:11], s[0:1], 0x10
	s_mul_i32 s0, s5, s3
	v_add_u32_e32 v2, s0, v0
	v_ashrrev_i32_e32 v3, 31, v2
	s_mul_i32 s0, s6, s3
	s_waitcnt lgkmcnt(0)
	v_lshl_add_u64 v[2:3], v[2:3], 3, s[8:9]
	global_load_dwordx2 v[2:3], v[2:3], off
	v_add_u32_e32 v0, s0, v1
	v_ashrrev_i32_e32 v1, 31, v0
	v_lshl_add_u64 v[0:1], v[0:1], 3, s[10:11]
	s_waitcnt vmcnt(0)
	global_store_dwordx2 v[0:1], v[2:3], off
.LBB137_2:
	s_endpgm
	.section	.rodata,"a",@progbits
	.p2align	6, 0x0
	.amdhsa_kernel _ZN9rocsparseL32gtsv_transpose_back_array_kernelILj256ELj16EdEEviiiPKT1_PS1_
		.amdhsa_group_segment_fixed_size 0
		.amdhsa_private_segment_fixed_size 0
		.amdhsa_kernarg_size 32
		.amdhsa_user_sgpr_count 2
		.amdhsa_user_sgpr_dispatch_ptr 0
		.amdhsa_user_sgpr_queue_ptr 0
		.amdhsa_user_sgpr_kernarg_segment_ptr 1
		.amdhsa_user_sgpr_dispatch_id 0
		.amdhsa_user_sgpr_kernarg_preload_length 0
		.amdhsa_user_sgpr_kernarg_preload_offset 0
		.amdhsa_user_sgpr_private_segment_size 0
		.amdhsa_uses_dynamic_stack 0
		.amdhsa_enable_private_segment 0
		.amdhsa_system_sgpr_workgroup_id_x 1
		.amdhsa_system_sgpr_workgroup_id_y 1
		.amdhsa_system_sgpr_workgroup_id_z 0
		.amdhsa_system_sgpr_workgroup_info 0
		.amdhsa_system_vgpr_workitem_id 0
		.amdhsa_next_free_vgpr 5
		.amdhsa_next_free_sgpr 12
		.amdhsa_accum_offset 8
		.amdhsa_reserve_vcc 1
		.amdhsa_float_round_mode_32 0
		.amdhsa_float_round_mode_16_64 0
		.amdhsa_float_denorm_mode_32 3
		.amdhsa_float_denorm_mode_16_64 3
		.amdhsa_dx10_clamp 1
		.amdhsa_ieee_mode 1
		.amdhsa_fp16_overflow 0
		.amdhsa_tg_split 0
		.amdhsa_exception_fp_ieee_invalid_op 0
		.amdhsa_exception_fp_denorm_src 0
		.amdhsa_exception_fp_ieee_div_zero 0
		.amdhsa_exception_fp_ieee_overflow 0
		.amdhsa_exception_fp_ieee_underflow 0
		.amdhsa_exception_fp_ieee_inexact 0
		.amdhsa_exception_int_div_zero 0
	.end_amdhsa_kernel
	.section	.text._ZN9rocsparseL32gtsv_transpose_back_array_kernelILj256ELj16EdEEviiiPKT1_PS1_,"axG",@progbits,_ZN9rocsparseL32gtsv_transpose_back_array_kernelILj256ELj16EdEEviiiPKT1_PS1_,comdat
.Lfunc_end137:
	.size	_ZN9rocsparseL32gtsv_transpose_back_array_kernelILj256ELj16EdEEviiiPKT1_PS1_, .Lfunc_end137-_ZN9rocsparseL32gtsv_transpose_back_array_kernelILj256ELj16EdEEviiiPKT1_PS1_
                                        ; -- End function
	.set _ZN9rocsparseL32gtsv_transpose_back_array_kernelILj256ELj16EdEEviiiPKT1_PS1_.num_vgpr, 5
	.set _ZN9rocsparseL32gtsv_transpose_back_array_kernelILj256ELj16EdEEviiiPKT1_PS1_.num_agpr, 0
	.set _ZN9rocsparseL32gtsv_transpose_back_array_kernelILj256ELj16EdEEviiiPKT1_PS1_.numbered_sgpr, 12
	.set _ZN9rocsparseL32gtsv_transpose_back_array_kernelILj256ELj16EdEEviiiPKT1_PS1_.num_named_barrier, 0
	.set _ZN9rocsparseL32gtsv_transpose_back_array_kernelILj256ELj16EdEEviiiPKT1_PS1_.private_seg_size, 0
	.set _ZN9rocsparseL32gtsv_transpose_back_array_kernelILj256ELj16EdEEviiiPKT1_PS1_.uses_vcc, 1
	.set _ZN9rocsparseL32gtsv_transpose_back_array_kernelILj256ELj16EdEEviiiPKT1_PS1_.uses_flat_scratch, 0
	.set _ZN9rocsparseL32gtsv_transpose_back_array_kernelILj256ELj16EdEEviiiPKT1_PS1_.has_dyn_sized_stack, 0
	.set _ZN9rocsparseL32gtsv_transpose_back_array_kernelILj256ELj16EdEEviiiPKT1_PS1_.has_recursion, 0
	.set _ZN9rocsparseL32gtsv_transpose_back_array_kernelILj256ELj16EdEEviiiPKT1_PS1_.has_indirect_call, 0
	.section	.AMDGPU.csdata,"",@progbits
; Kernel info:
; codeLenInByte = 236
; TotalNumSgprs: 18
; NumVgprs: 5
; NumAgprs: 0
; TotalNumVgprs: 5
; ScratchSize: 0
; MemoryBound: 0
; FloatMode: 240
; IeeeMode: 1
; LDSByteSize: 0 bytes/workgroup (compile time only)
; SGPRBlocks: 2
; VGPRBlocks: 0
; NumSGPRsForWavesPerEU: 18
; NumVGPRsForWavesPerEU: 5
; AccumOffset: 8
; Occupancy: 8
; WaveLimiterHint : 0
; COMPUTE_PGM_RSRC2:SCRATCH_EN: 0
; COMPUTE_PGM_RSRC2:USER_SGPR: 2
; COMPUTE_PGM_RSRC2:TRAP_HANDLER: 0
; COMPUTE_PGM_RSRC2:TGID_X_EN: 1
; COMPUTE_PGM_RSRC2:TGID_Y_EN: 1
; COMPUTE_PGM_RSRC2:TGID_Z_EN: 0
; COMPUTE_PGM_RSRC2:TIDIG_COMP_CNT: 0
; COMPUTE_PGM_RSRC3_GFX90A:ACCUM_OFFSET: 1
; COMPUTE_PGM_RSRC3_GFX90A:TG_SPLIT: 0
	.section	.text._ZN9rocsparseL42gtsv_transpose_and_pad_array_shared_kernelILj256ELj32EdEEviiiPKT1_PS1_S1_,"axG",@progbits,_ZN9rocsparseL42gtsv_transpose_and_pad_array_shared_kernelILj256ELj32EdEEviiiPKT1_PS1_S1_,comdat
	.globl	_ZN9rocsparseL42gtsv_transpose_and_pad_array_shared_kernelILj256ELj32EdEEviiiPKT1_PS1_S1_ ; -- Begin function _ZN9rocsparseL42gtsv_transpose_and_pad_array_shared_kernelILj256ELj32EdEEviiiPKT1_PS1_S1_
	.p2align	8
	.type	_ZN9rocsparseL42gtsv_transpose_and_pad_array_shared_kernelILj256ELj32EdEEviiiPKT1_PS1_S1_,@function
_ZN9rocsparseL42gtsv_transpose_and_pad_array_shared_kernelILj256ELj32EdEEviiiPKT1_PS1_S1_: ; @_ZN9rocsparseL42gtsv_transpose_and_pad_array_shared_kernelILj256ELj32EdEEviiiPKT1_PS1_S1_
; %bb.0:
	s_load_dwordx4 s[4:7], s[0:1], 0x0
	s_load_dwordx2 s[8:9], s[0:1], 0x20
	v_lshl_or_b32 v1, s2, 8, v0
	s_waitcnt lgkmcnt(0)
	v_cmp_gt_i32_e32 vcc, s4, v1
	v_mov_b64_e32 v[4:5], s[8:9]
	s_and_saveexec_b64 s[8:9], vcc
	s_cbranch_execz .LBB138_2
; %bb.1:
	s_load_dwordx2 s[10:11], s[0:1], 0x10
	s_mul_i32 s4, s6, s3
	v_add_u32_e32 v2, s4, v1
	v_ashrrev_i32_e32 v3, 31, v2
	s_waitcnt lgkmcnt(0)
	v_lshl_add_u64 v[2:3], v[2:3], 3, s[10:11]
	global_load_dwordx2 v[4:5], v[2:3], off
.LBB138_2:
	s_or_b64 exec, exec, s[8:9]
	v_lshrrev_b32_e32 v2, 3, v0
	v_and_b32_e32 v3, 7, v0
	v_lshlrev_b32_e32 v0, 3, v0
	s_waitcnt vmcnt(0)
	ds_write_b64 v0, v[4:5]
	s_lshr_b32 s4, s5, 5
	v_lshl_or_b32 v0, s2, 3, v3
	v_mad_u64_u32 v[0:1], s[6:7], s4, v2, v[0:1]
	v_cmp_gt_i32_e32 vcc, s5, v0
	s_waitcnt lgkmcnt(0)
	s_barrier
	s_and_saveexec_b64 s[6:7], vcc
	s_cbranch_execz .LBB138_4
; %bb.3:
	v_lshlrev_b32_e32 v1, 3, v2
	s_load_dwordx2 s[0:1], s[0:1], 0x18
	v_lshl_or_b32 v1, v3, 8, v1
	ds_read_b64 v[2:3], v1
	s_mul_i32 s2, s5, s3
	v_add_u32_e32 v0, s2, v0
	v_ashrrev_i32_e32 v1, 31, v0
	s_waitcnt lgkmcnt(0)
	v_lshl_add_u64 v[0:1], v[0:1], 3, s[0:1]
	global_store_dwordx2 v[0:1], v[2:3], off
.LBB138_4:
	s_endpgm
	.section	.rodata,"a",@progbits
	.p2align	6, 0x0
	.amdhsa_kernel _ZN9rocsparseL42gtsv_transpose_and_pad_array_shared_kernelILj256ELj32EdEEviiiPKT1_PS1_S1_
		.amdhsa_group_segment_fixed_size 2048
		.amdhsa_private_segment_fixed_size 0
		.amdhsa_kernarg_size 40
		.amdhsa_user_sgpr_count 2
		.amdhsa_user_sgpr_dispatch_ptr 0
		.amdhsa_user_sgpr_queue_ptr 0
		.amdhsa_user_sgpr_kernarg_segment_ptr 1
		.amdhsa_user_sgpr_dispatch_id 0
		.amdhsa_user_sgpr_kernarg_preload_length 0
		.amdhsa_user_sgpr_kernarg_preload_offset 0
		.amdhsa_user_sgpr_private_segment_size 0
		.amdhsa_uses_dynamic_stack 0
		.amdhsa_enable_private_segment 0
		.amdhsa_system_sgpr_workgroup_id_x 1
		.amdhsa_system_sgpr_workgroup_id_y 1
		.amdhsa_system_sgpr_workgroup_id_z 0
		.amdhsa_system_sgpr_workgroup_info 0
		.amdhsa_system_vgpr_workitem_id 0
		.amdhsa_next_free_vgpr 6
		.amdhsa_next_free_sgpr 12
		.amdhsa_accum_offset 8
		.amdhsa_reserve_vcc 1
		.amdhsa_float_round_mode_32 0
		.amdhsa_float_round_mode_16_64 0
		.amdhsa_float_denorm_mode_32 3
		.amdhsa_float_denorm_mode_16_64 3
		.amdhsa_dx10_clamp 1
		.amdhsa_ieee_mode 1
		.amdhsa_fp16_overflow 0
		.amdhsa_tg_split 0
		.amdhsa_exception_fp_ieee_invalid_op 0
		.amdhsa_exception_fp_denorm_src 0
		.amdhsa_exception_fp_ieee_div_zero 0
		.amdhsa_exception_fp_ieee_overflow 0
		.amdhsa_exception_fp_ieee_underflow 0
		.amdhsa_exception_fp_ieee_inexact 0
		.amdhsa_exception_int_div_zero 0
	.end_amdhsa_kernel
	.section	.text._ZN9rocsparseL42gtsv_transpose_and_pad_array_shared_kernelILj256ELj32EdEEviiiPKT1_PS1_S1_,"axG",@progbits,_ZN9rocsparseL42gtsv_transpose_and_pad_array_shared_kernelILj256ELj32EdEEviiiPKT1_PS1_S1_,comdat
.Lfunc_end138:
	.size	_ZN9rocsparseL42gtsv_transpose_and_pad_array_shared_kernelILj256ELj32EdEEviiiPKT1_PS1_S1_, .Lfunc_end138-_ZN9rocsparseL42gtsv_transpose_and_pad_array_shared_kernelILj256ELj32EdEEviiiPKT1_PS1_S1_
                                        ; -- End function
	.set _ZN9rocsparseL42gtsv_transpose_and_pad_array_shared_kernelILj256ELj32EdEEviiiPKT1_PS1_S1_.num_vgpr, 6
	.set _ZN9rocsparseL42gtsv_transpose_and_pad_array_shared_kernelILj256ELj32EdEEviiiPKT1_PS1_S1_.num_agpr, 0
	.set _ZN9rocsparseL42gtsv_transpose_and_pad_array_shared_kernelILj256ELj32EdEEviiiPKT1_PS1_S1_.numbered_sgpr, 12
	.set _ZN9rocsparseL42gtsv_transpose_and_pad_array_shared_kernelILj256ELj32EdEEviiiPKT1_PS1_S1_.num_named_barrier, 0
	.set _ZN9rocsparseL42gtsv_transpose_and_pad_array_shared_kernelILj256ELj32EdEEviiiPKT1_PS1_S1_.private_seg_size, 0
	.set _ZN9rocsparseL42gtsv_transpose_and_pad_array_shared_kernelILj256ELj32EdEEviiiPKT1_PS1_S1_.uses_vcc, 1
	.set _ZN9rocsparseL42gtsv_transpose_and_pad_array_shared_kernelILj256ELj32EdEEviiiPKT1_PS1_S1_.uses_flat_scratch, 0
	.set _ZN9rocsparseL42gtsv_transpose_and_pad_array_shared_kernelILj256ELj32EdEEviiiPKT1_PS1_S1_.has_dyn_sized_stack, 0
	.set _ZN9rocsparseL42gtsv_transpose_and_pad_array_shared_kernelILj256ELj32EdEEviiiPKT1_PS1_S1_.has_recursion, 0
	.set _ZN9rocsparseL42gtsv_transpose_and_pad_array_shared_kernelILj256ELj32EdEEviiiPKT1_PS1_S1_.has_indirect_call, 0
	.section	.AMDGPU.csdata,"",@progbits
; Kernel info:
; codeLenInByte = 216
; TotalNumSgprs: 18
; NumVgprs: 6
; NumAgprs: 0
; TotalNumVgprs: 6
; ScratchSize: 0
; MemoryBound: 0
; FloatMode: 240
; IeeeMode: 1
; LDSByteSize: 2048 bytes/workgroup (compile time only)
; SGPRBlocks: 2
; VGPRBlocks: 0
; NumSGPRsForWavesPerEU: 18
; NumVGPRsForWavesPerEU: 6
; AccumOffset: 8
; Occupancy: 8
; WaveLimiterHint : 0
; COMPUTE_PGM_RSRC2:SCRATCH_EN: 0
; COMPUTE_PGM_RSRC2:USER_SGPR: 2
; COMPUTE_PGM_RSRC2:TRAP_HANDLER: 0
; COMPUTE_PGM_RSRC2:TGID_X_EN: 1
; COMPUTE_PGM_RSRC2:TGID_Y_EN: 1
; COMPUTE_PGM_RSRC2:TGID_Z_EN: 0
; COMPUTE_PGM_RSRC2:TIDIG_COMP_CNT: 0
; COMPUTE_PGM_RSRC3_GFX90A:ACCUM_OFFSET: 1
; COMPUTE_PGM_RSRC3_GFX90A:TG_SPLIT: 0
	.section	.text._ZN9rocsparseL18gtsv_LBM_wv_kernelILj256ELj32EdEEviiiPKT1_S3_S3_PS1_S4_S4_Pi,"axG",@progbits,_ZN9rocsparseL18gtsv_LBM_wv_kernelILj256ELj32EdEEviiiPKT1_S3_S3_PS1_S4_S4_Pi,comdat
	.globl	_ZN9rocsparseL18gtsv_LBM_wv_kernelILj256ELj32EdEEviiiPKT1_S3_S3_PS1_S4_S4_Pi ; -- Begin function _ZN9rocsparseL18gtsv_LBM_wv_kernelILj256ELj32EdEEviiiPKT1_S3_S3_PS1_S4_S4_Pi
	.p2align	8
	.type	_ZN9rocsparseL18gtsv_LBM_wv_kernelILj256ELj32EdEEviiiPKT1_S3_S3_PS1_S4_S4_Pi,@function
_ZN9rocsparseL18gtsv_LBM_wv_kernelILj256ELj32EdEEviiiPKT1_S3_S3_PS1_S4_S4_Pi: ; @_ZN9rocsparseL18gtsv_LBM_wv_kernelILj256ELj32EdEEviiiPKT1_S3_S3_PS1_S4_S4_Pi
; %bb.0:
	s_load_dword s27, s[0:1], 0x0
	v_lshl_or_b32 v0, s2, 8, v0
	s_waitcnt lgkmcnt(0)
	s_lshr_b32 s26, s27, 5
	v_cmp_gt_i32_e32 vcc, s26, v0
	s_and_saveexec_b64 s[2:3], vcc
	s_cbranch_execz .LBB139_30
; %bb.1:
	s_load_dwordx2 s[16:17], s[0:1], 0x10
	s_load_dwordx8 s[8:15], s[0:1], 0x20
	v_ashrrev_i32_e32 v1, 31, v0
	s_mul_i32 s28, s26, 31
	v_lshlrev_b64 v[2:3], 3, v[0:1]
	v_add_u32_e32 v6, s28, v0
	v_mov_b32_e32 v7, 0
	s_waitcnt lgkmcnt(0)
	v_lshl_add_u64 v[4:5], s[16:17], 0, v[2:3]
	v_lshlrev_b64 v[8:9], 3, v[6:7]
	global_load_dwordx2 v[4:5], v[4:5], off
	v_lshl_add_u64 v[10:11], s[8:9], 0, v[8:9]
	global_load_dwordx2 v[10:11], v[10:11], off
	s_load_dwordx2 s[6:7], s[0:1], 0x40
	v_lshl_add_u64 v[2:3], s[10:11], 0, v[2:3]
	s_cmp_lt_i32 s27, 1
	v_add_u32_e32 v36, s26, v0
	v_lshl_add_u64 v[8:9], s[12:13], 0, v[8:9]
	s_waitcnt vmcnt(1)
	global_store_dwordx2 v[2:3], v[4:5], off
	s_waitcnt vmcnt(1)
	global_store_dwordx2 v[8:9], v[10:11], off
	v_mov_b32_e32 v4, v7
	s_cbranch_scc1 .LBB139_23
; %bb.2:
	s_load_dwordx2 s[18:19], s[0:1], 0x18
	s_mov_b32 s22, 0x372fe950
	s_mul_i32 s29, s26, 30
	s_lshl_b32 s30, s26, 1
	s_mov_b64 s[20:21], 0
	s_waitcnt lgkmcnt(0)
	v_lshl_add_u64 v[4:5], v[0:1], 3, s[18:19]
	global_load_dwordx2 v[6:7], v[4:5], off
	v_add_u32_e32 v1, s26, v36
	v_mov_b32_e32 v4, 0
	s_mov_b32 s23, 0x3fe3c6ef
	v_mov_b32_e32 v37, 2
	v_mov_b32_e32 v38, 1
	s_branch .LBB139_5
.LBB139_3:                              ;   in Loop: Header=BB139_5 Depth=1
	s_or_b64 exec, exec, s[4:5]
	v_fma_f64 v[6:7], -v[6:7], v[20:21], v[10:11]
	v_mov_b32_e32 v5, s26
.LBB139_4:                              ;   in Loop: Header=BB139_5 Depth=1
	s_or_b64 exec, exec, s[2:3]
	v_add_u32_e32 v4, v5, v4
	v_cmp_le_i32_e32 vcc, s27, v4
	s_or_b64 s[20:21], vcc, s[20:21]
	s_andn2_b64 exec, exec, s[20:21]
	s_cbranch_execz .LBB139_22
.LBB139_5:                              ; =>This Inner Loop Header: Depth=1
	v_add_u32_e32 v14, v4, v0
	v_ashrrev_i32_e32 v15, 31, v14
	v_lshl_add_u64 v[8:9], v[14:15], 3, s[8:9]
	global_load_dwordx2 v[12:13], v[8:9], off
	v_cmp_gt_u32_e64 s[0:1], s28, v4
	v_mov_b64_e32 v[10:11], 0
	v_mov_b64_e32 v[8:9], 0
	s_and_saveexec_b64 s[2:3], s[0:1]
	s_cbranch_execz .LBB139_7
; %bb.6:                                ;   in Loop: Header=BB139_5 Depth=1
	v_add_u32_e32 v8, v36, v4
	v_ashrrev_i32_e32 v9, 31, v8
	v_lshl_add_u64 v[8:9], v[8:9], 3, s[16:17]
	global_load_dwordx2 v[8:9], v[8:9], off
.LBB139_7:                              ;   in Loop: Header=BB139_5 Depth=1
	s_or_b64 exec, exec, s[2:3]
	s_and_saveexec_b64 s[2:3], s[0:1]
	s_cbranch_execz .LBB139_9
; %bb.8:                                ;   in Loop: Header=BB139_5 Depth=1
	v_add_u32_e32 v10, v36, v4
	v_ashrrev_i32_e32 v11, 31, v10
	v_lshl_add_u64 v[10:11], v[10:11], 3, s[18:19]
	global_load_dwordx2 v[10:11], v[10:11], off
.LBB139_9:                              ;   in Loop: Header=BB139_5 Depth=1
	s_or_b64 exec, exec, s[2:3]
	v_mov_b64_e32 v[18:19], 0
	v_mov_b64_e32 v[16:17], 0
	s_and_saveexec_b64 s[2:3], s[0:1]
	s_cbranch_execz .LBB139_11
; %bb.10:                               ;   in Loop: Header=BB139_5 Depth=1
	v_add_u32_e32 v16, v36, v4
	v_ashrrev_i32_e32 v17, 31, v16
	v_lshl_add_u64 v[16:17], v[16:17], 3, s[8:9]
	global_load_dwordx2 v[16:17], v[16:17], off
.LBB139_11:                             ;   in Loop: Header=BB139_5 Depth=1
	s_or_b64 exec, exec, s[2:3]
	v_cmp_gt_u32_e64 s[2:3], s29, v4
	s_and_saveexec_b64 s[4:5], s[2:3]
	s_cbranch_execz .LBB139_13
; %bb.12:                               ;   in Loop: Header=BB139_5 Depth=1
	v_add_u32_e32 v18, v1, v4
	v_ashrrev_i32_e32 v19, 31, v18
	v_lshl_add_u64 v[18:19], v[18:19], 3, s[16:17]
	global_load_dwordx2 v[18:19], v[18:19], off
.LBB139_13:                             ;   in Loop: Header=BB139_5 Depth=1
	s_or_b64 exec, exec, s[4:5]
	s_waitcnt vmcnt(0)
	v_xor_b32_e32 v5, 0x80000000, v9
	v_cmp_gt_f64_e32 vcc, 0, v[8:9]
	v_mov_b32_e32 v20, v8
	v_mov_b32_e32 v22, v18
	v_cndmask_b32_e32 v21, v9, v5, vcc
	v_xor_b32_e32 v5, 0x80000000, v19
	v_cmp_gt_f64_e32 vcc, 0, v[18:19]
	v_cmp_ne_u32_e64 s[4:5], s28, v4
	s_nop 0
	v_cndmask_b32_e32 v23, v19, v5, vcc
	v_cmp_lt_f64_e32 vcc, v[20:21], v[22:23]
	v_xor_b32_e32 v5, 0x80000000, v11
	v_mov_b32_e32 v22, v10
	v_cndmask_b32_e32 v21, v21, v23, vcc
	v_cndmask_b32_e32 v20, v8, v18, vcc
	v_cmp_gt_f64_e32 vcc, 0, v[10:11]
	s_nop 1
	v_cndmask_b32_e32 v23, v11, v5, vcc
	v_cmp_lt_f64_e32 vcc, v[22:23], v[20:21]
	v_xor_b32_e32 v5, 0x80000000, v13
	v_mov_b32_e32 v22, v12
	v_cndmask_b32_e32 v21, v23, v21, vcc
	v_cndmask_b32_e32 v20, v10, v20, vcc
	v_cmp_gt_f64_e32 vcc, 0, v[12:13]
	;; [unrolled: 8-line block ×4, first 2 shown]
	s_nop 1
	v_cndmask_b32_e32 v23, v7, v5, vcc
	v_mul_f64 v[22:23], v[22:23], v[20:21]
	v_mul_f64 v[20:21], v[12:13], v[8:9]
	v_xor_b32_e32 v5, 0x80000000, v21
	v_cmp_gt_f64_e32 vcc, 0, v[20:21]
	v_mov_b32_e32 v24, v20
	s_nop 0
	v_cndmask_b32_e32 v25, v21, v5, vcc
	v_mul_f64 v[24:25], v[24:25], s[22:23]
	v_cmp_nge_f64_e32 vcc, v[22:23], v[24:25]
	s_and_b64 s[4:5], s[4:5], vcc
	s_and_saveexec_b64 s[24:25], s[4:5]
	s_xor_b64 s[4:5], exec, s[24:25]
	s_cbranch_execz .LBB139_19
; %bb.14:                               ;   in Loop: Header=BB139_5 Depth=1
	v_add_u32_e32 v26, v36, v4
	v_ashrrev_i32_e32 v27, 31, v26
	v_lshlrev_b64 v[30:31], 3, v[26:27]
	v_ashrrev_i32_e32 v5, 31, v4
	v_lshl_add_u64 v[28:29], s[10:11], 0, v[30:31]
	v_lshl_add_u64 v[40:41], v[4:5], 3, v[2:3]
	global_load_dwordx2 v[24:25], v[28:29], off
	v_lshlrev_b64 v[42:43], 3, v[14:15]
	v_lshl_add_u64 v[30:31], s[12:13], 0, v[30:31]
	global_load_dwordx2 v[22:23], v[40:41], off
	global_load_dwordx2 v[32:33], v[30:31], off
	v_lshl_add_u64 v[44:45], s[12:13], 0, v[42:43]
	global_load_dwordx2 v[34:35], v[44:45], off
	v_fma_f64 v[20:21], v[6:7], v[10:11], -v[20:21]
	v_lshl_add_u64 v[48:49], v[14:15], 2, s[6:7]
	v_div_scale_f64 v[14:15], s[24:25], v[20:21], v[20:21], 1.0
	v_rcp_f64_e32 v[50:51], v[14:15]
	v_div_scale_f64 v[52:53], vcc, 1.0, v[20:21], 1.0
	v_mul_f64 v[46:47], v[16:17], -v[12:13]
	v_fma_f64 v[54:55], -v[14:15], v[50:51], 1.0
	v_fmac_f64_e32 v[50:51], v[50:51], v[54:55]
	v_fma_f64 v[54:55], -v[14:15], v[50:51], 1.0
	v_fmac_f64_e32 v[50:51], v[50:51], v[54:55]
	v_mul_f64 v[54:55], v[52:53], v[50:51]
	v_fma_f64 v[14:15], -v[14:15], v[54:55], v[52:53]
	v_div_fmas_f64 v[14:15], v[14:15], v[50:51], v[54:55]
	v_div_fixup_f64 v[14:15], v[14:15], v[20:21], 1.0
	v_lshl_add_u64 v[42:43], s[14:15], 0, v[42:43]
	v_mul_f64 v[20:21], v[14:15], v[46:47]
	global_store_dwordx2 v[42:43], v[20:21], off
	s_waitcnt vmcnt(4)
	v_mul_f64 v[20:21], v[12:13], v[24:25]
	s_waitcnt vmcnt(3)
	v_fma_f64 v[20:21], v[10:11], v[22:23], -v[20:21]
	s_waitcnt vmcnt(2)
	v_mul_f64 v[12:13], v[12:13], v[32:33]
	s_waitcnt vmcnt(1)
	v_fma_f64 v[10:11], v[10:11], v[34:35], -v[12:13]
	v_mul_f64 v[12:13], v[14:15], v[20:21]
	v_mul_f64 v[10:11], v[14:15], v[10:11]
	global_store_dwordx2 v[40:41], v[12:13], off
	global_store_dwordx2 v[44:45], v[10:11], off
	global_store_dword v[48:49], v37, off
	s_and_saveexec_b64 s[24:25], s[0:1]
	s_cbranch_execz .LBB139_16
; %bb.15:                               ;   in Loop: Header=BB139_5 Depth=1
	v_mul_f64 v[10:11], v[8:9], v[22:23]
	v_fma_f64 v[10:11], v[6:7], v[24:25], -v[10:11]
	v_mul_f64 v[10:11], v[14:15], v[10:11]
	global_store_dwordx2 v[28:29], v[10:11], off
	v_mul_f64 v[10:11], v[8:9], v[34:35]
	v_fma_f64 v[10:11], v[6:7], v[32:33], -v[10:11]
	v_mul_f64 v[10:11], v[14:15], v[10:11]
	global_store_dwordx2 v[30:31], v[10:11], off
	v_mul_f64 v[10:11], v[6:7], v[16:17]
	v_mul_f64 v[10:11], v[14:15], v[10:11]
	v_lshl_add_u64 v[12:13], v[26:27], 3, s[14:15]
	global_store_dwordx2 v[12:13], v[10:11], off
	v_lshl_add_u64 v[10:11], v[26:27], 2, s[6:7]
	global_store_dword v[10:11], v37, off
.LBB139_16:                             ;   in Loop: Header=BB139_5 Depth=1
	s_or_b64 exec, exec, s[24:25]
	v_mov_b64_e32 v[10:11], 0
	s_and_saveexec_b64 s[24:25], s[2:3]
	s_cbranch_execz .LBB139_18
; %bb.17:                               ;   in Loop: Header=BB139_5 Depth=1
	v_add_u32_e32 v10, v1, v4
	v_ashrrev_i32_e32 v11, 31, v10
	v_lshlrev_b64 v[10:11], 3, v[10:11]
	v_lshl_add_u64 v[12:13], s[10:11], 0, v[10:11]
	v_lshl_add_u64 v[10:11], s[18:19], 0, v[10:11]
	global_load_dwordx2 v[20:21], v[12:13], off
	v_mul_f64 v[6:7], v[6:7], v[18:19]
	global_load_dwordx2 v[10:11], v[10:11], off
	v_mul_f64 v[8:9], v[18:19], v[8:9]
	v_mul_f64 v[18:19], v[14:15], v[6:7]
	;; [unrolled: 1-line block ×5, first 2 shown]
	v_fma_f64 v[8:9], v[8:9], v[22:23], -v[16:17]
	s_waitcnt vmcnt(1)
	v_add_f64 v[8:9], v[8:9], v[20:21]
	global_store_dwordx2 v[12:13], v[8:9], off
	s_waitcnt vmcnt(1)
	v_fma_f64 v[10:11], -v[14:15], v[6:7], v[10:11]
.LBB139_18:                             ;   in Loop: Header=BB139_5 Depth=1
	s_or_b64 exec, exec, s[24:25]
	v_mov_b64_e32 v[6:7], v[10:11]
                                        ; implicit-def: $vgpr20_vgpr21
                                        ; implicit-def: $vgpr10_vgpr11
                                        ; implicit-def: $vgpr12_vgpr13
                                        ; implicit-def: $vgpr14_vgpr15
                                        ; implicit-def: $vgpr8_vgpr9
.LBB139_19:                             ;   in Loop: Header=BB139_5 Depth=1
	s_or_saveexec_b64 s[2:3], s[4:5]
	v_mov_b32_e32 v5, s30
	s_xor_b64 exec, exec, s[2:3]
	s_cbranch_execz .LBB139_4
; %bb.20:                               ;   in Loop: Header=BB139_5 Depth=1
	v_ashrrev_i32_e32 v5, 31, v4
	v_lshl_add_u64 v[18:19], v[4:5], 3, v[2:3]
	v_lshlrev_b64 v[22:23], 3, v[14:15]
	global_load_dwordx2 v[16:17], v[18:19], off
	v_lshl_add_u64 v[24:25], s[12:13], 0, v[22:23]
	global_load_dwordx2 v[26:27], v[24:25], off
	v_div_scale_f64 v[28:29], s[4:5], v[6:7], v[6:7], 1.0
	v_rcp_f64_e32 v[30:31], v[28:29]
	v_div_scale_f64 v[32:33], vcc, 1.0, v[6:7], 1.0
	v_lshl_add_u64 v[22:23], s[14:15], 0, v[22:23]
	v_fma_f64 v[34:35], -v[28:29], v[30:31], 1.0
	v_fmac_f64_e32 v[30:31], v[30:31], v[34:35]
	v_fma_f64 v[34:35], -v[28:29], v[30:31], 1.0
	v_fmac_f64_e32 v[30:31], v[30:31], v[34:35]
	v_mul_f64 v[34:35], v[32:33], v[30:31]
	v_fma_f64 v[28:29], -v[28:29], v[34:35], v[32:33]
	v_div_fmas_f64 v[28:29], v[28:29], v[30:31], v[34:35]
	v_div_fixup_f64 v[6:7], v[28:29], v[6:7], 1.0
	v_mul_f64 v[12:13], v[6:7], v[12:13]
	global_store_dwordx2 v[22:23], v[12:13], off
	v_lshl_add_u64 v[14:15], v[14:15], 2, s[6:7]
	s_waitcnt vmcnt(2)
	v_mul_f64 v[12:13], v[6:7], v[16:17]
	s_waitcnt vmcnt(1)
	v_mul_f64 v[22:23], v[6:7], v[26:27]
	global_store_dwordx2 v[18:19], v[12:13], off
	global_store_dwordx2 v[24:25], v[22:23], off
	global_store_dword v[14:15], v38, off
	s_and_saveexec_b64 s[4:5], s[0:1]
	s_cbranch_execz .LBB139_3
; %bb.21:                               ;   in Loop: Header=BB139_5 Depth=1
	v_add_u32_e32 v12, v36, v4
	v_ashrrev_i32_e32 v13, 31, v12
	v_lshl_add_u64 v[12:13], v[12:13], 3, s[10:11]
	global_load_dwordx2 v[14:15], v[12:13], off
	v_mul_f64 v[8:9], v[8:9], v[6:7]
	s_waitcnt vmcnt(0)
	v_fma_f64 v[8:9], -v[8:9], v[16:17], v[14:15]
	global_store_dwordx2 v[12:13], v[8:9], off
	s_branch .LBB139_3
.LBB139_22:
	s_or_b64 exec, exec, s[20:21]
.LBB139_23:
	v_subrev_u32_e32 v1, s26, v4
	v_add_u32_e32 v4, v1, v0
	v_ashrrev_i32_e32 v5, 31, v4
	s_waitcnt lgkmcnt(0)
	v_lshl_add_u64 v[4:5], v[4:5], 2, s[6:7]
	buffer_wbl2 sc1
	s_waitcnt vmcnt(0)
	buffer_inv sc1
	global_load_dword v4, v[4:5], off
	s_waitcnt vmcnt(0)
	v_mul_lo_u32 v4, v4, s26
	v_sub_u32_e32 v4, v1, v4
	v_cmp_lt_i32_e32 vcc, -1, v4
	s_and_b64 exec, exec, vcc
	s_cbranch_execz .LBB139_30
; %bb.24:
	v_subrev_u32_e32 v1, s26, v0
	s_lshl_b32 s4, s26, 1
	s_mov_b64 s[0:1], 0
	s_branch .LBB139_26
.LBB139_25:                             ;   in Loop: Header=BB139_26 Depth=1
	s_or_b64 exec, exec, s[2:3]
	v_sub_u32_e32 v4, v4, v5
	v_cmp_gt_i32_e32 vcc, 0, v4
	s_or_b64 s[0:1], vcc, s[0:1]
	s_andn2_b64 exec, exec, s[0:1]
	s_cbranch_execz .LBB139_30
.LBB139_26:                             ; =>This Inner Loop Header: Depth=1
	v_add_u32_e32 v8, v4, v0
	v_ashrrev_i32_e32 v9, 31, v8
	s_waitcnt vmcnt(0)
	v_lshl_add_u64 v[6:7], v[8:9], 2, s[6:7]
	global_load_dword v5, v[6:7], off
	v_lshl_add_u64 v[6:7], v[8:9], 3, s[14:15]
	global_load_dwordx2 v[6:7], v[6:7], off
	s_waitcnt vmcnt(1)
	v_cmp_ne_u32_e32 vcc, 1, v5
	s_and_saveexec_b64 s[2:3], vcc
	s_xor_b64 s[2:3], exec, s[2:3]
	s_cbranch_execz .LBB139_28
; %bb.27:                               ;   in Loop: Header=BB139_26 Depth=1
	v_add_u32_e32 v10, v36, v4
	v_ashrrev_i32_e32 v11, 31, v10
	v_lshlrev_b64 v[10:11], 3, v[10:11]
	v_lshl_add_u64 v[12:13], s[10:11], 0, v[10:11]
	v_ashrrev_i32_e32 v5, 31, v4
	v_lshl_add_u64 v[14:15], v[4:5], 3, v[2:3]
	global_load_dwordx2 v[16:17], v[12:13], off
	global_load_dwordx2 v[18:19], v[14:15], off
	v_lshl_add_u64 v[10:11], s[12:13], 0, v[10:11]
	v_lshl_add_u64 v[8:9], v[8:9], 3, s[12:13]
	global_load_dwordx2 v[20:21], v[10:11], off
	global_load_dwordx2 v[22:23], v[8:9], off
	v_add_u32_e32 v24, v1, v4
	v_ashrrev_i32_e32 v25, 31, v24
	v_lshlrev_b64 v[24:25], 3, v[24:25]
	v_lshl_add_u64 v[26:27], s[14:15], 0, v[24:25]
	global_load_dwordx2 v[26:27], v[26:27], off
	v_lshl_add_u64 v[28:29], s[10:11], 0, v[24:25]
	v_lshl_add_u64 v[24:25], s[12:13], 0, v[24:25]
	s_waitcnt vmcnt(3)
	v_fma_f64 v[16:17], -v[6:7], v[16:17], v[18:19]
	s_waitcnt vmcnt(1)
	v_fma_f64 v[6:7], -v[6:7], v[20:21], v[22:23]
	global_store_dwordx2 v[14:15], v[16:17], off
	global_store_dwordx2 v[8:9], v[6:7], off
	global_load_dwordx2 v[6:7], v[12:13], off
	s_nop 0
	global_load_dwordx2 v[8:9], v[28:29], off
	global_load_dwordx2 v[14:15], v[10:11], off
	;; [unrolled: 1-line block ×3, first 2 shown]
	s_waitcnt vmcnt(2)
	v_fma_f64 v[6:7], -v[26:27], v[6:7], v[8:9]
	s_waitcnt vmcnt(0)
	v_fma_f64 v[8:9], -v[26:27], v[14:15], v[16:17]
	global_store_dwordx2 v[28:29], v[6:7], off
	global_store_dwordx2 v[24:25], v[8:9], off
                                        ; implicit-def: $vgpr6_vgpr7
                                        ; implicit-def: $vgpr8_vgpr9
.LBB139_28:                             ;   in Loop: Header=BB139_26 Depth=1
	s_or_saveexec_b64 s[2:3], s[2:3]
	v_mov_b32_e32 v5, s4
	s_xor_b64 exec, exec, s[2:3]
	s_cbranch_execz .LBB139_25
; %bb.29:                               ;   in Loop: Header=BB139_26 Depth=1
	v_add_u32_e32 v10, v36, v4
	v_ashrrev_i32_e32 v11, 31, v10
	v_lshlrev_b64 v[10:11], 3, v[10:11]
	v_lshl_add_u64 v[12:13], s[10:11], 0, v[10:11]
	v_ashrrev_i32_e32 v5, 31, v4
	v_lshl_add_u64 v[14:15], v[4:5], 3, v[2:3]
	global_load_dwordx2 v[16:17], v[12:13], off
	global_load_dwordx2 v[18:19], v[14:15], off
	v_lshl_add_u64 v[10:11], s[12:13], 0, v[10:11]
	v_lshl_add_u64 v[8:9], v[8:9], 3, s[12:13]
	global_load_dwordx2 v[12:13], v[10:11], off
	global_load_dwordx2 v[20:21], v[8:9], off
	v_mov_b32_e32 v5, s26
	s_waitcnt vmcnt(2)
	v_fma_f64 v[10:11], -v[6:7], v[16:17], v[18:19]
	s_waitcnt vmcnt(0)
	v_fma_f64 v[6:7], -v[6:7], v[12:13], v[20:21]
	global_store_dwordx2 v[14:15], v[10:11], off
	global_store_dwordx2 v[8:9], v[6:7], off
	s_branch .LBB139_25
.LBB139_30:
	s_endpgm
	.section	.rodata,"a",@progbits
	.p2align	6, 0x0
	.amdhsa_kernel _ZN9rocsparseL18gtsv_LBM_wv_kernelILj256ELj32EdEEviiiPKT1_S3_S3_PS1_S4_S4_Pi
		.amdhsa_group_segment_fixed_size 0
		.amdhsa_private_segment_fixed_size 0
		.amdhsa_kernarg_size 72
		.amdhsa_user_sgpr_count 2
		.amdhsa_user_sgpr_dispatch_ptr 0
		.amdhsa_user_sgpr_queue_ptr 0
		.amdhsa_user_sgpr_kernarg_segment_ptr 1
		.amdhsa_user_sgpr_dispatch_id 0
		.amdhsa_user_sgpr_kernarg_preload_length 0
		.amdhsa_user_sgpr_kernarg_preload_offset 0
		.amdhsa_user_sgpr_private_segment_size 0
		.amdhsa_uses_dynamic_stack 0
		.amdhsa_enable_private_segment 0
		.amdhsa_system_sgpr_workgroup_id_x 1
		.amdhsa_system_sgpr_workgroup_id_y 0
		.amdhsa_system_sgpr_workgroup_id_z 0
		.amdhsa_system_sgpr_workgroup_info 0
		.amdhsa_system_vgpr_workitem_id 0
		.amdhsa_next_free_vgpr 56
		.amdhsa_next_free_sgpr 31
		.amdhsa_accum_offset 56
		.amdhsa_reserve_vcc 1
		.amdhsa_float_round_mode_32 0
		.amdhsa_float_round_mode_16_64 0
		.amdhsa_float_denorm_mode_32 3
		.amdhsa_float_denorm_mode_16_64 3
		.amdhsa_dx10_clamp 1
		.amdhsa_ieee_mode 1
		.amdhsa_fp16_overflow 0
		.amdhsa_tg_split 0
		.amdhsa_exception_fp_ieee_invalid_op 0
		.amdhsa_exception_fp_denorm_src 0
		.amdhsa_exception_fp_ieee_div_zero 0
		.amdhsa_exception_fp_ieee_overflow 0
		.amdhsa_exception_fp_ieee_underflow 0
		.amdhsa_exception_fp_ieee_inexact 0
		.amdhsa_exception_int_div_zero 0
	.end_amdhsa_kernel
	.section	.text._ZN9rocsparseL18gtsv_LBM_wv_kernelILj256ELj32EdEEviiiPKT1_S3_S3_PS1_S4_S4_Pi,"axG",@progbits,_ZN9rocsparseL18gtsv_LBM_wv_kernelILj256ELj32EdEEviiiPKT1_S3_S3_PS1_S4_S4_Pi,comdat
.Lfunc_end139:
	.size	_ZN9rocsparseL18gtsv_LBM_wv_kernelILj256ELj32EdEEviiiPKT1_S3_S3_PS1_S4_S4_Pi, .Lfunc_end139-_ZN9rocsparseL18gtsv_LBM_wv_kernelILj256ELj32EdEEviiiPKT1_S3_S3_PS1_S4_S4_Pi
                                        ; -- End function
	.set _ZN9rocsparseL18gtsv_LBM_wv_kernelILj256ELj32EdEEviiiPKT1_S3_S3_PS1_S4_S4_Pi.num_vgpr, 56
	.set _ZN9rocsparseL18gtsv_LBM_wv_kernelILj256ELj32EdEEviiiPKT1_S3_S3_PS1_S4_S4_Pi.num_agpr, 0
	.set _ZN9rocsparseL18gtsv_LBM_wv_kernelILj256ELj32EdEEviiiPKT1_S3_S3_PS1_S4_S4_Pi.numbered_sgpr, 31
	.set _ZN9rocsparseL18gtsv_LBM_wv_kernelILj256ELj32EdEEviiiPKT1_S3_S3_PS1_S4_S4_Pi.num_named_barrier, 0
	.set _ZN9rocsparseL18gtsv_LBM_wv_kernelILj256ELj32EdEEviiiPKT1_S3_S3_PS1_S4_S4_Pi.private_seg_size, 0
	.set _ZN9rocsparseL18gtsv_LBM_wv_kernelILj256ELj32EdEEviiiPKT1_S3_S3_PS1_S4_S4_Pi.uses_vcc, 1
	.set _ZN9rocsparseL18gtsv_LBM_wv_kernelILj256ELj32EdEEviiiPKT1_S3_S3_PS1_S4_S4_Pi.uses_flat_scratch, 0
	.set _ZN9rocsparseL18gtsv_LBM_wv_kernelILj256ELj32EdEEviiiPKT1_S3_S3_PS1_S4_S4_Pi.has_dyn_sized_stack, 0
	.set _ZN9rocsparseL18gtsv_LBM_wv_kernelILj256ELj32EdEEviiiPKT1_S3_S3_PS1_S4_S4_Pi.has_recursion, 0
	.set _ZN9rocsparseL18gtsv_LBM_wv_kernelILj256ELj32EdEEviiiPKT1_S3_S3_PS1_S4_S4_Pi.has_indirect_call, 0
	.section	.AMDGPU.csdata,"",@progbits
; Kernel info:
; codeLenInByte = 2220
; TotalNumSgprs: 37
; NumVgprs: 56
; NumAgprs: 0
; TotalNumVgprs: 56
; ScratchSize: 0
; MemoryBound: 1
; FloatMode: 240
; IeeeMode: 1
; LDSByteSize: 0 bytes/workgroup (compile time only)
; SGPRBlocks: 4
; VGPRBlocks: 6
; NumSGPRsForWavesPerEU: 37
; NumVGPRsForWavesPerEU: 56
; AccumOffset: 56
; Occupancy: 8
; WaveLimiterHint : 0
; COMPUTE_PGM_RSRC2:SCRATCH_EN: 0
; COMPUTE_PGM_RSRC2:USER_SGPR: 2
; COMPUTE_PGM_RSRC2:TRAP_HANDLER: 0
; COMPUTE_PGM_RSRC2:TGID_X_EN: 1
; COMPUTE_PGM_RSRC2:TGID_Y_EN: 0
; COMPUTE_PGM_RSRC2:TGID_Z_EN: 0
; COMPUTE_PGM_RSRC2:TIDIG_COMP_CNT: 0
; COMPUTE_PGM_RSRC3_GFX90A:ACCUM_OFFSET: 13
; COMPUTE_PGM_RSRC3_GFX90A:TG_SPLIT: 0
	.section	.text._ZN9rocsparseL19gtsv_LBM_rhs_kernelILj256ELj32ELj8EdEEviiiPKT2_S3_S3_PS1_S3_PKi,"axG",@progbits,_ZN9rocsparseL19gtsv_LBM_rhs_kernelILj256ELj32ELj8EdEEviiiPKT2_S3_S3_PS1_S3_PKi,comdat
	.globl	_ZN9rocsparseL19gtsv_LBM_rhs_kernelILj256ELj32ELj8EdEEviiiPKT2_S3_S3_PS1_S3_PKi ; -- Begin function _ZN9rocsparseL19gtsv_LBM_rhs_kernelILj256ELj32ELj8EdEEviiiPKT2_S3_S3_PS1_S3_PKi
	.p2align	8
	.type	_ZN9rocsparseL19gtsv_LBM_rhs_kernelILj256ELj32ELj8EdEEviiiPKT2_S3_S3_PS1_S3_PKi,@function
_ZN9rocsparseL19gtsv_LBM_rhs_kernelILj256ELj32ELj8EdEEviiiPKT2_S3_S3_PS1_S3_PKi: ; @_ZN9rocsparseL19gtsv_LBM_rhs_kernelILj256ELj32ELj8EdEEviiiPKT2_S3_S3_PS1_S3_PKi
; %bb.0:
	s_load_dword s23, s[0:1], 0x0
	v_lshl_or_b32 v0, s2, 8, v0
	s_waitcnt lgkmcnt(0)
	s_lshr_b32 s22, s23, 5
	v_cmp_gt_i32_e32 vcc, s22, v0
	s_and_saveexec_b64 s[4:5], vcc
	s_cbranch_execz .LBB140_29
; %bb.1:
	s_load_dwordx4 s[8:11], s[0:1], 0x28
	s_load_dwordx2 s[6:7], s[0:1], 0x38
	s_cmp_lt_i32 s23, 1
	v_add_u32_e32 v60, s22, v0
	s_mul_i32 s24, s3, s23
	s_cbranch_scc1 .LBB140_21
; %bb.2:
	s_load_dwordx4 s[12:15], s[0:1], 0x10
	s_load_dwordx2 s[16:17], s[0:1], 0x20
	v_ashrrev_i32_e32 v1, 31, v0
	s_lshl_b32 s28, s24, 3
	s_add_i32 s29, s28, s23
	s_waitcnt lgkmcnt(0)
	v_lshl_add_u64 v[2:3], v[0:1], 3, s[14:15]
	global_load_dwordx2 v[6:7], v[2:3], off
	s_add_i32 s30, s29, s23
	s_add_i32 s31, s30, s23
	;; [unrolled: 1-line block ×5, first 2 shown]
	s_mul_i32 s25, s22, 31
	s_mul_i32 s26, s22, 30
	s_lshl_b32 s27, s22, 1
	v_add_u32_e32 v1, s22, v60
	s_add_i32 s36, s35, s23
	v_mov_b32_e32 v3, 0
	s_mov_b64 s[18:19], 0
	v_mov_b32_e32 v61, 0
	s_branch .LBB140_5
.LBB140_3:                              ;   in Loop: Header=BB140_5 Depth=1
	s_or_b64 exec, exec, s[4:5]
	v_fma_f64 v[6:7], -v[6:7], v[22:23], v[8:9]
	v_mov_b32_e32 v2, s22
.LBB140_4:                              ;   in Loop: Header=BB140_5 Depth=1
	s_or_b64 exec, exec, s[2:3]
	v_add_u32_e32 v61, v2, v61
	v_cmp_le_i32_e32 vcc, s23, v61
	s_or_b64 s[18:19], vcc, s[18:19]
	s_andn2_b64 exec, exec, s[18:19]
	s_cbranch_execz .LBB140_20
.LBB140_5:                              ; =>This Inner Loop Header: Depth=1
	v_add_u32_e32 v16, v61, v0
	v_ashrrev_i32_e32 v17, 31, v16
	v_lshl_add_u64 v[4:5], v[16:17], 3, s[16:17]
	global_load_dwordx2 v[14:15], v[4:5], off
	v_cmp_gt_u32_e64 s[0:1], s25, v61
	v_mov_b64_e32 v[8:9], 0
	v_mov_b64_e32 v[4:5], 0
	s_and_saveexec_b64 s[2:3], s[0:1]
	s_cbranch_execz .LBB140_7
; %bb.6:                                ;   in Loop: Header=BB140_5 Depth=1
	v_add_u32_e32 v4, v60, v61
	v_ashrrev_i32_e32 v5, 31, v4
	v_lshl_add_u64 v[4:5], v[4:5], 3, s[12:13]
	global_load_dwordx2 v[4:5], v[4:5], off
.LBB140_7:                              ;   in Loop: Header=BB140_5 Depth=1
	s_or_b64 exec, exec, s[2:3]
	s_and_saveexec_b64 s[2:3], s[0:1]
	s_cbranch_execz .LBB140_9
; %bb.8:                                ;   in Loop: Header=BB140_5 Depth=1
	v_add_u32_e32 v8, v60, v61
	v_ashrrev_i32_e32 v9, 31, v8
	v_lshl_add_u64 v[8:9], v[8:9], 3, s[14:15]
	global_load_dwordx2 v[8:9], v[8:9], off
.LBB140_9:                              ;   in Loop: Header=BB140_5 Depth=1
	s_or_b64 exec, exec, s[2:3]
	v_mov_b64_e32 v[12:13], 0
	v_mov_b64_e32 v[10:11], 0
	s_and_saveexec_b64 s[2:3], s[0:1]
	s_cbranch_execz .LBB140_11
; %bb.10:                               ;   in Loop: Header=BB140_5 Depth=1
	v_add_u32_e32 v10, v60, v61
	v_ashrrev_i32_e32 v11, 31, v10
	v_lshl_add_u64 v[10:11], v[10:11], 3, s[16:17]
	global_load_dwordx2 v[10:11], v[10:11], off
.LBB140_11:                             ;   in Loop: Header=BB140_5 Depth=1
	s_or_b64 exec, exec, s[2:3]
	v_cmp_gt_u32_e64 s[2:3], s26, v61
	s_and_saveexec_b64 s[4:5], s[2:3]
	s_cbranch_execz .LBB140_13
; %bb.12:                               ;   in Loop: Header=BB140_5 Depth=1
	v_add_u32_e32 v12, v1, v61
	v_ashrrev_i32_e32 v13, 31, v12
	v_lshl_add_u64 v[12:13], v[12:13], 3, s[12:13]
	global_load_dwordx2 v[12:13], v[12:13], off
.LBB140_13:                             ;   in Loop: Header=BB140_5 Depth=1
	s_or_b64 exec, exec, s[4:5]
	v_add_u32_e32 v2, s28, v16
	v_lshl_add_u64 v[38:39], v[2:3], 3, s[8:9]
	v_add_u32_e32 v2, s29, v16
	v_lshl_add_u64 v[30:31], v[2:3], 3, s[8:9]
	;; [unrolled: 2-line block ×6, first 2 shown]
	v_lshl_add_u64 v[20:21], v[2:3], 3, s[8:9]
	v_add_u32_e32 v2, s35, v16
	global_load_dword v22, v[18:19], off
	v_lshl_add_u64 v[18:19], v[2:3], 3, s[8:9]
	v_add_u32_e32 v2, s36, v16
	global_load_dwordx2 v[50:51], v[38:39], off
	global_load_dwordx2 v[46:47], v[30:31], off
	;; [unrolled: 1-line block ×4, first 2 shown]
	v_lshl_add_u64 v[16:17], v[2:3], 3, s[8:9]
	global_load_dwordx2 v[44:45], v[26:27], off
	global_load_dwordx2 v[40:41], v[20:21], off
	;; [unrolled: 1-line block ×4, first 2 shown]
	v_cmp_ne_u32_e64 s[4:5], s25, v61
	s_waitcnt vmcnt(8)
	v_cmp_ne_u32_e32 vcc, 1, v22
	s_and_b64 s[4:5], s[4:5], vcc
	v_mul_f64 v[22:23], v[14:15], v[4:5]
	s_and_saveexec_b64 s[20:21], s[4:5]
	s_xor_b64 s[4:5], exec, s[20:21]
	s_cbranch_execz .LBB140_17
; %bb.14:                               ;   in Loop: Header=BB140_5 Depth=1
	v_add_u32_e32 v78, v60, v61
	v_add_u32_e32 v2, s28, v78
	v_fma_f64 v[22:23], v[6:7], v[8:9], -v[22:23]
	v_lshl_add_u64 v[48:49], v[2:3], 3, s[8:9]
	v_div_scale_f64 v[54:55], s[20:21], v[22:23], v[22:23], 1.0
	global_load_dwordx2 v[52:53], v[48:49], off
	v_rcp_f64_e32 v[58:59], v[54:55]
	v_add_u32_e32 v2, s29, v78
	v_lshl_add_u64 v[62:63], v[2:3], 3, s[8:9]
	v_add_u32_e32 v2, s30, v78
	global_load_dwordx2 v[66:67], v[62:63], off
	v_lshl_add_u64 v[64:65], v[2:3], 3, s[8:9]
	v_fma_f64 v[72:73], -v[54:55], v[58:59], 1.0
	global_load_dwordx2 v[70:71], v[64:65], off
	v_fmac_f64_e32 v[58:59], v[58:59], v[72:73]
	v_fma_f64 v[72:73], -v[54:55], v[58:59], 1.0
	v_div_scale_f64 v[56:57], vcc, 1.0, v[22:23], 1.0
	v_add_u32_e32 v2, s31, v78
	v_fmac_f64_e32 v[58:59], v[58:59], v[72:73]
	v_lshl_add_u64 v[68:69], v[2:3], 3, s[8:9]
	v_add_u32_e32 v2, s33, v78
	v_mul_f64 v[72:73], v[56:57], v[58:59]
	v_fma_f64 v[54:55], -v[54:55], v[72:73], v[56:57]
	v_lshl_add_u64 v[74:75], v[2:3], 3, s[8:9]
	v_add_u32_e32 v2, s34, v78
	v_div_fmas_f64 v[54:55], v[54:55], v[58:59], v[72:73]
	v_lshl_add_u64 v[72:73], v[2:3], 3, s[8:9]
	v_add_u32_e32 v2, s35, v78
	v_lshl_add_u64 v[76:77], v[2:3], 3, s[8:9]
	v_add_u32_e32 v2, s36, v78
	global_load_dwordx2 v[78:79], v[68:69], off
	global_load_dwordx2 v[80:81], v[74:75], off
	;; [unrolled: 1-line block ×4, first 2 shown]
	v_lshl_add_u64 v[86:87], v[2:3], 3, s[8:9]
	global_load_dwordx2 v[88:89], v[86:87], off
	v_div_fixup_f64 v[22:23], v[54:55], v[22:23], 1.0
	s_waitcnt vmcnt(15)
	v_mul_f64 v[50:51], v[22:23], v[50:51]
	s_waitcnt vmcnt(14)
	v_mul_f64 v[46:47], v[22:23], v[46:47]
	;; [unrolled: 2-line block ×4, first 2 shown]
	v_mul_f64 v[54:55], v[14:15], v[52:53]
	v_fma_f64 v[54:55], v[8:9], v[50:51], -v[54:55]
	global_store_dwordx2 v[38:39], v[54:55], off
	s_waitcnt vmcnt(7)
	v_mul_f64 v[54:55], v[22:23], v[66:67]
	v_mul_f64 v[38:39], v[14:15], v[54:55]
	v_fma_f64 v[38:39], v[8:9], v[46:47], -v[38:39]
	s_waitcnt vmcnt(6)
	v_mul_f64 v[58:59], v[22:23], v[70:71]
	global_store_dwordx2 v[30:31], v[38:39], off
	v_mul_f64 v[30:31], v[14:15], v[58:59]
	v_fma_f64 v[30:31], v[8:9], v[56:57], -v[30:31]
	global_store_dwordx2 v[28:29], v[30:31], off
	v_mul_f64 v[28:29], v[22:23], v[36:37]
	v_mul_f64 v[38:39], v[22:23], v[44:45]
	s_waitcnt vmcnt(7)
	v_mul_f64 v[30:31], v[22:23], v[78:79]
	v_mul_f64 v[36:37], v[14:15], v[30:31]
	v_fma_f64 v[36:37], v[8:9], v[28:29], -v[36:37]
	s_waitcnt vmcnt(6)
	v_mul_f64 v[42:43], v[22:23], v[80:81]
	global_store_dwordx2 v[24:25], v[36:37], off
	v_mul_f64 v[24:25], v[14:15], v[42:43]
	v_fma_f64 v[24:25], v[8:9], v[38:39], -v[24:25]
	s_waitcnt vmcnt(6)
	v_mul_f64 v[36:37], v[22:23], v[82:83]
	global_store_dwordx2 v[26:27], v[24:25], off
	v_mul_f64 v[26:27], v[22:23], v[40:41]
	v_mul_f64 v[24:25], v[14:15], v[36:37]
	v_fma_f64 v[24:25], v[8:9], v[26:27], -v[24:25]
	global_store_dwordx2 v[20:21], v[24:25], off
	v_mul_f64 v[20:21], v[22:23], v[32:33]
	s_waitcnt vmcnt(7)
	v_mul_f64 v[32:33], v[22:23], v[84:85]
	v_mul_f64 v[24:25], v[22:23], v[34:35]
	;; [unrolled: 1-line block ×3, first 2 shown]
	v_fma_f64 v[34:35], v[8:9], v[24:25], -v[34:35]
	global_store_dwordx2 v[18:19], v[34:35], off
	s_waitcnt vmcnt(7)
	v_mul_f64 v[18:19], v[22:23], v[88:89]
	v_mul_f64 v[14:15], v[14:15], v[18:19]
	v_fma_f64 v[8:9], v[8:9], v[20:21], -v[14:15]
	v_mul_f64 v[34:35], v[4:5], v[50:51]
	global_store_dwordx2 v[16:17], v[8:9], off
	v_mul_f64 v[8:9], v[4:5], v[28:29]
	v_mul_f64 v[40:41], v[4:5], v[46:47]
	;; [unrolled: 1-line block ×4, first 2 shown]
	v_fma_f64 v[34:35], v[6:7], v[52:53], -v[34:35]
	v_fma_f64 v[8:9], v[6:7], v[30:31], -v[8:9]
	;; [unrolled: 1-line block ×5, first 2 shown]
	global_store_dwordx2 v[48:49], v[34:35], off
	global_store_dwordx2 v[62:63], v[40:41], off
	;; [unrolled: 1-line block ×5, first 2 shown]
	v_mul_f64 v[8:9], v[4:5], v[26:27]
	v_fma_f64 v[8:9], v[6:7], v[36:37], -v[8:9]
	global_store_dwordx2 v[72:73], v[8:9], off
	v_mul_f64 v[8:9], v[4:5], v[24:25]
	v_fma_f64 v[8:9], v[6:7], v[32:33], -v[8:9]
	global_store_dwordx2 v[76:77], v[8:9], off
	;; [unrolled: 3-line block ×3, first 2 shown]
	v_mov_b64_e32 v[8:9], 0
	s_and_saveexec_b64 s[20:21], s[2:3]
	s_cbranch_execz .LBB140_16
; %bb.15:                               ;   in Loop: Header=BB140_5 Depth=1
	v_add_u32_e32 v8, v1, v61
	v_add_u32_e32 v2, s28, v8
	v_lshl_add_u64 v[14:15], v[2:3], 3, s[8:9]
	global_load_dwordx2 v[16:17], v[14:15], off
	v_mul_f64 v[6:7], v[6:7], v[12:13]
	v_mul_f64 v[4:5], v[4:5], v[12:13]
	v_mul_f64 v[12:13], v[6:7], v[52:53]
	v_add_u32_e32 v2, s29, v8
	v_fma_f64 v[12:13], v[4:5], v[50:51], -v[12:13]
	v_lshl_add_u64 v[34:35], v[2:3], 3, s[8:9]
	v_add_u32_e32 v2, s30, v8
	global_load_dwordx2 v[40:41], v[34:35], off
	v_lshl_add_u64 v[44:45], v[2:3], 3, s[8:9]
	v_add_u32_e32 v2, s31, v8
	v_ashrrev_i32_e32 v9, 31, v8
	s_waitcnt vmcnt(1)
	v_add_f64 v[12:13], v[12:13], v[16:17]
	global_store_dwordx2 v[14:15], v[12:13], off
	global_load_dwordx2 v[12:13], v[44:45], off
	v_mul_f64 v[14:15], v[6:7], v[54:55]
	v_fma_f64 v[14:15], v[4:5], v[46:47], -v[14:15]
	v_mul_f64 v[16:17], v[6:7], v[58:59]
	v_fma_f64 v[16:17], v[4:5], v[56:57], -v[16:17]
	v_lshl_add_u64 v[46:47], v[2:3], 3, s[8:9]
	s_waitcnt vmcnt(2)
	v_add_f64 v[14:15], v[14:15], v[40:41]
	global_store_dwordx2 v[34:35], v[14:15], off
	v_add_u32_e32 v2, s33, v8
	global_load_dwordx2 v[14:15], v[46:47], off
	v_lshl_add_u64 v[48:49], v[2:3], 3, s[8:9]
	v_add_u32_e32 v2, s34, v8
	s_waitcnt vmcnt(2)
	v_add_f64 v[12:13], v[16:17], v[12:13]
	global_store_dwordx2 v[44:45], v[12:13], off
	global_load_dwordx2 v[12:13], v[48:49], off
	v_mul_f64 v[16:17], v[6:7], v[30:31]
	v_mul_f64 v[30:31], v[6:7], v[42:43]
	v_fma_f64 v[16:17], v[4:5], v[28:29], -v[16:17]
	v_fma_f64 v[28:29], v[4:5], v[38:39], -v[30:31]
	v_lshl_add_u64 v[30:31], v[2:3], 3, s[8:9]
	v_add_u32_e32 v2, s35, v8
	s_waitcnt vmcnt(2)
	v_add_f64 v[14:15], v[16:17], v[14:15]
	global_store_dwordx2 v[46:47], v[14:15], off
	v_mul_f64 v[14:15], v[6:7], v[36:37]
	v_fma_f64 v[14:15], v[4:5], v[26:27], -v[14:15]
	v_lshl_add_u64 v[16:17], v[2:3], 3, s[8:9]
	v_add_u32_e32 v2, s36, v8
	v_lshl_add_u64 v[8:9], v[8:9], 3, s[14:15]
	global_load_dwordx2 v[8:9], v[8:9], off
	s_waitcnt vmcnt(2)
	v_add_f64 v[12:13], v[28:29], v[12:13]
	global_store_dwordx2 v[48:49], v[12:13], off
	global_load_dwordx2 v[12:13], v[30:31], off
	s_waitcnt vmcnt(0)
	v_add_f64 v[12:13], v[14:15], v[12:13]
	global_store_dwordx2 v[30:31], v[12:13], off
	global_load_dwordx2 v[12:13], v[16:17], off
	v_mul_f64 v[14:15], v[6:7], v[32:33]
	v_fma_f64 v[14:15], v[4:5], v[24:25], -v[14:15]
	v_lshl_add_u64 v[24:25], v[2:3], 3, s[8:9]
	s_waitcnt vmcnt(0)
	v_add_f64 v[12:13], v[14:15], v[12:13]
	global_store_dwordx2 v[16:17], v[12:13], off
	global_load_dwordx2 v[12:13], v[24:25], off
	v_mul_f64 v[14:15], v[6:7], v[18:19]
	v_mul_f64 v[6:7], v[10:11], v[6:7]
	v_fma_f64 v[4:5], v[4:5], v[20:21], -v[14:15]
	v_fma_f64 v[8:9], -v[22:23], v[6:7], v[8:9]
	s_waitcnt vmcnt(0)
	v_add_f64 v[4:5], v[4:5], v[12:13]
	global_store_dwordx2 v[24:25], v[4:5], off
.LBB140_16:                             ;   in Loop: Header=BB140_5 Depth=1
	s_or_b64 exec, exec, s[20:21]
	v_mov_b64_e32 v[6:7], v[8:9]
                                        ; implicit-def: $vgpr4_vgpr5
                                        ; implicit-def: $vgpr8_vgpr9
                                        ; implicit-def: $vgpr22_vgpr23
                                        ; implicit-def: $vgpr38_vgpr39
                                        ; implicit-def: $vgpr50_vgpr51
                                        ; implicit-def: $vgpr30_vgpr31
                                        ; implicit-def: $vgpr46_vgpr47
                                        ; implicit-def: $vgpr28_vgpr29
                                        ; implicit-def: $vgpr42_vgpr43
                                        ; implicit-def: $vgpr24_vgpr25
                                        ; implicit-def: $vgpr36_vgpr37
                                        ; implicit-def: $vgpr26_vgpr27
                                        ; implicit-def: $vgpr44_vgpr45
                                        ; implicit-def: $vgpr20_vgpr21
                                        ; implicit-def: $vgpr40_vgpr41
                                        ; implicit-def: $vgpr18_vgpr19
                                        ; implicit-def: $vgpr34_vgpr35
                                        ; implicit-def: $vgpr16_vgpr17
                                        ; implicit-def: $vgpr32_vgpr33
.LBB140_17:                             ;   in Loop: Header=BB140_5 Depth=1
	s_or_saveexec_b64 s[2:3], s[4:5]
	v_mov_b32_e32 v2, s27
	s_xor_b64 exec, exec, s[2:3]
	s_cbranch_execz .LBB140_4
; %bb.18:                               ;   in Loop: Header=BB140_5 Depth=1
	v_div_scale_f64 v[10:11], s[4:5], v[6:7], v[6:7], 1.0
	v_rcp_f64_e32 v[12:13], v[10:11]
	v_div_scale_f64 v[14:15], vcc, 1.0, v[6:7], 1.0
	v_fma_f64 v[48:49], -v[10:11], v[12:13], 1.0
	v_fmac_f64_e32 v[12:13], v[12:13], v[48:49]
	v_fma_f64 v[48:49], -v[10:11], v[12:13], 1.0
	v_fmac_f64_e32 v[12:13], v[12:13], v[48:49]
	v_mul_f64 v[48:49], v[14:15], v[12:13]
	v_fma_f64 v[10:11], -v[10:11], v[48:49], v[14:15]
	v_div_fmas_f64 v[10:11], v[10:11], v[12:13], v[48:49]
	v_div_fixup_f64 v[6:7], v[10:11], v[6:7], 1.0
	s_waitcnt vmcnt(7)
	v_mul_f64 v[50:51], v[6:7], v[50:51]
	s_waitcnt vmcnt(6)
	v_mul_f64 v[48:49], v[6:7], v[46:47]
	;; [unrolled: 2-line block ×8, first 2 shown]
	global_store_dwordx2 v[38:39], v[50:51], off
	global_store_dwordx2 v[30:31], v[48:49], off
	;; [unrolled: 1-line block ×8, first 2 shown]
	s_and_saveexec_b64 s[4:5], s[0:1]
	s_cbranch_execz .LBB140_3
; %bb.19:                               ;   in Loop: Header=BB140_5 Depth=1
	v_add_u32_e32 v30, v60, v61
	v_add_u32_e32 v2, s28, v30
	v_lshl_add_u64 v[16:17], v[2:3], 3, s[8:9]
	global_load_dwordx2 v[18:19], v[16:17], off
	v_add_u32_e32 v2, s29, v30
	v_lshl_add_u64 v[20:21], v[2:3], 3, s[8:9]
	v_add_u32_e32 v2, s30, v30
	global_load_dwordx2 v[24:25], v[20:21], off
	v_lshl_add_u64 v[26:27], v[2:3], 3, s[8:9]
	v_add_u32_e32 v2, s31, v30
	s_waitcnt vmcnt(1)
	v_fma_f64 v[18:19], -v[4:5], v[50:51], v[18:19]
	global_store_dwordx2 v[16:17], v[18:19], off
	global_load_dwordx2 v[16:17], v[26:27], off
	v_lshl_add_u64 v[18:19], v[2:3], 3, s[8:9]
	s_waitcnt vmcnt(2)
	v_fma_f64 v[24:25], -v[4:5], v[48:49], v[24:25]
	global_store_dwordx2 v[20:21], v[24:25], off
	v_add_u32_e32 v2, s33, v30
	global_load_dwordx2 v[20:21], v[18:19], off
	v_lshl_add_u64 v[28:29], v[2:3], 3, s[8:9]
	v_add_u32_e32 v2, s34, v30
	v_lshl_add_u64 v[24:25], v[2:3], 3, s[8:9]
	v_add_u32_e32 v2, s35, v30
	s_waitcnt vmcnt(2)
	v_fma_f64 v[16:17], -v[4:5], v[46:47], v[16:17]
	global_store_dwordx2 v[26:27], v[16:17], off
	global_load_dwordx2 v[16:17], v[28:29], off
	s_waitcnt vmcnt(2)
	v_fma_f64 v[20:21], -v[4:5], v[42:43], v[20:21]
	global_store_dwordx2 v[18:19], v[20:21], off
	v_lshl_add_u64 v[18:19], v[2:3], 3, s[8:9]
	v_add_u32_e32 v2, s36, v30
	s_waitcnt vmcnt(1)
	v_fma_f64 v[16:17], -v[4:5], v[36:37], v[16:17]
	global_store_dwordx2 v[28:29], v[16:17], off
	global_load_dwordx2 v[16:17], v[24:25], off
	s_waitcnt vmcnt(0)
	v_fma_f64 v[14:15], -v[4:5], v[14:15], v[16:17]
	global_store_dwordx2 v[24:25], v[14:15], off
	global_load_dwordx2 v[14:15], v[18:19], off
	s_waitcnt vmcnt(0)
	v_fma_f64 v[12:13], -v[4:5], v[12:13], v[14:15]
	global_store_dwordx2 v[18:19], v[12:13], off
	v_lshl_add_u64 v[12:13], v[2:3], 3, s[8:9]
	global_load_dwordx2 v[14:15], v[12:13], off
	s_waitcnt vmcnt(0)
	v_fma_f64 v[4:5], -v[4:5], v[10:11], v[14:15]
	global_store_dwordx2 v[12:13], v[4:5], off
	s_branch .LBB140_3
.LBB140_20:
	s_or_b64 exec, exec, s[18:19]
	s_branch .LBB140_22
.LBB140_21:
	v_mov_b32_e32 v61, 0
.LBB140_22:
	v_subrev_u32_e32 v1, s22, v61
	v_add_u32_e32 v2, v1, v0
	v_ashrrev_i32_e32 v3, 31, v2
	s_waitcnt lgkmcnt(0)
	v_lshl_add_u64 v[2:3], v[2:3], 2, s[6:7]
	buffer_wbl2 sc1
	s_waitcnt vmcnt(0)
	buffer_inv sc1
	global_load_dword v2, v[2:3], off
	s_waitcnt vmcnt(0)
	v_mul_lo_u32 v2, v2, s22
	v_sub_u32_e32 v1, v1, v2
	v_cmp_lt_i32_e32 vcc, -1, v1
	s_and_b64 exec, exec, vcc
	s_cbranch_execz .LBB140_29
; %bb.23:
	s_lshl_b32 s4, s24, 3
	s_add_i32 s5, s4, s23
	s_add_i32 s12, s5, s23
	;; [unrolled: 1-line block ×7, first 2 shown]
	s_lshl_b32 s18, s22, 1
	s_mov_b64 s[0:1], 0
	v_mov_b32_e32 v3, 0
	s_branch .LBB140_25
.LBB140_24:                             ;   in Loop: Header=BB140_25 Depth=1
	s_or_b64 exec, exec, s[2:3]
	v_sub_u32_e32 v1, v1, v2
	v_cmp_gt_i32_e32 vcc, 0, v1
	s_or_b64 s[0:1], vcc, s[0:1]
	s_andn2_b64 exec, exec, s[0:1]
	s_cbranch_execz .LBB140_29
.LBB140_25:                             ; =>This Inner Loop Header: Depth=1
	v_add_u32_e32 v6, v1, v0
	v_ashrrev_i32_e32 v7, 31, v6
	s_waitcnt vmcnt(0)
	v_lshl_add_u64 v[4:5], v[6:7], 2, s[6:7]
	global_load_dword v2, v[4:5], off
	v_lshl_add_u64 v[4:5], v[6:7], 3, s[10:11]
	global_load_dwordx2 v[4:5], v[4:5], off
	s_waitcnt vmcnt(1)
	v_cmp_ne_u32_e32 vcc, 1, v2
	s_and_saveexec_b64 s[2:3], vcc
	s_xor_b64 s[2:3], exec, s[2:3]
	s_cbranch_execz .LBB140_27
; %bb.26:                               ;   in Loop: Header=BB140_25 Depth=1
	v_add_u32_e32 v7, v60, v1
	v_add_u32_e32 v2, s4, v7
	v_lshl_add_u64 v[8:9], v[2:3], 3, s[8:9]
	v_add_u32_e32 v2, s5, v7
	v_lshl_add_u64 v[10:11], v[2:3], 3, s[8:9]
	;; [unrolled: 2-line block ×9, first 2 shown]
	global_load_dwordx2 v[26:27], v[24:25], off
	global_load_dwordx2 v[28:29], v[8:9], off
	;; [unrolled: 1-line block ×9, first 2 shown]
	v_add_u32_e32 v2, s5, v6
	v_lshl_add_u64 v[8:9], v[2:3], 3, s[8:9]
	v_add_u32_e32 v2, s12, v6
	v_lshl_add_u64 v[12:13], v[2:3], 3, s[8:9]
	v_add_u32_e32 v2, s13, v6
	s_waitcnt vmcnt(7)
	v_fma_f64 v[10:11], -v[4:5], v[28:29], v[26:27]
	global_store_dwordx2 v[24:25], v[10:11], off
	global_load_dwordx2 v[10:11], v[8:9], off
	s_waitcnt vmcnt(0)
	v_fma_f64 v[10:11], -v[4:5], v[30:31], v[10:11]
	global_store_dwordx2 v[8:9], v[10:11], off
	global_load_dwordx2 v[8:9], v[12:13], off
	v_lshl_add_u64 v[10:11], v[2:3], 3, s[8:9]
	v_add_u32_e32 v2, s14, v6
	s_waitcnt vmcnt(0)
	v_fma_f64 v[8:9], -v[4:5], v[32:33], v[8:9]
	global_store_dwordx2 v[12:13], v[8:9], off
	global_load_dwordx2 v[8:9], v[10:11], off
	v_lshl_add_u64 v[12:13], v[2:3], 3, s[8:9]
	v_add_u32_e32 v2, s15, v6
	;; [unrolled: 6-line block ×4, first 2 shown]
	v_lshl_add_u64 v[6:7], v[2:3], 3, s[8:9]
	v_subrev_u32_e32 v2, s22, v1
	s_waitcnt vmcnt(0)
	v_fma_f64 v[8:9], -v[4:5], v[38:39], v[8:9]
	global_store_dwordx2 v[10:11], v[8:9], off
	global_load_dwordx2 v[8:9], v[12:13], off
	v_add_u32_e32 v10, v2, v0
	v_ashrrev_i32_e32 v11, 31, v10
	v_add_u32_e32 v2, s4, v10
	v_lshl_add_u64 v[14:15], v[2:3], 3, s[8:9]
	v_add_u32_e32 v2, s5, v10
	s_waitcnt vmcnt(0)
	v_fma_f64 v[8:9], -v[4:5], v[40:41], v[8:9]
	global_store_dwordx2 v[12:13], v[8:9], off
	global_load_dwordx2 v[8:9], v[6:7], off
	v_lshl_add_u64 v[12:13], v[10:11], 3, s[10:11]
	global_load_dwordx2 v[12:13], v[12:13], off
	s_waitcnt vmcnt(1)
	v_fma_f64 v[4:5], -v[4:5], v[42:43], v[8:9]
	global_store_dwordx2 v[6:7], v[4:5], off
	global_load_dwordx2 v[4:5], v[14:15], off
	v_lshl_add_u64 v[6:7], v[2:3], 3, s[8:9]
	v_add_u32_e32 v2, s12, v10
	v_lshl_add_u64 v[8:9], v[2:3], 3, s[8:9]
	v_add_u32_e32 v2, s13, v10
	s_waitcnt vmcnt(0)
	v_fma_f64 v[4:5], -v[12:13], v[28:29], v[4:5]
	global_store_dwordx2 v[14:15], v[4:5], off
	global_load_dwordx2 v[4:5], v[6:7], off
	s_waitcnt vmcnt(0)
	v_fma_f64 v[4:5], -v[12:13], v[30:31], v[4:5]
	global_store_dwordx2 v[6:7], v[4:5], off
	global_load_dwordx2 v[4:5], v[8:9], off
	v_lshl_add_u64 v[6:7], v[2:3], 3, s[8:9]
	v_add_u32_e32 v2, s14, v10
	s_waitcnt vmcnt(0)
	v_fma_f64 v[4:5], -v[12:13], v[32:33], v[4:5]
	global_store_dwordx2 v[8:9], v[4:5], off
	global_load_dwordx2 v[4:5], v[6:7], off
	v_lshl_add_u64 v[8:9], v[2:3], 3, s[8:9]
	v_add_u32_e32 v2, s15, v10
	s_waitcnt vmcnt(0)
	v_fma_f64 v[4:5], -v[12:13], v[34:35], v[4:5]
	global_store_dwordx2 v[6:7], v[4:5], off
	global_load_dwordx2 v[4:5], v[8:9], off
	v_lshl_add_u64 v[6:7], v[2:3], 3, s[8:9]
	v_add_u32_e32 v2, s16, v10
	s_waitcnt vmcnt(0)
	v_fma_f64 v[4:5], -v[12:13], v[36:37], v[4:5]
	global_store_dwordx2 v[8:9], v[4:5], off
	global_load_dwordx2 v[4:5], v[6:7], off
	v_lshl_add_u64 v[8:9], v[2:3], 3, s[8:9]
	v_add_u32_e32 v2, s17, v10
	s_waitcnt vmcnt(0)
	v_fma_f64 v[4:5], -v[12:13], v[38:39], v[4:5]
	global_store_dwordx2 v[6:7], v[4:5], off
	global_load_dwordx2 v[4:5], v[8:9], off
	s_waitcnt vmcnt(0)
	v_fma_f64 v[4:5], -v[12:13], v[40:41], v[4:5]
	global_store_dwordx2 v[8:9], v[4:5], off
	v_lshl_add_u64 v[4:5], v[2:3], 3, s[8:9]
	global_load_dwordx2 v[6:7], v[4:5], off
	s_waitcnt vmcnt(0)
	v_fma_f64 v[6:7], -v[12:13], v[42:43], v[6:7]
	global_store_dwordx2 v[4:5], v[6:7], off
                                        ; implicit-def: $vgpr6
                                        ; implicit-def: $vgpr4_vgpr5
.LBB140_27:                             ;   in Loop: Header=BB140_25 Depth=1
	s_or_saveexec_b64 s[2:3], s[2:3]
	v_mov_b32_e32 v2, s18
	s_xor_b64 exec, exec, s[2:3]
	s_cbranch_execz .LBB140_24
; %bb.28:                               ;   in Loop: Header=BB140_25 Depth=1
	v_add_u32_e32 v7, v60, v1
	v_add_u32_e32 v2, s4, v7
	v_lshl_add_u64 v[8:9], v[2:3], 3, s[8:9]
	v_add_u32_e32 v2, s4, v6
	v_lshl_add_u64 v[10:11], v[2:3], 3, s[8:9]
	global_load_dwordx2 v[12:13], v[8:9], off
	global_load_dwordx2 v[14:15], v[10:11], off
	v_add_u32_e32 v2, s5, v7
	v_lshl_add_u64 v[8:9], v[2:3], 3, s[8:9]
	v_add_u32_e32 v2, s5, v6
	v_lshl_add_u64 v[16:17], v[2:3], 3, s[8:9]
	v_add_u32_e32 v2, s12, v7
	s_waitcnt vmcnt(0)
	v_fma_f64 v[12:13], -v[4:5], v[12:13], v[14:15]
	global_store_dwordx2 v[10:11], v[12:13], off
	global_load_dwordx2 v[10:11], v[8:9], off
	s_nop 0
	global_load_dwordx2 v[12:13], v[16:17], off
	v_lshl_add_u64 v[8:9], v[2:3], 3, s[8:9]
	v_add_u32_e32 v2, s12, v6
	v_lshl_add_u64 v[14:15], v[2:3], 3, s[8:9]
	v_add_u32_e32 v2, s13, v7
	s_waitcnt vmcnt(0)
	v_fma_f64 v[10:11], -v[4:5], v[10:11], v[12:13]
	global_store_dwordx2 v[16:17], v[10:11], off
	global_load_dwordx2 v[10:11], v[8:9], off
	s_nop 0
	global_load_dwordx2 v[12:13], v[14:15], off
	;; [unrolled: 10-line block ×6, first 2 shown]
	v_lshl_add_u64 v[8:9], v[2:3], 3, s[8:9]
	v_add_u32_e32 v2, s17, v6
	v_lshl_add_u64 v[6:7], v[2:3], 3, s[8:9]
	v_mov_b32_e32 v2, s22
	s_waitcnt vmcnt(0)
	v_fma_f64 v[10:11], -v[4:5], v[10:11], v[12:13]
	global_store_dwordx2 v[14:15], v[10:11], off
	global_load_dwordx2 v[10:11], v[8:9], off
	s_nop 0
	global_load_dwordx2 v[12:13], v[6:7], off
	s_waitcnt vmcnt(0)
	v_fma_f64 v[4:5], -v[4:5], v[10:11], v[12:13]
	global_store_dwordx2 v[6:7], v[4:5], off
	s_branch .LBB140_24
.LBB140_29:
	s_endpgm
	.section	.rodata,"a",@progbits
	.p2align	6, 0x0
	.amdhsa_kernel _ZN9rocsparseL19gtsv_LBM_rhs_kernelILj256ELj32ELj8EdEEviiiPKT2_S3_S3_PS1_S3_PKi
		.amdhsa_group_segment_fixed_size 0
		.amdhsa_private_segment_fixed_size 0
		.amdhsa_kernarg_size 64
		.amdhsa_user_sgpr_count 2
		.amdhsa_user_sgpr_dispatch_ptr 0
		.amdhsa_user_sgpr_queue_ptr 0
		.amdhsa_user_sgpr_kernarg_segment_ptr 1
		.amdhsa_user_sgpr_dispatch_id 0
		.amdhsa_user_sgpr_kernarg_preload_length 0
		.amdhsa_user_sgpr_kernarg_preload_offset 0
		.amdhsa_user_sgpr_private_segment_size 0
		.amdhsa_uses_dynamic_stack 0
		.amdhsa_enable_private_segment 0
		.amdhsa_system_sgpr_workgroup_id_x 1
		.amdhsa_system_sgpr_workgroup_id_y 1
		.amdhsa_system_sgpr_workgroup_id_z 0
		.amdhsa_system_sgpr_workgroup_info 0
		.amdhsa_system_vgpr_workitem_id 0
		.amdhsa_next_free_vgpr 90
		.amdhsa_next_free_sgpr 37
		.amdhsa_accum_offset 92
		.amdhsa_reserve_vcc 1
		.amdhsa_float_round_mode_32 0
		.amdhsa_float_round_mode_16_64 0
		.amdhsa_float_denorm_mode_32 3
		.amdhsa_float_denorm_mode_16_64 3
		.amdhsa_dx10_clamp 1
		.amdhsa_ieee_mode 1
		.amdhsa_fp16_overflow 0
		.amdhsa_tg_split 0
		.amdhsa_exception_fp_ieee_invalid_op 0
		.amdhsa_exception_fp_denorm_src 0
		.amdhsa_exception_fp_ieee_div_zero 0
		.amdhsa_exception_fp_ieee_overflow 0
		.amdhsa_exception_fp_ieee_underflow 0
		.amdhsa_exception_fp_ieee_inexact 0
		.amdhsa_exception_int_div_zero 0
	.end_amdhsa_kernel
	.section	.text._ZN9rocsparseL19gtsv_LBM_rhs_kernelILj256ELj32ELj8EdEEviiiPKT2_S3_S3_PS1_S3_PKi,"axG",@progbits,_ZN9rocsparseL19gtsv_LBM_rhs_kernelILj256ELj32ELj8EdEEviiiPKT2_S3_S3_PS1_S3_PKi,comdat
.Lfunc_end140:
	.size	_ZN9rocsparseL19gtsv_LBM_rhs_kernelILj256ELj32ELj8EdEEviiiPKT2_S3_S3_PS1_S3_PKi, .Lfunc_end140-_ZN9rocsparseL19gtsv_LBM_rhs_kernelILj256ELj32ELj8EdEEviiiPKT2_S3_S3_PS1_S3_PKi
                                        ; -- End function
	.set _ZN9rocsparseL19gtsv_LBM_rhs_kernelILj256ELj32ELj8EdEEviiiPKT2_S3_S3_PS1_S3_PKi.num_vgpr, 90
	.set _ZN9rocsparseL19gtsv_LBM_rhs_kernelILj256ELj32ELj8EdEEviiiPKT2_S3_S3_PS1_S3_PKi.num_agpr, 0
	.set _ZN9rocsparseL19gtsv_LBM_rhs_kernelILj256ELj32ELj8EdEEviiiPKT2_S3_S3_PS1_S3_PKi.numbered_sgpr, 37
	.set _ZN9rocsparseL19gtsv_LBM_rhs_kernelILj256ELj32ELj8EdEEviiiPKT2_S3_S3_PS1_S3_PKi.num_named_barrier, 0
	.set _ZN9rocsparseL19gtsv_LBM_rhs_kernelILj256ELj32ELj8EdEEviiiPKT2_S3_S3_PS1_S3_PKi.private_seg_size, 0
	.set _ZN9rocsparseL19gtsv_LBM_rhs_kernelILj256ELj32ELj8EdEEviiiPKT2_S3_S3_PS1_S3_PKi.uses_vcc, 1
	.set _ZN9rocsparseL19gtsv_LBM_rhs_kernelILj256ELj32ELj8EdEEviiiPKT2_S3_S3_PS1_S3_PKi.uses_flat_scratch, 0
	.set _ZN9rocsparseL19gtsv_LBM_rhs_kernelILj256ELj32ELj8EdEEviiiPKT2_S3_S3_PS1_S3_PKi.has_dyn_sized_stack, 0
	.set _ZN9rocsparseL19gtsv_LBM_rhs_kernelILj256ELj32ELj8EdEEviiiPKT2_S3_S3_PS1_S3_PKi.has_recursion, 0
	.set _ZN9rocsparseL19gtsv_LBM_rhs_kernelILj256ELj32ELj8EdEEviiiPKT2_S3_S3_PS1_S3_PKi.has_indirect_call, 0
	.section	.AMDGPU.csdata,"",@progbits
; Kernel info:
; codeLenInByte = 4144
; TotalNumSgprs: 43
; NumVgprs: 90
; NumAgprs: 0
; TotalNumVgprs: 90
; ScratchSize: 0
; MemoryBound: 0
; FloatMode: 240
; IeeeMode: 1
; LDSByteSize: 0 bytes/workgroup (compile time only)
; SGPRBlocks: 5
; VGPRBlocks: 11
; NumSGPRsForWavesPerEU: 43
; NumVGPRsForWavesPerEU: 90
; AccumOffset: 92
; Occupancy: 5
; WaveLimiterHint : 0
; COMPUTE_PGM_RSRC2:SCRATCH_EN: 0
; COMPUTE_PGM_RSRC2:USER_SGPR: 2
; COMPUTE_PGM_RSRC2:TRAP_HANDLER: 0
; COMPUTE_PGM_RSRC2:TGID_X_EN: 1
; COMPUTE_PGM_RSRC2:TGID_Y_EN: 1
; COMPUTE_PGM_RSRC2:TGID_Z_EN: 0
; COMPUTE_PGM_RSRC2:TIDIG_COMP_CNT: 0
; COMPUTE_PGM_RSRC3_GFX90A:ACCUM_OFFSET: 22
; COMPUTE_PGM_RSRC3_GFX90A:TG_SPLIT: 0
	.section	.text._ZN9rocsparseL19gtsv_LBM_rhs_kernelILj256ELj32ELj4EdEEviiiPKT2_S3_S3_PS1_S3_PKi,"axG",@progbits,_ZN9rocsparseL19gtsv_LBM_rhs_kernelILj256ELj32ELj4EdEEviiiPKT2_S3_S3_PS1_S3_PKi,comdat
	.globl	_ZN9rocsparseL19gtsv_LBM_rhs_kernelILj256ELj32ELj4EdEEviiiPKT2_S3_S3_PS1_S3_PKi ; -- Begin function _ZN9rocsparseL19gtsv_LBM_rhs_kernelILj256ELj32ELj4EdEEviiiPKT2_S3_S3_PS1_S3_PKi
	.p2align	8
	.type	_ZN9rocsparseL19gtsv_LBM_rhs_kernelILj256ELj32ELj4EdEEviiiPKT2_S3_S3_PS1_S3_PKi,@function
_ZN9rocsparseL19gtsv_LBM_rhs_kernelILj256ELj32ELj4EdEEviiiPKT2_S3_S3_PS1_S3_PKi: ; @_ZN9rocsparseL19gtsv_LBM_rhs_kernelILj256ELj32ELj4EdEEviiiPKT2_S3_S3_PS1_S3_PKi
; %bb.0:
	s_load_dword s23, s[0:1], 0x0
	v_lshl_or_b32 v0, s2, 8, v0
	s_waitcnt lgkmcnt(0)
	s_lshr_b32 s22, s23, 5
	v_cmp_gt_i32_e32 vcc, s22, v0
	s_and_saveexec_b64 s[4:5], vcc
	s_cbranch_execz .LBB141_29
; %bb.1:
	s_load_dwordx4 s[8:11], s[0:1], 0x28
	s_load_dwordx2 s[6:7], s[0:1], 0x38
	s_cmp_lt_i32 s23, 1
	v_add_u32_e32 v42, s22, v0
	s_mul_i32 s24, s3, s23
	s_cbranch_scc1 .LBB141_21
; %bb.2:
	s_load_dwordx4 s[12:15], s[0:1], 0x10
	s_load_dwordx2 s[16:17], s[0:1], 0x20
	v_ashrrev_i32_e32 v1, 31, v0
	s_lshl_b32 s28, s24, 2
	s_add_i32 s29, s28, s23
	s_waitcnt lgkmcnt(0)
	v_lshl_add_u64 v[2:3], v[0:1], 3, s[14:15]
	global_load_dwordx2 v[4:5], v[2:3], off
	s_add_i32 s30, s29, s23
	s_mul_i32 s25, s22, 31
	s_mul_i32 s26, s22, 30
	s_lshl_b32 s27, s22, 1
	v_add_u32_e32 v43, s22, v42
	s_add_i32 s31, s30, s23
	v_mov_b32_e32 v3, 0
	s_mov_b64 s[18:19], 0
	v_mov_b32_e32 v1, 0
	s_branch .LBB141_5
.LBB141_3:                              ;   in Loop: Header=BB141_5 Depth=1
	s_or_b64 exec, exec, s[4:5]
	v_fma_f64 v[4:5], -v[4:5], v[14:15], v[8:9]
	v_mov_b32_e32 v2, s22
.LBB141_4:                              ;   in Loop: Header=BB141_5 Depth=1
	s_or_b64 exec, exec, s[2:3]
	v_add_u32_e32 v1, v2, v1
	v_cmp_le_i32_e32 vcc, s23, v1
	s_or_b64 s[18:19], vcc, s[18:19]
	s_andn2_b64 exec, exec, s[18:19]
	s_cbranch_execz .LBB141_20
.LBB141_5:                              ; =>This Inner Loop Header: Depth=1
	v_add_u32_e32 v14, v1, v0
	v_ashrrev_i32_e32 v15, 31, v14
	v_lshl_add_u64 v[6:7], v[14:15], 3, s[16:17]
	global_load_dwordx2 v[20:21], v[6:7], off
	v_cmp_gt_u32_e64 s[0:1], s25, v1
	v_mov_b64_e32 v[8:9], 0
	v_mov_b64_e32 v[6:7], 0
	s_and_saveexec_b64 s[2:3], s[0:1]
	s_cbranch_execz .LBB141_7
; %bb.6:                                ;   in Loop: Header=BB141_5 Depth=1
	v_add_u32_e32 v6, v42, v1
	v_ashrrev_i32_e32 v7, 31, v6
	v_lshl_add_u64 v[6:7], v[6:7], 3, s[12:13]
	global_load_dwordx2 v[6:7], v[6:7], off
.LBB141_7:                              ;   in Loop: Header=BB141_5 Depth=1
	s_or_b64 exec, exec, s[2:3]
	s_and_saveexec_b64 s[2:3], s[0:1]
	s_cbranch_execz .LBB141_9
; %bb.8:                                ;   in Loop: Header=BB141_5 Depth=1
	v_add_u32_e32 v8, v42, v1
	v_ashrrev_i32_e32 v9, 31, v8
	v_lshl_add_u64 v[8:9], v[8:9], 3, s[14:15]
	global_load_dwordx2 v[8:9], v[8:9], off
.LBB141_9:                              ;   in Loop: Header=BB141_5 Depth=1
	s_or_b64 exec, exec, s[2:3]
	v_mov_b64_e32 v[12:13], 0
	v_mov_b64_e32 v[10:11], 0
	s_and_saveexec_b64 s[2:3], s[0:1]
	s_cbranch_execz .LBB141_11
; %bb.10:                               ;   in Loop: Header=BB141_5 Depth=1
	v_add_u32_e32 v10, v42, v1
	v_ashrrev_i32_e32 v11, 31, v10
	v_lshl_add_u64 v[10:11], v[10:11], 3, s[16:17]
	global_load_dwordx2 v[10:11], v[10:11], off
.LBB141_11:                             ;   in Loop: Header=BB141_5 Depth=1
	s_or_b64 exec, exec, s[2:3]
	v_cmp_gt_u32_e64 s[2:3], s26, v1
	s_and_saveexec_b64 s[4:5], s[2:3]
	s_cbranch_execz .LBB141_13
; %bb.12:                               ;   in Loop: Header=BB141_5 Depth=1
	v_add_u32_e32 v12, v43, v1
	v_ashrrev_i32_e32 v13, 31, v12
	v_lshl_add_u64 v[12:13], v[12:13], 3, s[12:13]
	global_load_dwordx2 v[12:13], v[12:13], off
.LBB141_13:                             ;   in Loop: Header=BB141_5 Depth=1
	s_or_b64 exec, exec, s[4:5]
	v_add_u32_e32 v2, s28, v14
	v_lshl_add_u64 v[26:27], v[2:3], 3, s[8:9]
	v_add_u32_e32 v2, s29, v14
	v_lshl_add_u64 v[28:29], v[2:3], 3, s[8:9]
	v_add_u32_e32 v2, s30, v14
	s_waitcnt vmcnt(4)
	v_lshl_add_u64 v[16:17], v[14:15], 2, s[6:7]
	v_lshl_add_u64 v[30:31], v[2:3], 3, s[8:9]
	v_add_u32_e32 v2, s31, v14
	global_load_dword v15, v[16:17], off
	v_lshl_add_u64 v[34:35], v[2:3], 3, s[8:9]
	global_load_dwordx2 v[16:17], v[26:27], off
	global_load_dwordx2 v[18:19], v[28:29], off
	;; [unrolled: 1-line block ×4, first 2 shown]
	v_cmp_ne_u32_e64 s[4:5], s25, v1
	s_waitcnt vmcnt(4)
	v_cmp_ne_u32_e32 vcc, 1, v15
	s_and_b64 s[4:5], s[4:5], vcc
	v_mul_f64 v[14:15], v[20:21], v[6:7]
	s_and_saveexec_b64 s[20:21], s[4:5]
	s_xor_b64 s[4:5], exec, s[20:21]
	s_cbranch_execz .LBB141_17
; %bb.14:                               ;   in Loop: Header=BB141_5 Depth=1
	v_fma_f64 v[14:15], v[4:5], v[8:9], -v[14:15]
	v_div_scale_f64 v[22:23], s[20:21], v[14:15], v[14:15], 1.0
	v_rcp_f64_e32 v[24:25], v[22:23]
	s_nop 0
	v_fma_f64 v[38:39], -v[22:23], v[24:25], 1.0
	v_fmac_f64_e32 v[24:25], v[24:25], v[38:39]
	v_fma_f64 v[38:39], -v[22:23], v[24:25], 1.0
	v_fmac_f64_e32 v[24:25], v[24:25], v[38:39]
	v_div_scale_f64 v[38:39], vcc, 1.0, v[14:15], 1.0
	v_mul_f64 v[40:41], v[38:39], v[24:25]
	v_fma_f64 v[22:23], -v[22:23], v[40:41], v[38:39]
	s_nop 1
	v_div_fmas_f64 v[22:23], v[22:23], v[24:25], v[40:41]
	v_div_fixup_f64 v[14:15], v[22:23], v[14:15], 1.0
	s_waitcnt vmcnt(2)
	v_mul_f64 v[24:25], v[14:15], v[18:19]
	s_waitcnt vmcnt(0)
	v_mul_f64 v[18:19], v[14:15], v[36:37]
	v_add_u32_e32 v36, v42, v1
	v_add_u32_e32 v2, s28, v36
	v_lshl_add_u64 v[44:45], v[2:3], 3, s[8:9]
	v_mul_f64 v[22:23], v[14:15], v[16:17]
	v_mul_f64 v[16:17], v[14:15], v[32:33]
	global_load_dwordx2 v[32:33], v[44:45], off
	v_add_u32_e32 v2, s29, v36
	v_lshl_add_u64 v[46:47], v[2:3], 3, s[8:9]
	v_add_u32_e32 v2, s30, v36
	v_lshl_add_u64 v[48:49], v[2:3], 3, s[8:9]
	;; [unrolled: 2-line block ×3, first 2 shown]
	global_load_dwordx2 v[36:37], v[50:51], off
	s_waitcnt vmcnt(1)
	v_mul_f64 v[38:39], v[14:15], v[32:33]
	global_load_dwordx2 v[32:33], v[46:47], off
	v_mul_f64 v[52:53], v[20:21], v[38:39]
	v_fma_f64 v[52:53], v[8:9], v[22:23], -v[52:53]
	s_waitcnt vmcnt(1)
	v_mul_f64 v[36:37], v[14:15], v[36:37]
	s_waitcnt vmcnt(0)
	v_mul_f64 v[40:41], v[14:15], v[32:33]
	global_load_dwordx2 v[32:33], v[48:49], off
	s_waitcnt vmcnt(0)
	v_mul_f64 v[32:33], v[14:15], v[32:33]
	global_store_dwordx2 v[26:27], v[52:53], off
	v_mul_f64 v[26:27], v[20:21], v[40:41]
	v_fma_f64 v[26:27], v[8:9], v[24:25], -v[26:27]
	global_store_dwordx2 v[28:29], v[26:27], off
	v_mul_f64 v[26:27], v[20:21], v[32:33]
	v_mul_f64 v[20:21], v[20:21], v[36:37]
	v_fma_f64 v[26:27], v[8:9], v[16:17], -v[26:27]
	v_fma_f64 v[8:9], v[8:9], v[18:19], -v[20:21]
	global_store_dwordx2 v[30:31], v[26:27], off
	global_store_dwordx2 v[34:35], v[8:9], off
	v_mul_f64 v[8:9], v[6:7], v[22:23]
	v_fma_f64 v[8:9], v[4:5], v[38:39], -v[8:9]
	global_store_dwordx2 v[44:45], v[8:9], off
	v_mul_f64 v[8:9], v[6:7], v[24:25]
	v_fma_f64 v[8:9], v[4:5], v[40:41], -v[8:9]
	;; [unrolled: 3-line block ×4, first 2 shown]
	global_store_dwordx2 v[50:51], v[8:9], off
	v_mov_b64_e32 v[8:9], 0
	s_and_saveexec_b64 s[20:21], s[2:3]
	s_cbranch_execz .LBB141_16
; %bb.15:                               ;   in Loop: Header=BB141_5 Depth=1
	v_add_u32_e32 v8, v43, v1
	v_add_u32_e32 v2, s28, v8
	v_lshl_add_u64 v[20:21], v[2:3], 3, s[8:9]
	v_add_u32_e32 v2, s29, v8
	global_load_dwordx2 v[26:27], v[20:21], off
	v_lshl_add_u64 v[28:29], v[2:3], 3, s[8:9]
	global_load_dwordx2 v[30:31], v[28:29], off
	v_mul_f64 v[4:5], v[4:5], v[12:13]
	v_mul_f64 v[6:7], v[6:7], v[12:13]
	;; [unrolled: 1-line block ×4, first 2 shown]
	v_fma_f64 v[12:13], v[6:7], v[22:23], -v[12:13]
	v_fma_f64 v[22:23], v[6:7], v[24:25], -v[34:35]
	v_add_u32_e32 v2, s30, v8
	v_ashrrev_i32_e32 v9, 31, v8
	v_lshl_add_u64 v[24:25], v[2:3], 3, s[8:9]
	v_add_u32_e32 v2, s31, v8
	v_lshl_add_u64 v[34:35], v[2:3], 3, s[8:9]
	v_lshl_add_u64 v[8:9], v[8:9], 3, s[14:15]
	global_load_dwordx2 v[8:9], v[8:9], off
	s_waitcnt vmcnt(2)
	v_add_f64 v[12:13], v[12:13], v[26:27]
	global_store_dwordx2 v[20:21], v[12:13], off
	s_waitcnt vmcnt(2)
	v_add_f64 v[12:13], v[22:23], v[30:31]
	global_store_dwordx2 v[28:29], v[12:13], off
	global_load_dwordx2 v[20:21], v[24:25], off
	v_mul_f64 v[22:23], v[4:5], v[32:33]
	global_load_dwordx2 v[12:13], v[34:35], off
	v_mul_f64 v[26:27], v[4:5], v[36:37]
	v_mul_f64 v[4:5], v[10:11], v[4:5]
	v_fma_f64 v[10:11], v[6:7], v[16:17], -v[22:23]
	v_fma_f64 v[6:7], v[6:7], v[18:19], -v[26:27]
	s_waitcnt vmcnt(4)
	v_fma_f64 v[8:9], -v[14:15], v[4:5], v[8:9]
	s_waitcnt vmcnt(1)
	v_add_f64 v[10:11], v[10:11], v[20:21]
	global_store_dwordx2 v[24:25], v[10:11], off
	s_waitcnt vmcnt(1)
	v_add_f64 v[6:7], v[6:7], v[12:13]
	global_store_dwordx2 v[34:35], v[6:7], off
.LBB141_16:                             ;   in Loop: Header=BB141_5 Depth=1
	s_or_b64 exec, exec, s[20:21]
	v_mov_b64_e32 v[4:5], v[8:9]
                                        ; implicit-def: $vgpr6_vgpr7
                                        ; implicit-def: $vgpr8_vgpr9
                                        ; implicit-def: $vgpr14_vgpr15
                                        ; implicit-def: $vgpr26_vgpr27
                                        ; implicit-def: $vgpr16_vgpr17
                                        ; implicit-def: $vgpr28_vgpr29
                                        ; implicit-def: $vgpr18_vgpr19
                                        ; implicit-def: $vgpr30_vgpr31
                                        ; implicit-def: $vgpr32_vgpr33
                                        ; implicit-def: $vgpr34_vgpr35
                                        ; implicit-def: $vgpr36_vgpr37
.LBB141_17:                             ;   in Loop: Header=BB141_5 Depth=1
	s_or_saveexec_b64 s[2:3], s[4:5]
	v_mov_b32_e32 v2, s27
	s_xor_b64 exec, exec, s[2:3]
	s_cbranch_execz .LBB141_4
; %bb.18:                               ;   in Loop: Header=BB141_5 Depth=1
	v_div_scale_f64 v[10:11], s[4:5], v[4:5], v[4:5], 1.0
	v_rcp_f64_e32 v[12:13], v[10:11]
	v_div_scale_f64 v[20:21], vcc, 1.0, v[4:5], 1.0
	v_fma_f64 v[22:23], -v[10:11], v[12:13], 1.0
	v_fmac_f64_e32 v[12:13], v[12:13], v[22:23]
	v_fma_f64 v[22:23], -v[10:11], v[12:13], 1.0
	v_fmac_f64_e32 v[12:13], v[12:13], v[22:23]
	v_mul_f64 v[22:23], v[20:21], v[12:13]
	v_fma_f64 v[10:11], -v[10:11], v[22:23], v[20:21]
	v_div_fmas_f64 v[10:11], v[10:11], v[12:13], v[22:23]
	v_div_fixup_f64 v[4:5], v[10:11], v[4:5], 1.0
	s_waitcnt vmcnt(3)
	v_mul_f64 v[20:21], v[4:5], v[16:17]
	s_waitcnt vmcnt(2)
	v_mul_f64 v[16:17], v[4:5], v[18:19]
	;; [unrolled: 2-line block ×4, first 2 shown]
	global_store_dwordx2 v[26:27], v[20:21], off
	global_store_dwordx2 v[28:29], v[16:17], off
	;; [unrolled: 1-line block ×4, first 2 shown]
	s_and_saveexec_b64 s[4:5], s[0:1]
	s_cbranch_execz .LBB141_3
; %bb.19:                               ;   in Loop: Header=BB141_5 Depth=1
	v_add_u32_e32 v30, v42, v1
	v_add_u32_e32 v2, s28, v30
	v_lshl_add_u64 v[18:19], v[2:3], 3, s[8:9]
	v_add_u32_e32 v2, s29, v30
	v_lshl_add_u64 v[24:25], v[2:3], 3, s[8:9]
	global_load_dwordx2 v[22:23], v[18:19], off
	global_load_dwordx2 v[26:27], v[24:25], off
	v_add_u32_e32 v2, s30, v30
	v_lshl_add_u64 v[28:29], v[2:3], 3, s[8:9]
	v_add_u32_e32 v2, s31, v30
	v_lshl_add_u64 v[30:31], v[2:3], 3, s[8:9]
	s_waitcnt vmcnt(1)
	v_fma_f64 v[20:21], -v[6:7], v[20:21], v[22:23]
	s_waitcnt vmcnt(0)
	v_fma_f64 v[16:17], -v[6:7], v[16:17], v[26:27]
	global_store_dwordx2 v[18:19], v[20:21], off
	global_store_dwordx2 v[24:25], v[16:17], off
	global_load_dwordx2 v[18:19], v[28:29], off
	s_nop 0
	global_load_dwordx2 v[16:17], v[30:31], off
	s_waitcnt vmcnt(1)
	v_fma_f64 v[12:13], -v[6:7], v[12:13], v[18:19]
	global_store_dwordx2 v[28:29], v[12:13], off
	s_waitcnt vmcnt(1)
	v_fma_f64 v[6:7], -v[6:7], v[10:11], v[16:17]
	global_store_dwordx2 v[30:31], v[6:7], off
	s_branch .LBB141_3
.LBB141_20:
	s_or_b64 exec, exec, s[18:19]
	s_branch .LBB141_22
.LBB141_21:
	v_mov_b32_e32 v1, 0
.LBB141_22:
	v_subrev_u32_e32 v1, s22, v1
	v_add_u32_e32 v2, v1, v0
	v_ashrrev_i32_e32 v3, 31, v2
	s_waitcnt lgkmcnt(0)
	v_lshl_add_u64 v[2:3], v[2:3], 2, s[6:7]
	buffer_wbl2 sc1
	s_waitcnt vmcnt(0)
	buffer_inv sc1
	global_load_dword v2, v[2:3], off
	s_waitcnt vmcnt(0)
	v_mul_lo_u32 v2, v2, s22
	v_sub_u32_e32 v1, v1, v2
	v_cmp_lt_i32_e32 vcc, -1, v1
	s_and_b64 exec, exec, vcc
	s_cbranch_execz .LBB141_29
; %bb.23:
	s_lshl_b32 s4, s24, 2
	s_add_i32 s5, s4, s23
	s_add_i32 s12, s5, s23
	;; [unrolled: 1-line block ×3, first 2 shown]
	s_lshl_b32 s14, s22, 1
	s_mov_b64 s[0:1], 0
	v_mov_b32_e32 v3, 0
	s_branch .LBB141_25
.LBB141_24:                             ;   in Loop: Header=BB141_25 Depth=1
	s_or_b64 exec, exec, s[2:3]
	v_sub_u32_e32 v1, v1, v2
	v_cmp_gt_i32_e32 vcc, 0, v1
	s_or_b64 s[0:1], vcc, s[0:1]
	s_andn2_b64 exec, exec, s[0:1]
	s_cbranch_execz .LBB141_29
.LBB141_25:                             ; =>This Inner Loop Header: Depth=1
	v_add_u32_e32 v6, v1, v0
	v_ashrrev_i32_e32 v7, 31, v6
	s_waitcnt vmcnt(0)
	v_lshl_add_u64 v[4:5], v[6:7], 2, s[6:7]
	global_load_dword v2, v[4:5], off
	v_lshl_add_u64 v[4:5], v[6:7], 3, s[10:11]
	global_load_dwordx2 v[4:5], v[4:5], off
	s_waitcnt vmcnt(1)
	v_cmp_ne_u32_e32 vcc, 1, v2
	s_and_saveexec_b64 s[2:3], vcc
	s_xor_b64 s[2:3], exec, s[2:3]
	s_cbranch_execz .LBB141_27
; %bb.26:                               ;   in Loop: Header=BB141_25 Depth=1
	v_add_u32_e32 v7, v42, v1
	v_add_u32_e32 v2, s4, v7
	v_lshl_add_u64 v[8:9], v[2:3], 3, s[8:9]
	v_add_u32_e32 v2, s5, v7
	v_lshl_add_u64 v[10:11], v[2:3], 3, s[8:9]
	;; [unrolled: 2-line block ×5, first 2 shown]
	global_load_dwordx2 v[18:19], v[16:17], off
	global_load_dwordx2 v[20:21], v[8:9], off
	;; [unrolled: 1-line block ×5, first 2 shown]
	v_add_u32_e32 v2, s5, v6
	v_lshl_add_u64 v[8:9], v[2:3], 3, s[8:9]
	v_add_u32_e32 v2, s12, v6
	v_lshl_add_u64 v[12:13], v[2:3], 3, s[8:9]
	;; [unrolled: 2-line block ×3, first 2 shown]
	v_subrev_u32_e32 v2, s22, v1
	s_waitcnt vmcnt(3)
	v_fma_f64 v[10:11], -v[4:5], v[20:21], v[18:19]
	global_store_dwordx2 v[16:17], v[10:11], off
	global_load_dwordx2 v[10:11], v[8:9], off
	s_waitcnt vmcnt(0)
	v_fma_f64 v[10:11], -v[4:5], v[22:23], v[10:11]
	global_store_dwordx2 v[8:9], v[10:11], off
	global_load_dwordx2 v[8:9], v[12:13], off
	v_add_u32_e32 v10, v2, v0
	v_ashrrev_i32_e32 v11, 31, v10
	v_add_u32_e32 v2, s4, v10
	v_lshl_add_u64 v[14:15], v[2:3], 3, s[8:9]
	v_add_u32_e32 v2, s5, v10
	s_waitcnt vmcnt(0)
	v_fma_f64 v[8:9], -v[4:5], v[24:25], v[8:9]
	global_store_dwordx2 v[12:13], v[8:9], off
	global_load_dwordx2 v[8:9], v[6:7], off
	v_lshl_add_u64 v[12:13], v[10:11], 3, s[10:11]
	global_load_dwordx2 v[12:13], v[12:13], off
	s_waitcnt vmcnt(1)
	v_fma_f64 v[4:5], -v[4:5], v[26:27], v[8:9]
	global_store_dwordx2 v[6:7], v[4:5], off
	global_load_dwordx2 v[4:5], v[14:15], off
	v_lshl_add_u64 v[6:7], v[2:3], 3, s[8:9]
	v_add_u32_e32 v2, s12, v10
	v_lshl_add_u64 v[8:9], v[2:3], 3, s[8:9]
	v_add_u32_e32 v2, s13, v10
	s_waitcnt vmcnt(0)
	v_fma_f64 v[4:5], -v[12:13], v[20:21], v[4:5]
	global_store_dwordx2 v[14:15], v[4:5], off
	global_load_dwordx2 v[4:5], v[6:7], off
	s_waitcnt vmcnt(0)
	v_fma_f64 v[4:5], -v[12:13], v[22:23], v[4:5]
	global_store_dwordx2 v[6:7], v[4:5], off
	global_load_dwordx2 v[4:5], v[8:9], off
	s_waitcnt vmcnt(0)
	v_fma_f64 v[4:5], -v[12:13], v[24:25], v[4:5]
	global_store_dwordx2 v[8:9], v[4:5], off
	v_lshl_add_u64 v[4:5], v[2:3], 3, s[8:9]
	global_load_dwordx2 v[6:7], v[4:5], off
	s_waitcnt vmcnt(0)
	v_fma_f64 v[6:7], -v[12:13], v[26:27], v[6:7]
	global_store_dwordx2 v[4:5], v[6:7], off
                                        ; implicit-def: $vgpr6
                                        ; implicit-def: $vgpr4_vgpr5
.LBB141_27:                             ;   in Loop: Header=BB141_25 Depth=1
	s_or_saveexec_b64 s[2:3], s[2:3]
	v_mov_b32_e32 v2, s14
	s_xor_b64 exec, exec, s[2:3]
	s_cbranch_execz .LBB141_24
; %bb.28:                               ;   in Loop: Header=BB141_25 Depth=1
	v_add_u32_e32 v7, v42, v1
	v_add_u32_e32 v2, s4, v7
	v_lshl_add_u64 v[8:9], v[2:3], 3, s[8:9]
	v_add_u32_e32 v2, s4, v6
	v_lshl_add_u64 v[10:11], v[2:3], 3, s[8:9]
	global_load_dwordx2 v[12:13], v[8:9], off
	global_load_dwordx2 v[14:15], v[10:11], off
	v_add_u32_e32 v2, s5, v7
	v_lshl_add_u64 v[8:9], v[2:3], 3, s[8:9]
	v_add_u32_e32 v2, s5, v6
	v_lshl_add_u64 v[16:17], v[2:3], 3, s[8:9]
	v_add_u32_e32 v2, s12, v7
	s_waitcnt vmcnt(0)
	v_fma_f64 v[12:13], -v[4:5], v[12:13], v[14:15]
	global_store_dwordx2 v[10:11], v[12:13], off
	global_load_dwordx2 v[10:11], v[8:9], off
	s_nop 0
	global_load_dwordx2 v[12:13], v[16:17], off
	v_lshl_add_u64 v[8:9], v[2:3], 3, s[8:9]
	v_add_u32_e32 v2, s12, v6
	v_lshl_add_u64 v[14:15], v[2:3], 3, s[8:9]
	v_add_u32_e32 v2, s13, v7
	s_waitcnt vmcnt(0)
	v_fma_f64 v[10:11], -v[4:5], v[10:11], v[12:13]
	global_store_dwordx2 v[16:17], v[10:11], off
	global_load_dwordx2 v[10:11], v[8:9], off
	s_nop 0
	global_load_dwordx2 v[12:13], v[14:15], off
	v_lshl_add_u64 v[8:9], v[2:3], 3, s[8:9]
	v_add_u32_e32 v2, s13, v6
	v_lshl_add_u64 v[6:7], v[2:3], 3, s[8:9]
	v_mov_b32_e32 v2, s22
	s_waitcnt vmcnt(0)
	v_fma_f64 v[10:11], -v[4:5], v[10:11], v[12:13]
	global_store_dwordx2 v[14:15], v[10:11], off
	global_load_dwordx2 v[10:11], v[8:9], off
	s_nop 0
	global_load_dwordx2 v[12:13], v[6:7], off
	s_waitcnt vmcnt(0)
	v_fma_f64 v[4:5], -v[4:5], v[10:11], v[12:13]
	global_store_dwordx2 v[6:7], v[4:5], off
	s_branch .LBB141_24
.LBB141_29:
	s_endpgm
	.section	.rodata,"a",@progbits
	.p2align	6, 0x0
	.amdhsa_kernel _ZN9rocsparseL19gtsv_LBM_rhs_kernelILj256ELj32ELj4EdEEviiiPKT2_S3_S3_PS1_S3_PKi
		.amdhsa_group_segment_fixed_size 0
		.amdhsa_private_segment_fixed_size 0
		.amdhsa_kernarg_size 64
		.amdhsa_user_sgpr_count 2
		.amdhsa_user_sgpr_dispatch_ptr 0
		.amdhsa_user_sgpr_queue_ptr 0
		.amdhsa_user_sgpr_kernarg_segment_ptr 1
		.amdhsa_user_sgpr_dispatch_id 0
		.amdhsa_user_sgpr_kernarg_preload_length 0
		.amdhsa_user_sgpr_kernarg_preload_offset 0
		.amdhsa_user_sgpr_private_segment_size 0
		.amdhsa_uses_dynamic_stack 0
		.amdhsa_enable_private_segment 0
		.amdhsa_system_sgpr_workgroup_id_x 1
		.amdhsa_system_sgpr_workgroup_id_y 1
		.amdhsa_system_sgpr_workgroup_id_z 0
		.amdhsa_system_sgpr_workgroup_info 0
		.amdhsa_system_vgpr_workitem_id 0
		.amdhsa_next_free_vgpr 54
		.amdhsa_next_free_sgpr 32
		.amdhsa_accum_offset 56
		.amdhsa_reserve_vcc 1
		.amdhsa_float_round_mode_32 0
		.amdhsa_float_round_mode_16_64 0
		.amdhsa_float_denorm_mode_32 3
		.amdhsa_float_denorm_mode_16_64 3
		.amdhsa_dx10_clamp 1
		.amdhsa_ieee_mode 1
		.amdhsa_fp16_overflow 0
		.amdhsa_tg_split 0
		.amdhsa_exception_fp_ieee_invalid_op 0
		.amdhsa_exception_fp_denorm_src 0
		.amdhsa_exception_fp_ieee_div_zero 0
		.amdhsa_exception_fp_ieee_overflow 0
		.amdhsa_exception_fp_ieee_underflow 0
		.amdhsa_exception_fp_ieee_inexact 0
		.amdhsa_exception_int_div_zero 0
	.end_amdhsa_kernel
	.section	.text._ZN9rocsparseL19gtsv_LBM_rhs_kernelILj256ELj32ELj4EdEEviiiPKT2_S3_S3_PS1_S3_PKi,"axG",@progbits,_ZN9rocsparseL19gtsv_LBM_rhs_kernelILj256ELj32ELj4EdEEviiiPKT2_S3_S3_PS1_S3_PKi,comdat
.Lfunc_end141:
	.size	_ZN9rocsparseL19gtsv_LBM_rhs_kernelILj256ELj32ELj4EdEEviiiPKT2_S3_S3_PS1_S3_PKi, .Lfunc_end141-_ZN9rocsparseL19gtsv_LBM_rhs_kernelILj256ELj32ELj4EdEEviiiPKT2_S3_S3_PS1_S3_PKi
                                        ; -- End function
	.set _ZN9rocsparseL19gtsv_LBM_rhs_kernelILj256ELj32ELj4EdEEviiiPKT2_S3_S3_PS1_S3_PKi.num_vgpr, 54
	.set _ZN9rocsparseL19gtsv_LBM_rhs_kernelILj256ELj32ELj4EdEEviiiPKT2_S3_S3_PS1_S3_PKi.num_agpr, 0
	.set _ZN9rocsparseL19gtsv_LBM_rhs_kernelILj256ELj32ELj4EdEEviiiPKT2_S3_S3_PS1_S3_PKi.numbered_sgpr, 32
	.set _ZN9rocsparseL19gtsv_LBM_rhs_kernelILj256ELj32ELj4EdEEviiiPKT2_S3_S3_PS1_S3_PKi.num_named_barrier, 0
	.set _ZN9rocsparseL19gtsv_LBM_rhs_kernelILj256ELj32ELj4EdEEviiiPKT2_S3_S3_PS1_S3_PKi.private_seg_size, 0
	.set _ZN9rocsparseL19gtsv_LBM_rhs_kernelILj256ELj32ELj4EdEEviiiPKT2_S3_S3_PS1_S3_PKi.uses_vcc, 1
	.set _ZN9rocsparseL19gtsv_LBM_rhs_kernelILj256ELj32ELj4EdEEviiiPKT2_S3_S3_PS1_S3_PKi.uses_flat_scratch, 0
	.set _ZN9rocsparseL19gtsv_LBM_rhs_kernelILj256ELj32ELj4EdEEviiiPKT2_S3_S3_PS1_S3_PKi.has_dyn_sized_stack, 0
	.set _ZN9rocsparseL19gtsv_LBM_rhs_kernelILj256ELj32ELj4EdEEviiiPKT2_S3_S3_PS1_S3_PKi.has_recursion, 0
	.set _ZN9rocsparseL19gtsv_LBM_rhs_kernelILj256ELj32ELj4EdEEviiiPKT2_S3_S3_PS1_S3_PKi.has_indirect_call, 0
	.section	.AMDGPU.csdata,"",@progbits
; Kernel info:
; codeLenInByte = 2576
; TotalNumSgprs: 38
; NumVgprs: 54
; NumAgprs: 0
; TotalNumVgprs: 54
; ScratchSize: 0
; MemoryBound: 0
; FloatMode: 240
; IeeeMode: 1
; LDSByteSize: 0 bytes/workgroup (compile time only)
; SGPRBlocks: 4
; VGPRBlocks: 6
; NumSGPRsForWavesPerEU: 38
; NumVGPRsForWavesPerEU: 54
; AccumOffset: 56
; Occupancy: 8
; WaveLimiterHint : 0
; COMPUTE_PGM_RSRC2:SCRATCH_EN: 0
; COMPUTE_PGM_RSRC2:USER_SGPR: 2
; COMPUTE_PGM_RSRC2:TRAP_HANDLER: 0
; COMPUTE_PGM_RSRC2:TGID_X_EN: 1
; COMPUTE_PGM_RSRC2:TGID_Y_EN: 1
; COMPUTE_PGM_RSRC2:TGID_Z_EN: 0
; COMPUTE_PGM_RSRC2:TIDIG_COMP_CNT: 0
; COMPUTE_PGM_RSRC3_GFX90A:ACCUM_OFFSET: 13
; COMPUTE_PGM_RSRC3_GFX90A:TG_SPLIT: 0
	.section	.text._ZN9rocsparseL19gtsv_LBM_rhs_kernelILj256ELj32ELj2EdEEviiiPKT2_S3_S3_PS1_S3_PKi,"axG",@progbits,_ZN9rocsparseL19gtsv_LBM_rhs_kernelILj256ELj32ELj2EdEEviiiPKT2_S3_S3_PS1_S3_PKi,comdat
	.globl	_ZN9rocsparseL19gtsv_LBM_rhs_kernelILj256ELj32ELj2EdEEviiiPKT2_S3_S3_PS1_S3_PKi ; -- Begin function _ZN9rocsparseL19gtsv_LBM_rhs_kernelILj256ELj32ELj2EdEEviiiPKT2_S3_S3_PS1_S3_PKi
	.p2align	8
	.type	_ZN9rocsparseL19gtsv_LBM_rhs_kernelILj256ELj32ELj2EdEEviiiPKT2_S3_S3_PS1_S3_PKi,@function
_ZN9rocsparseL19gtsv_LBM_rhs_kernelILj256ELj32ELj2EdEEviiiPKT2_S3_S3_PS1_S3_PKi: ; @_ZN9rocsparseL19gtsv_LBM_rhs_kernelILj256ELj32ELj2EdEEviiiPKT2_S3_S3_PS1_S3_PKi
; %bb.0:
	s_load_dword s23, s[0:1], 0x0
	v_lshl_or_b32 v0, s2, 8, v0
	s_waitcnt lgkmcnt(0)
	s_lshr_b32 s22, s23, 5
	v_cmp_gt_i32_e32 vcc, s22, v0
	s_and_saveexec_b64 s[4:5], vcc
	s_cbranch_execz .LBB142_29
; %bb.1:
	s_load_dwordx4 s[8:11], s[0:1], 0x28
	s_load_dwordx2 s[6:7], s[0:1], 0x38
	s_cmp_lt_i32 s23, 1
	v_add_u32_e32 v30, s22, v0
	s_mul_i32 s24, s3, s23
	s_cbranch_scc1 .LBB142_21
; %bb.2:
	s_load_dwordx4 s[12:15], s[0:1], 0x10
	s_load_dwordx2 s[16:17], s[0:1], 0x20
	v_ashrrev_i32_e32 v1, 31, v0
	s_lshl_b32 s28, s24, 1
	s_mul_i32 s25, s22, 31
	s_waitcnt lgkmcnt(0)
	v_lshl_add_u64 v[2:3], v[0:1], 3, s[14:15]
	global_load_dwordx2 v[4:5], v[2:3], off
	s_mul_i32 s26, s22, 30
	s_lshl_b32 s27, s22, 1
	v_add_u32_e32 v31, s22, v30
	s_add_i32 s29, s28, s23
	v_mov_b32_e32 v3, 0
	s_mov_b64 s[18:19], 0
	v_mov_b32_e32 v1, 0
	s_branch .LBB142_5
.LBB142_3:                              ;   in Loop: Header=BB142_5 Depth=1
	s_or_b64 exec, exec, s[4:5]
	v_fma_f64 v[4:5], -v[4:5], v[20:21], v[8:9]
	v_mov_b32_e32 v2, s22
.LBB142_4:                              ;   in Loop: Header=BB142_5 Depth=1
	s_or_b64 exec, exec, s[2:3]
	v_add_u32_e32 v1, v2, v1
	v_cmp_le_i32_e32 vcc, s23, v1
	s_or_b64 s[18:19], vcc, s[18:19]
	s_andn2_b64 exec, exec, s[18:19]
	s_cbranch_execz .LBB142_20
.LBB142_5:                              ; =>This Inner Loop Header: Depth=1
	v_add_u32_e32 v18, v1, v0
	v_ashrrev_i32_e32 v19, 31, v18
	v_lshl_add_u64 v[6:7], v[18:19], 3, s[16:17]
	global_load_dwordx2 v[12:13], v[6:7], off
	v_cmp_gt_u32_e64 s[0:1], s25, v1
	v_mov_b64_e32 v[8:9], 0
	v_mov_b64_e32 v[6:7], 0
	s_and_saveexec_b64 s[2:3], s[0:1]
	s_cbranch_execz .LBB142_7
; %bb.6:                                ;   in Loop: Header=BB142_5 Depth=1
	v_add_u32_e32 v6, v30, v1
	v_ashrrev_i32_e32 v7, 31, v6
	v_lshl_add_u64 v[6:7], v[6:7], 3, s[12:13]
	global_load_dwordx2 v[6:7], v[6:7], off
.LBB142_7:                              ;   in Loop: Header=BB142_5 Depth=1
	s_or_b64 exec, exec, s[2:3]
	s_and_saveexec_b64 s[2:3], s[0:1]
	s_cbranch_execz .LBB142_9
; %bb.8:                                ;   in Loop: Header=BB142_5 Depth=1
	v_add_u32_e32 v8, v30, v1
	v_ashrrev_i32_e32 v9, 31, v8
	v_lshl_add_u64 v[8:9], v[8:9], 3, s[14:15]
	global_load_dwordx2 v[8:9], v[8:9], off
.LBB142_9:                              ;   in Loop: Header=BB142_5 Depth=1
	s_or_b64 exec, exec, s[2:3]
	v_mov_b64_e32 v[14:15], 0
	v_mov_b64_e32 v[10:11], 0
	s_and_saveexec_b64 s[2:3], s[0:1]
	s_cbranch_execz .LBB142_11
; %bb.10:                               ;   in Loop: Header=BB142_5 Depth=1
	v_add_u32_e32 v10, v30, v1
	v_ashrrev_i32_e32 v11, 31, v10
	v_lshl_add_u64 v[10:11], v[10:11], 3, s[16:17]
	global_load_dwordx2 v[10:11], v[10:11], off
.LBB142_11:                             ;   in Loop: Header=BB142_5 Depth=1
	s_or_b64 exec, exec, s[2:3]
	v_cmp_gt_u32_e64 s[2:3], s26, v1
	s_and_saveexec_b64 s[4:5], s[2:3]
	s_cbranch_execz .LBB142_13
; %bb.12:                               ;   in Loop: Header=BB142_5 Depth=1
	v_add_u32_e32 v14, v31, v1
	v_ashrrev_i32_e32 v15, 31, v14
	v_lshl_add_u64 v[14:15], v[14:15], 3, s[12:13]
	global_load_dwordx2 v[14:15], v[14:15], off
.LBB142_13:                             ;   in Loop: Header=BB142_5 Depth=1
	s_or_b64 exec, exec, s[4:5]
	v_lshl_add_u64 v[16:17], v[18:19], 2, s[6:7]
	global_load_dword v20, v[16:17], off
	v_add_u32_e32 v2, s28, v18
	v_lshl_add_u64 v[16:17], v[2:3], 3, s[8:9]
	v_add_u32_e32 v2, s29, v18
	v_lshl_add_u64 v[18:19], v[2:3], 3, s[8:9]
	global_load_dwordx2 v[22:23], v[16:17], off
	global_load_dwordx2 v[24:25], v[18:19], off
	v_cmp_ne_u32_e32 vcc, s25, v1
	s_waitcnt vmcnt(2)
	v_cmp_ne_u32_e64 s[4:5], 1, v20
	s_and_b64 s[4:5], vcc, s[4:5]
	v_mul_f64 v[20:21], v[12:13], v[6:7]
	s_and_saveexec_b64 s[20:21], s[4:5]
	s_xor_b64 s[4:5], exec, s[20:21]
	s_cbranch_execz .LBB142_17
; %bb.14:                               ;   in Loop: Header=BB142_5 Depth=1
	v_add_u32_e32 v26, v30, v1
	v_add_u32_e32 v2, s28, v26
	v_lshl_add_u64 v[32:33], v[2:3], 3, s[8:9]
	v_add_u32_e32 v2, s29, v26
	v_lshl_add_u64 v[34:35], v[2:3], 3, s[8:9]
	global_load_dwordx2 v[26:27], v[32:33], off
	global_load_dwordx2 v[28:29], v[34:35], off
	v_fma_f64 v[20:21], v[4:5], v[8:9], -v[20:21]
	v_div_scale_f64 v[36:37], s[20:21], v[20:21], v[20:21], 1.0
	v_rcp_f64_e32 v[38:39], v[36:37]
	v_div_scale_f64 v[40:41], vcc, 1.0, v[20:21], 1.0
	v_fma_f64 v[42:43], -v[36:37], v[38:39], 1.0
	v_fmac_f64_e32 v[38:39], v[38:39], v[42:43]
	v_fma_f64 v[42:43], -v[36:37], v[38:39], 1.0
	v_fmac_f64_e32 v[38:39], v[38:39], v[42:43]
	v_mul_f64 v[42:43], v[40:41], v[38:39]
	v_fma_f64 v[36:37], -v[36:37], v[42:43], v[40:41]
	v_div_fmas_f64 v[36:37], v[36:37], v[38:39], v[42:43]
	v_div_fixup_f64 v[20:21], v[36:37], v[20:21], 1.0
	s_waitcnt vmcnt(3)
	v_mul_f64 v[22:23], v[20:21], v[22:23]
	s_waitcnt vmcnt(2)
	v_mul_f64 v[24:25], v[20:21], v[24:25]
	v_mul_f64 v[36:37], v[6:7], v[22:23]
	;; [unrolled: 1-line block ×3, first 2 shown]
	s_waitcnt vmcnt(1)
	v_mul_f64 v[26:27], v[20:21], v[26:27]
	s_waitcnt vmcnt(0)
	v_mul_f64 v[28:29], v[20:21], v[28:29]
	v_mul_f64 v[40:41], v[12:13], v[26:27]
	;; [unrolled: 1-line block ×3, first 2 shown]
	v_fma_f64 v[40:41], v[8:9], v[22:23], -v[40:41]
	v_fma_f64 v[8:9], v[8:9], v[24:25], -v[12:13]
	;; [unrolled: 1-line block ×4, first 2 shown]
	global_store_dwordx2 v[16:17], v[40:41], off
	global_store_dwordx2 v[18:19], v[8:9], off
	;; [unrolled: 1-line block ×4, first 2 shown]
	v_mov_b64_e32 v[8:9], 0
	s_and_saveexec_b64 s[20:21], s[2:3]
	s_cbranch_execz .LBB142_16
; %bb.15:                               ;   in Loop: Header=BB142_5 Depth=1
	v_add_u32_e32 v8, v31, v1
	v_add_u32_e32 v2, s28, v8
	v_ashrrev_i32_e32 v9, 31, v8
	v_lshl_add_u64 v[12:13], v[2:3], 3, s[8:9]
	v_add_u32_e32 v2, s29, v8
	v_lshl_add_u64 v[8:9], v[8:9], 3, s[14:15]
	v_lshl_add_u64 v[16:17], v[2:3], 3, s[8:9]
	global_load_dwordx2 v[18:19], v[12:13], off
	global_load_dwordx2 v[32:33], v[16:17], off
	v_mul_f64 v[4:5], v[4:5], v[14:15]
	global_load_dwordx2 v[8:9], v[8:9], off
	v_mul_f64 v[6:7], v[6:7], v[14:15]
	v_mul_f64 v[14:15], v[4:5], v[26:27]
	v_mul_f64 v[26:27], v[4:5], v[28:29]
	v_mul_f64 v[4:5], v[10:11], v[4:5]
	v_fma_f64 v[10:11], v[6:7], v[22:23], -v[14:15]
	v_fma_f64 v[6:7], v[6:7], v[24:25], -v[26:27]
	s_waitcnt vmcnt(2)
	v_add_f64 v[10:11], v[10:11], v[18:19]
	s_waitcnt vmcnt(1)
	v_add_f64 v[6:7], v[6:7], v[32:33]
	global_store_dwordx2 v[12:13], v[10:11], off
	s_waitcnt vmcnt(1)
	v_fma_f64 v[8:9], -v[20:21], v[4:5], v[8:9]
	global_store_dwordx2 v[16:17], v[6:7], off
.LBB142_16:                             ;   in Loop: Header=BB142_5 Depth=1
	s_or_b64 exec, exec, s[20:21]
	v_mov_b64_e32 v[4:5], v[8:9]
                                        ; implicit-def: $vgpr20_vgpr21
                                        ; implicit-def: $vgpr8_vgpr9
                                        ; implicit-def: $vgpr22_vgpr23
                                        ; implicit-def: $vgpr24_vgpr25
                                        ; implicit-def: $vgpr16_vgpr17
                                        ; implicit-def: $vgpr18_vgpr19
                                        ; implicit-def: $vgpr6_vgpr7
.LBB142_17:                             ;   in Loop: Header=BB142_5 Depth=1
	s_or_saveexec_b64 s[2:3], s[4:5]
	v_mov_b32_e32 v2, s27
	s_xor_b64 exec, exec, s[2:3]
	s_cbranch_execz .LBB142_4
; %bb.18:                               ;   in Loop: Header=BB142_5 Depth=1
	v_div_scale_f64 v[10:11], s[4:5], v[4:5], v[4:5], 1.0
	v_rcp_f64_e32 v[12:13], v[10:11]
	v_div_scale_f64 v[14:15], vcc, 1.0, v[4:5], 1.0
	v_fma_f64 v[26:27], -v[10:11], v[12:13], 1.0
	v_fmac_f64_e32 v[12:13], v[12:13], v[26:27]
	v_fma_f64 v[26:27], -v[10:11], v[12:13], 1.0
	v_fmac_f64_e32 v[12:13], v[12:13], v[26:27]
	v_mul_f64 v[26:27], v[14:15], v[12:13]
	v_fma_f64 v[10:11], -v[10:11], v[26:27], v[14:15]
	v_div_fmas_f64 v[10:11], v[10:11], v[12:13], v[26:27]
	v_div_fixup_f64 v[4:5], v[10:11], v[4:5], 1.0
	s_waitcnt vmcnt(1)
	v_mul_f64 v[12:13], v[4:5], v[22:23]
	s_waitcnt vmcnt(0)
	v_mul_f64 v[10:11], v[4:5], v[24:25]
	global_store_dwordx2 v[16:17], v[12:13], off
	global_store_dwordx2 v[18:19], v[10:11], off
	s_and_saveexec_b64 s[4:5], s[0:1]
	s_cbranch_execz .LBB142_3
; %bb.19:                               ;   in Loop: Header=BB142_5 Depth=1
	v_add_u32_e32 v18, v30, v1
	v_add_u32_e32 v2, s28, v18
	v_lshl_add_u64 v[14:15], v[2:3], 3, s[8:9]
	v_add_u32_e32 v2, s29, v18
	v_lshl_add_u64 v[18:19], v[2:3], 3, s[8:9]
	global_load_dwordx2 v[16:17], v[14:15], off
	global_load_dwordx2 v[22:23], v[18:19], off
	s_waitcnt vmcnt(1)
	v_fma_f64 v[12:13], -v[6:7], v[12:13], v[16:17]
	s_waitcnt vmcnt(0)
	v_fma_f64 v[6:7], -v[6:7], v[10:11], v[22:23]
	global_store_dwordx2 v[14:15], v[12:13], off
	global_store_dwordx2 v[18:19], v[6:7], off
	s_branch .LBB142_3
.LBB142_20:
	s_or_b64 exec, exec, s[18:19]
	s_branch .LBB142_22
.LBB142_21:
	v_mov_b32_e32 v1, 0
.LBB142_22:
	v_subrev_u32_e32 v1, s22, v1
	v_add_u32_e32 v2, v1, v0
	v_ashrrev_i32_e32 v3, 31, v2
	s_waitcnt lgkmcnt(0)
	v_lshl_add_u64 v[2:3], v[2:3], 2, s[6:7]
	buffer_wbl2 sc1
	s_waitcnt vmcnt(0)
	buffer_inv sc1
	global_load_dword v2, v[2:3], off
	s_waitcnt vmcnt(0)
	v_mul_lo_u32 v2, v2, s22
	v_sub_u32_e32 v1, v1, v2
	v_cmp_lt_i32_e32 vcc, -1, v1
	s_and_b64 exec, exec, vcc
	s_cbranch_execz .LBB142_29
; %bb.23:
	s_lshl_b32 s4, s24, 1
	s_add_i32 s5, s4, s23
	s_lshl_b32 s12, s22, 1
	s_mov_b64 s[0:1], 0
	v_mov_b32_e32 v3, 0
	s_branch .LBB142_25
.LBB142_24:                             ;   in Loop: Header=BB142_25 Depth=1
	s_or_b64 exec, exec, s[2:3]
	v_sub_u32_e32 v1, v1, v2
	v_cmp_gt_i32_e32 vcc, 0, v1
	s_or_b64 s[0:1], vcc, s[0:1]
	s_andn2_b64 exec, exec, s[0:1]
	s_cbranch_execz .LBB142_29
.LBB142_25:                             ; =>This Inner Loop Header: Depth=1
	v_add_u32_e32 v6, v1, v0
	v_ashrrev_i32_e32 v7, 31, v6
	s_waitcnt vmcnt(0)
	v_lshl_add_u64 v[4:5], v[6:7], 2, s[6:7]
	global_load_dword v2, v[4:5], off
	v_lshl_add_u64 v[4:5], v[6:7], 3, s[10:11]
	global_load_dwordx2 v[4:5], v[4:5], off
	s_waitcnt vmcnt(1)
	v_cmp_ne_u32_e32 vcc, 1, v2
	s_and_saveexec_b64 s[2:3], vcc
	s_xor_b64 s[2:3], exec, s[2:3]
	s_cbranch_execz .LBB142_27
; %bb.26:                               ;   in Loop: Header=BB142_25 Depth=1
	v_add_u32_e32 v7, v30, v1
	v_add_u32_e32 v2, s4, v7
	v_lshl_add_u64 v[8:9], v[2:3], 3, s[8:9]
	v_add_u32_e32 v2, s5, v7
	v_lshl_add_u64 v[10:11], v[2:3], 3, s[8:9]
	;; [unrolled: 2-line block ×3, first 2 shown]
	global_load_dwordx2 v[14:15], v[8:9], off
	global_load_dwordx2 v[16:17], v[12:13], off
	;; [unrolled: 1-line block ×3, first 2 shown]
	v_add_u32_e32 v2, s5, v6
	v_lshl_add_u64 v[6:7], v[2:3], 3, s[8:9]
	v_subrev_u32_e32 v2, s22, v1
	v_add_u32_e32 v10, v2, v0
	v_ashrrev_i32_e32 v11, 31, v10
	v_add_u32_e32 v2, s4, v10
	s_waitcnt vmcnt(1)
	v_fma_f64 v[8:9], -v[4:5], v[14:15], v[16:17]
	global_store_dwordx2 v[12:13], v[8:9], off
	global_load_dwordx2 v[8:9], v[6:7], off
	v_lshl_add_u64 v[12:13], v[10:11], 3, s[10:11]
	v_lshl_add_u64 v[16:17], v[2:3], 3, s[8:9]
	global_load_dwordx2 v[12:13], v[12:13], off
	v_add_u32_e32 v2, s5, v10
	s_waitcnt vmcnt(1)
	v_fma_f64 v[4:5], -v[4:5], v[18:19], v[8:9]
	global_store_dwordx2 v[6:7], v[4:5], off
	global_load_dwordx2 v[4:5], v[16:17], off
	s_waitcnt vmcnt(0)
	v_fma_f64 v[4:5], -v[12:13], v[14:15], v[4:5]
	global_store_dwordx2 v[16:17], v[4:5], off
	v_lshl_add_u64 v[4:5], v[2:3], 3, s[8:9]
	global_load_dwordx2 v[6:7], v[4:5], off
	s_waitcnt vmcnt(0)
	v_fma_f64 v[6:7], -v[12:13], v[18:19], v[6:7]
	global_store_dwordx2 v[4:5], v[6:7], off
                                        ; implicit-def: $vgpr6
                                        ; implicit-def: $vgpr4_vgpr5
.LBB142_27:                             ;   in Loop: Header=BB142_25 Depth=1
	s_or_saveexec_b64 s[2:3], s[2:3]
	v_mov_b32_e32 v2, s12
	s_xor_b64 exec, exec, s[2:3]
	s_cbranch_execz .LBB142_24
; %bb.28:                               ;   in Loop: Header=BB142_25 Depth=1
	v_add_u32_e32 v7, v30, v1
	v_add_u32_e32 v2, s4, v7
	v_lshl_add_u64 v[8:9], v[2:3], 3, s[8:9]
	v_add_u32_e32 v2, s4, v6
	v_lshl_add_u64 v[10:11], v[2:3], 3, s[8:9]
	global_load_dwordx2 v[12:13], v[8:9], off
	global_load_dwordx2 v[14:15], v[10:11], off
	v_add_u32_e32 v2, s5, v7
	v_lshl_add_u64 v[8:9], v[2:3], 3, s[8:9]
	v_add_u32_e32 v2, s5, v6
	v_lshl_add_u64 v[6:7], v[2:3], 3, s[8:9]
	v_mov_b32_e32 v2, s22
	s_waitcnt vmcnt(0)
	v_fma_f64 v[12:13], -v[4:5], v[12:13], v[14:15]
	global_store_dwordx2 v[10:11], v[12:13], off
	global_load_dwordx2 v[10:11], v[8:9], off
	s_nop 0
	global_load_dwordx2 v[12:13], v[6:7], off
	s_waitcnt vmcnt(0)
	v_fma_f64 v[4:5], -v[4:5], v[10:11], v[12:13]
	global_store_dwordx2 v[6:7], v[4:5], off
	s_branch .LBB142_24
.LBB142_29:
	s_endpgm
	.section	.rodata,"a",@progbits
	.p2align	6, 0x0
	.amdhsa_kernel _ZN9rocsparseL19gtsv_LBM_rhs_kernelILj256ELj32ELj2EdEEviiiPKT2_S3_S3_PS1_S3_PKi
		.amdhsa_group_segment_fixed_size 0
		.amdhsa_private_segment_fixed_size 0
		.amdhsa_kernarg_size 64
		.amdhsa_user_sgpr_count 2
		.amdhsa_user_sgpr_dispatch_ptr 0
		.amdhsa_user_sgpr_queue_ptr 0
		.amdhsa_user_sgpr_kernarg_segment_ptr 1
		.amdhsa_user_sgpr_dispatch_id 0
		.amdhsa_user_sgpr_kernarg_preload_length 0
		.amdhsa_user_sgpr_kernarg_preload_offset 0
		.amdhsa_user_sgpr_private_segment_size 0
		.amdhsa_uses_dynamic_stack 0
		.amdhsa_enable_private_segment 0
		.amdhsa_system_sgpr_workgroup_id_x 1
		.amdhsa_system_sgpr_workgroup_id_y 1
		.amdhsa_system_sgpr_workgroup_id_z 0
		.amdhsa_system_sgpr_workgroup_info 0
		.amdhsa_system_vgpr_workitem_id 0
		.amdhsa_next_free_vgpr 44
		.amdhsa_next_free_sgpr 30
		.amdhsa_accum_offset 44
		.amdhsa_reserve_vcc 1
		.amdhsa_float_round_mode_32 0
		.amdhsa_float_round_mode_16_64 0
		.amdhsa_float_denorm_mode_32 3
		.amdhsa_float_denorm_mode_16_64 3
		.amdhsa_dx10_clamp 1
		.amdhsa_ieee_mode 1
		.amdhsa_fp16_overflow 0
		.amdhsa_tg_split 0
		.amdhsa_exception_fp_ieee_invalid_op 0
		.amdhsa_exception_fp_denorm_src 0
		.amdhsa_exception_fp_ieee_div_zero 0
		.amdhsa_exception_fp_ieee_overflow 0
		.amdhsa_exception_fp_ieee_underflow 0
		.amdhsa_exception_fp_ieee_inexact 0
		.amdhsa_exception_int_div_zero 0
	.end_amdhsa_kernel
	.section	.text._ZN9rocsparseL19gtsv_LBM_rhs_kernelILj256ELj32ELj2EdEEviiiPKT2_S3_S3_PS1_S3_PKi,"axG",@progbits,_ZN9rocsparseL19gtsv_LBM_rhs_kernelILj256ELj32ELj2EdEEviiiPKT2_S3_S3_PS1_S3_PKi,comdat
.Lfunc_end142:
	.size	_ZN9rocsparseL19gtsv_LBM_rhs_kernelILj256ELj32ELj2EdEEviiiPKT2_S3_S3_PS1_S3_PKi, .Lfunc_end142-_ZN9rocsparseL19gtsv_LBM_rhs_kernelILj256ELj32ELj2EdEEviiiPKT2_S3_S3_PS1_S3_PKi
                                        ; -- End function
	.set _ZN9rocsparseL19gtsv_LBM_rhs_kernelILj256ELj32ELj2EdEEviiiPKT2_S3_S3_PS1_S3_PKi.num_vgpr, 44
	.set _ZN9rocsparseL19gtsv_LBM_rhs_kernelILj256ELj32ELj2EdEEviiiPKT2_S3_S3_PS1_S3_PKi.num_agpr, 0
	.set _ZN9rocsparseL19gtsv_LBM_rhs_kernelILj256ELj32ELj2EdEEviiiPKT2_S3_S3_PS1_S3_PKi.numbered_sgpr, 30
	.set _ZN9rocsparseL19gtsv_LBM_rhs_kernelILj256ELj32ELj2EdEEviiiPKT2_S3_S3_PS1_S3_PKi.num_named_barrier, 0
	.set _ZN9rocsparseL19gtsv_LBM_rhs_kernelILj256ELj32ELj2EdEEviiiPKT2_S3_S3_PS1_S3_PKi.private_seg_size, 0
	.set _ZN9rocsparseL19gtsv_LBM_rhs_kernelILj256ELj32ELj2EdEEviiiPKT2_S3_S3_PS1_S3_PKi.uses_vcc, 1
	.set _ZN9rocsparseL19gtsv_LBM_rhs_kernelILj256ELj32ELj2EdEEviiiPKT2_S3_S3_PS1_S3_PKi.uses_flat_scratch, 0
	.set _ZN9rocsparseL19gtsv_LBM_rhs_kernelILj256ELj32ELj2EdEEviiiPKT2_S3_S3_PS1_S3_PKi.has_dyn_sized_stack, 0
	.set _ZN9rocsparseL19gtsv_LBM_rhs_kernelILj256ELj32ELj2EdEEviiiPKT2_S3_S3_PS1_S3_PKi.has_recursion, 0
	.set _ZN9rocsparseL19gtsv_LBM_rhs_kernelILj256ELj32ELj2EdEEviiiPKT2_S3_S3_PS1_S3_PKi.has_indirect_call, 0
	.section	.AMDGPU.csdata,"",@progbits
; Kernel info:
; codeLenInByte = 1768
; TotalNumSgprs: 36
; NumVgprs: 44
; NumAgprs: 0
; TotalNumVgprs: 44
; ScratchSize: 0
; MemoryBound: 0
; FloatMode: 240
; IeeeMode: 1
; LDSByteSize: 0 bytes/workgroup (compile time only)
; SGPRBlocks: 4
; VGPRBlocks: 5
; NumSGPRsForWavesPerEU: 36
; NumVGPRsForWavesPerEU: 44
; AccumOffset: 44
; Occupancy: 8
; WaveLimiterHint : 0
; COMPUTE_PGM_RSRC2:SCRATCH_EN: 0
; COMPUTE_PGM_RSRC2:USER_SGPR: 2
; COMPUTE_PGM_RSRC2:TRAP_HANDLER: 0
; COMPUTE_PGM_RSRC2:TGID_X_EN: 1
; COMPUTE_PGM_RSRC2:TGID_Y_EN: 1
; COMPUTE_PGM_RSRC2:TGID_Z_EN: 0
; COMPUTE_PGM_RSRC2:TIDIG_COMP_CNT: 0
; COMPUTE_PGM_RSRC3_GFX90A:ACCUM_OFFSET: 10
; COMPUTE_PGM_RSRC3_GFX90A:TG_SPLIT: 0
	.section	.text._ZN9rocsparseL19gtsv_LBM_rhs_kernelILj256ELj32ELj1EdEEviiiPKT2_S3_S3_PS1_S3_PKi,"axG",@progbits,_ZN9rocsparseL19gtsv_LBM_rhs_kernelILj256ELj32ELj1EdEEviiiPKT2_S3_S3_PS1_S3_PKi,comdat
	.globl	_ZN9rocsparseL19gtsv_LBM_rhs_kernelILj256ELj32ELj1EdEEviiiPKT2_S3_S3_PS1_S3_PKi ; -- Begin function _ZN9rocsparseL19gtsv_LBM_rhs_kernelILj256ELj32ELj1EdEEviiiPKT2_S3_S3_PS1_S3_PKi
	.p2align	8
	.type	_ZN9rocsparseL19gtsv_LBM_rhs_kernelILj256ELj32ELj1EdEEviiiPKT2_S3_S3_PS1_S3_PKi,@function
_ZN9rocsparseL19gtsv_LBM_rhs_kernelILj256ELj32ELj1EdEEviiiPKT2_S3_S3_PS1_S3_PKi: ; @_ZN9rocsparseL19gtsv_LBM_rhs_kernelILj256ELj32ELj1EdEEviiiPKT2_S3_S3_PS1_S3_PKi
; %bb.0:
	s_load_dword s24, s[0:1], 0x0
	v_lshl_or_b32 v0, s2, 8, v0
	s_waitcnt lgkmcnt(0)
	s_lshr_b32 s22, s24, 5
	v_cmp_gt_i32_e32 vcc, s22, v0
	s_and_saveexec_b64 s[4:5], vcc
	s_cbranch_execz .LBB143_29
; %bb.1:
	s_load_dwordx4 s[8:11], s[0:1], 0x28
	s_load_dwordx2 s[6:7], s[0:1], 0x38
	s_cmp_lt_i32 s24, 1
	s_mul_i32 s23, s24, s3
	s_cbranch_scc1 .LBB143_21
; %bb.2:
	s_load_dwordx4 s[12:15], s[0:1], 0x10
	s_load_dwordx2 s[16:17], s[0:1], 0x20
	v_ashrrev_i32_e32 v1, 31, v0
	v_add_u32_e32 v24, s22, v0
	s_mul_i32 s25, s22, 31
	s_waitcnt lgkmcnt(0)
	v_lshl_add_u64 v[2:3], v[0:1], 3, s[14:15]
	global_load_dwordx2 v[4:5], v[2:3], off
	s_mul_i32 s26, s22, 30
	s_lshl_b32 s27, s22, 1
	v_add_u32_e32 v25, s22, v24
	v_add_u32_e32 v26, s23, v24
	v_mov_b32_e32 v3, 0
	s_mov_b64 s[18:19], 0
	v_mov_b32_e32 v1, 0
	s_branch .LBB143_5
.LBB143_3:                              ;   in Loop: Header=BB143_5 Depth=1
	s_or_b64 exec, exec, s[4:5]
	v_fma_f64 v[4:5], -v[4:5], v[18:19], v[8:9]
	v_mov_b32_e32 v2, s22
.LBB143_4:                              ;   in Loop: Header=BB143_5 Depth=1
	s_or_b64 exec, exec, s[2:3]
	v_add_u32_e32 v1, v2, v1
	v_cmp_le_i32_e32 vcc, s24, v1
	s_or_b64 s[18:19], vcc, s[18:19]
	s_andn2_b64 exec, exec, s[18:19]
	s_cbranch_execz .LBB143_20
.LBB143_5:                              ; =>This Inner Loop Header: Depth=1
	v_add_u32_e32 v16, v1, v0
	v_ashrrev_i32_e32 v17, 31, v16
	v_lshl_add_u64 v[6:7], v[16:17], 3, s[16:17]
	global_load_dwordx2 v[10:11], v[6:7], off
	v_cmp_gt_u32_e64 s[0:1], s25, v1
	v_mov_b64_e32 v[8:9], 0
	v_add_u32_e32 v18, v24, v1
	v_mov_b64_e32 v[6:7], 0
	s_and_saveexec_b64 s[2:3], s[0:1]
	s_cbranch_execz .LBB143_7
; %bb.6:                                ;   in Loop: Header=BB143_5 Depth=1
	v_ashrrev_i32_e32 v19, 31, v18
	v_lshl_add_u64 v[6:7], v[18:19], 3, s[12:13]
	global_load_dwordx2 v[6:7], v[6:7], off
.LBB143_7:                              ;   in Loop: Header=BB143_5 Depth=1
	s_or_b64 exec, exec, s[2:3]
	s_and_saveexec_b64 s[2:3], s[0:1]
	s_cbranch_execz .LBB143_9
; %bb.8:                                ;   in Loop: Header=BB143_5 Depth=1
	v_ashrrev_i32_e32 v19, 31, v18
	v_lshl_add_u64 v[8:9], v[18:19], 3, s[14:15]
	global_load_dwordx2 v[8:9], v[8:9], off
.LBB143_9:                              ;   in Loop: Header=BB143_5 Depth=1
	s_or_b64 exec, exec, s[2:3]
	v_mov_b64_e32 v[14:15], 0
	v_mov_b64_e32 v[12:13], 0
	s_and_saveexec_b64 s[2:3], s[0:1]
	s_cbranch_execz .LBB143_11
; %bb.10:                               ;   in Loop: Header=BB143_5 Depth=1
	v_ashrrev_i32_e32 v19, 31, v18
	v_lshl_add_u64 v[12:13], v[18:19], 3, s[16:17]
	global_load_dwordx2 v[12:13], v[12:13], off
.LBB143_11:                             ;   in Loop: Header=BB143_5 Depth=1
	s_or_b64 exec, exec, s[2:3]
	v_cmp_gt_u32_e64 s[2:3], s26, v1
	s_and_saveexec_b64 s[4:5], s[2:3]
	s_cbranch_execz .LBB143_13
; %bb.12:                               ;   in Loop: Header=BB143_5 Depth=1
	v_add_u32_e32 v14, v25, v1
	v_ashrrev_i32_e32 v15, 31, v14
	v_lshl_add_u64 v[14:15], v[14:15], 3, s[12:13]
	global_load_dwordx2 v[14:15], v[14:15], off
.LBB143_13:                             ;   in Loop: Header=BB143_5 Depth=1
	s_or_b64 exec, exec, s[4:5]
	v_lshl_add_u64 v[18:19], v[16:17], 2, s[6:7]
	global_load_dword v18, v[18:19], off
	v_add_u32_e32 v2, s23, v16
	v_lshl_add_u64 v[16:17], v[2:3], 3, s[8:9]
	global_load_dwordx2 v[20:21], v[16:17], off
	v_cmp_ne_u32_e32 vcc, s25, v1
	s_waitcnt vmcnt(1)
	v_cmp_ne_u32_e64 s[4:5], 1, v18
	s_and_b64 s[4:5], vcc, s[4:5]
	v_mul_f64 v[18:19], v[10:11], v[6:7]
	s_and_saveexec_b64 s[20:21], s[4:5]
	s_xor_b64 s[4:5], exec, s[20:21]
	s_cbranch_execz .LBB143_17
; %bb.14:                               ;   in Loop: Header=BB143_5 Depth=1
	v_add_u32_e32 v2, v26, v1
	v_lshl_add_u64 v[28:29], v[2:3], 3, s[8:9]
	global_load_dwordx2 v[22:23], v[28:29], off
	v_fma_f64 v[18:19], v[4:5], v[8:9], -v[18:19]
	v_div_scale_f64 v[30:31], s[20:21], v[18:19], v[18:19], 1.0
	v_rcp_f64_e32 v[32:33], v[30:31]
	v_div_scale_f64 v[34:35], vcc, 1.0, v[18:19], 1.0
	v_fma_f64 v[36:37], -v[30:31], v[32:33], 1.0
	v_fmac_f64_e32 v[32:33], v[32:33], v[36:37]
	v_fma_f64 v[36:37], -v[30:31], v[32:33], 1.0
	v_fmac_f64_e32 v[32:33], v[32:33], v[36:37]
	v_mul_f64 v[36:37], v[34:35], v[32:33]
	v_fma_f64 v[30:31], -v[30:31], v[36:37], v[34:35]
	v_div_fmas_f64 v[30:31], v[30:31], v[32:33], v[36:37]
	v_div_fixup_f64 v[18:19], v[30:31], v[18:19], 1.0
	s_waitcnt vmcnt(1)
	v_mul_f64 v[20:21], v[18:19], v[20:21]
	v_mul_f64 v[30:31], v[6:7], v[20:21]
	s_waitcnt vmcnt(0)
	v_mul_f64 v[22:23], v[18:19], v[22:23]
	v_mul_f64 v[10:11], v[10:11], v[22:23]
	v_fma_f64 v[8:9], v[8:9], v[20:21], -v[10:11]
	v_fma_f64 v[30:31], v[4:5], v[22:23], -v[30:31]
	global_store_dwordx2 v[16:17], v[8:9], off
	global_store_dwordx2 v[28:29], v[30:31], off
	v_mov_b64_e32 v[8:9], 0
	s_and_saveexec_b64 s[20:21], s[2:3]
	s_cbranch_execz .LBB143_16
; %bb.15:                               ;   in Loop: Header=BB143_5 Depth=1
	v_add_u32_e32 v8, v25, v1
	v_add_u32_e32 v2, s23, v8
	v_ashrrev_i32_e32 v9, 31, v8
	v_lshl_add_u64 v[10:11], v[2:3], 3, s[8:9]
	v_lshl_add_u64 v[8:9], v[8:9], 3, s[14:15]
	global_load_dwordx2 v[16:17], v[10:11], off
	v_mul_f64 v[4:5], v[4:5], v[14:15]
	global_load_dwordx2 v[8:9], v[8:9], off
	v_mul_f64 v[6:7], v[6:7], v[14:15]
	v_mul_f64 v[14:15], v[4:5], v[22:23]
	;; [unrolled: 1-line block ×3, first 2 shown]
	v_fma_f64 v[6:7], v[6:7], v[20:21], -v[14:15]
	s_waitcnt vmcnt(1)
	v_add_f64 v[6:7], v[6:7], v[16:17]
	global_store_dwordx2 v[10:11], v[6:7], off
	s_waitcnt vmcnt(1)
	v_fma_f64 v[8:9], -v[18:19], v[4:5], v[8:9]
.LBB143_16:                             ;   in Loop: Header=BB143_5 Depth=1
	s_or_b64 exec, exec, s[20:21]
	v_mov_b64_e32 v[4:5], v[8:9]
                                        ; implicit-def: $vgpr18_vgpr19
                                        ; implicit-def: $vgpr8_vgpr9
                                        ; implicit-def: $vgpr20_vgpr21
                                        ; implicit-def: $vgpr16_vgpr17
                                        ; implicit-def: $vgpr6_vgpr7
.LBB143_17:                             ;   in Loop: Header=BB143_5 Depth=1
	s_or_saveexec_b64 s[2:3], s[4:5]
	v_mov_b32_e32 v2, s27
	s_xor_b64 exec, exec, s[2:3]
	s_cbranch_execz .LBB143_4
; %bb.18:                               ;   in Loop: Header=BB143_5 Depth=1
	v_div_scale_f64 v[10:11], s[4:5], v[4:5], v[4:5], 1.0
	v_rcp_f64_e32 v[12:13], v[10:11]
	v_div_scale_f64 v[14:15], vcc, 1.0, v[4:5], 1.0
	v_fma_f64 v[22:23], -v[10:11], v[12:13], 1.0
	v_fmac_f64_e32 v[12:13], v[12:13], v[22:23]
	v_fma_f64 v[22:23], -v[10:11], v[12:13], 1.0
	v_fmac_f64_e32 v[12:13], v[12:13], v[22:23]
	v_mul_f64 v[22:23], v[14:15], v[12:13]
	v_fma_f64 v[10:11], -v[10:11], v[22:23], v[14:15]
	v_div_fmas_f64 v[10:11], v[10:11], v[12:13], v[22:23]
	v_div_fixup_f64 v[4:5], v[10:11], v[4:5], 1.0
	s_waitcnt vmcnt(0)
	v_mul_f64 v[10:11], v[4:5], v[20:21]
	global_store_dwordx2 v[16:17], v[10:11], off
	s_and_saveexec_b64 s[4:5], s[0:1]
	s_cbranch_execz .LBB143_3
; %bb.19:                               ;   in Loop: Header=BB143_5 Depth=1
	v_add_u32_e32 v2, v26, v1
	v_lshl_add_u64 v[12:13], v[2:3], 3, s[8:9]
	global_load_dwordx2 v[14:15], v[12:13], off
	s_waitcnt vmcnt(0)
	v_fma_f64 v[6:7], -v[6:7], v[10:11], v[14:15]
	global_store_dwordx2 v[12:13], v[6:7], off
	s_branch .LBB143_3
.LBB143_20:
	s_or_b64 exec, exec, s[18:19]
	s_branch .LBB143_22
.LBB143_21:
	v_mov_b32_e32 v1, 0
.LBB143_22:
	v_subrev_u32_e32 v1, s22, v1
	v_add_u32_e32 v2, v1, v0
	v_ashrrev_i32_e32 v3, 31, v2
	s_waitcnt lgkmcnt(0)
	v_lshl_add_u64 v[2:3], v[2:3], 2, s[6:7]
	buffer_wbl2 sc1
	s_waitcnt vmcnt(0)
	buffer_inv sc1
	global_load_dword v2, v[2:3], off
	s_waitcnt vmcnt(0)
	v_mul_lo_u32 v2, v2, s22
	v_sub_u32_e32 v1, v1, v2
	v_cmp_lt_i32_e32 vcc, -1, v1
	s_and_b64 exec, exec, vcc
	s_cbranch_execz .LBB143_29
; %bb.23:
	s_add_i32 s0, s23, s22
	v_add_u32_e32 v8, s0, v0
	s_lshl_b32 s4, s22, 1
	s_mov_b64 s[0:1], 0
	v_mov_b32_e32 v3, 0
	s_branch .LBB143_25
.LBB143_24:                             ;   in Loop: Header=BB143_25 Depth=1
	s_or_b64 exec, exec, s[2:3]
	v_sub_u32_e32 v1, v1, v2
	v_cmp_gt_i32_e32 vcc, 0, v1
	s_or_b64 s[0:1], vcc, s[0:1]
	s_andn2_b64 exec, exec, s[0:1]
	s_cbranch_execz .LBB143_29
.LBB143_25:                             ; =>This Inner Loop Header: Depth=1
	v_add_u32_e32 v6, v1, v0
	v_ashrrev_i32_e32 v7, 31, v6
	s_waitcnt vmcnt(0)
	v_lshl_add_u64 v[4:5], v[6:7], 2, s[6:7]
	global_load_dword v2, v[4:5], off
	v_lshl_add_u64 v[4:5], v[6:7], 3, s[10:11]
	global_load_dwordx2 v[4:5], v[4:5], off
	s_waitcnt vmcnt(1)
	v_cmp_ne_u32_e32 vcc, 1, v2
	s_and_saveexec_b64 s[2:3], vcc
	s_xor_b64 s[2:3], exec, s[2:3]
	s_cbranch_execz .LBB143_27
; %bb.26:                               ;   in Loop: Header=BB143_25 Depth=1
	v_add_u32_e32 v2, v8, v1
	v_lshl_add_u64 v[10:11], v[2:3], 3, s[8:9]
	v_add_u32_e32 v2, s23, v6
	v_lshl_add_u64 v[6:7], v[2:3], 3, s[8:9]
	global_load_dwordx2 v[12:13], v[10:11], off
	global_load_dwordx2 v[14:15], v[6:7], off
	v_subrev_u32_e32 v2, s22, v1
	v_add_u32_e32 v10, v2, v0
	v_ashrrev_i32_e32 v11, 31, v10
	v_add_u32_e32 v2, s23, v10
	v_lshl_add_u64 v[10:11], v[10:11], 3, s[10:11]
	global_load_dwordx2 v[10:11], v[10:11], off
	s_waitcnt vmcnt(1)
	v_fma_f64 v[4:5], -v[4:5], v[12:13], v[14:15]
	global_store_dwordx2 v[6:7], v[4:5], off
	v_lshl_add_u64 v[4:5], v[2:3], 3, s[8:9]
	global_load_dwordx2 v[6:7], v[4:5], off
	s_waitcnt vmcnt(0)
	v_fma_f64 v[6:7], -v[10:11], v[12:13], v[6:7]
	global_store_dwordx2 v[4:5], v[6:7], off
                                        ; implicit-def: $vgpr6
                                        ; implicit-def: $vgpr4_vgpr5
.LBB143_27:                             ;   in Loop: Header=BB143_25 Depth=1
	s_or_saveexec_b64 s[2:3], s[2:3]
	v_mov_b32_e32 v2, s4
	s_xor_b64 exec, exec, s[2:3]
	s_cbranch_execz .LBB143_24
; %bb.28:                               ;   in Loop: Header=BB143_25 Depth=1
	v_add_u32_e32 v2, v8, v1
	v_lshl_add_u64 v[10:11], v[2:3], 3, s[8:9]
	v_add_u32_e32 v2, s23, v6
	v_lshl_add_u64 v[6:7], v[2:3], 3, s[8:9]
	global_load_dwordx2 v[12:13], v[10:11], off
	global_load_dwordx2 v[14:15], v[6:7], off
	v_mov_b32_e32 v2, s22
	s_waitcnt vmcnt(0)
	v_fma_f64 v[4:5], -v[4:5], v[12:13], v[14:15]
	global_store_dwordx2 v[6:7], v[4:5], off
	s_branch .LBB143_24
.LBB143_29:
	s_endpgm
	.section	.rodata,"a",@progbits
	.p2align	6, 0x0
	.amdhsa_kernel _ZN9rocsparseL19gtsv_LBM_rhs_kernelILj256ELj32ELj1EdEEviiiPKT2_S3_S3_PS1_S3_PKi
		.amdhsa_group_segment_fixed_size 0
		.amdhsa_private_segment_fixed_size 0
		.amdhsa_kernarg_size 64
		.amdhsa_user_sgpr_count 2
		.amdhsa_user_sgpr_dispatch_ptr 0
		.amdhsa_user_sgpr_queue_ptr 0
		.amdhsa_user_sgpr_kernarg_segment_ptr 1
		.amdhsa_user_sgpr_dispatch_id 0
		.amdhsa_user_sgpr_kernarg_preload_length 0
		.amdhsa_user_sgpr_kernarg_preload_offset 0
		.amdhsa_user_sgpr_private_segment_size 0
		.amdhsa_uses_dynamic_stack 0
		.amdhsa_enable_private_segment 0
		.amdhsa_system_sgpr_workgroup_id_x 1
		.amdhsa_system_sgpr_workgroup_id_y 1
		.amdhsa_system_sgpr_workgroup_id_z 0
		.amdhsa_system_sgpr_workgroup_info 0
		.amdhsa_system_vgpr_workitem_id 0
		.amdhsa_next_free_vgpr 38
		.amdhsa_next_free_sgpr 28
		.amdhsa_accum_offset 40
		.amdhsa_reserve_vcc 1
		.amdhsa_float_round_mode_32 0
		.amdhsa_float_round_mode_16_64 0
		.amdhsa_float_denorm_mode_32 3
		.amdhsa_float_denorm_mode_16_64 3
		.amdhsa_dx10_clamp 1
		.amdhsa_ieee_mode 1
		.amdhsa_fp16_overflow 0
		.amdhsa_tg_split 0
		.amdhsa_exception_fp_ieee_invalid_op 0
		.amdhsa_exception_fp_denorm_src 0
		.amdhsa_exception_fp_ieee_div_zero 0
		.amdhsa_exception_fp_ieee_overflow 0
		.amdhsa_exception_fp_ieee_underflow 0
		.amdhsa_exception_fp_ieee_inexact 0
		.amdhsa_exception_int_div_zero 0
	.end_amdhsa_kernel
	.section	.text._ZN9rocsparseL19gtsv_LBM_rhs_kernelILj256ELj32ELj1EdEEviiiPKT2_S3_S3_PS1_S3_PKi,"axG",@progbits,_ZN9rocsparseL19gtsv_LBM_rhs_kernelILj256ELj32ELj1EdEEviiiPKT2_S3_S3_PS1_S3_PKi,comdat
.Lfunc_end143:
	.size	_ZN9rocsparseL19gtsv_LBM_rhs_kernelILj256ELj32ELj1EdEEviiiPKT2_S3_S3_PS1_S3_PKi, .Lfunc_end143-_ZN9rocsparseL19gtsv_LBM_rhs_kernelILj256ELj32ELj1EdEEviiiPKT2_S3_S3_PS1_S3_PKi
                                        ; -- End function
	.set _ZN9rocsparseL19gtsv_LBM_rhs_kernelILj256ELj32ELj1EdEEviiiPKT2_S3_S3_PS1_S3_PKi.num_vgpr, 38
	.set _ZN9rocsparseL19gtsv_LBM_rhs_kernelILj256ELj32ELj1EdEEviiiPKT2_S3_S3_PS1_S3_PKi.num_agpr, 0
	.set _ZN9rocsparseL19gtsv_LBM_rhs_kernelILj256ELj32ELj1EdEEviiiPKT2_S3_S3_PS1_S3_PKi.numbered_sgpr, 28
	.set _ZN9rocsparseL19gtsv_LBM_rhs_kernelILj256ELj32ELj1EdEEviiiPKT2_S3_S3_PS1_S3_PKi.num_named_barrier, 0
	.set _ZN9rocsparseL19gtsv_LBM_rhs_kernelILj256ELj32ELj1EdEEviiiPKT2_S3_S3_PS1_S3_PKi.private_seg_size, 0
	.set _ZN9rocsparseL19gtsv_LBM_rhs_kernelILj256ELj32ELj1EdEEviiiPKT2_S3_S3_PS1_S3_PKi.uses_vcc, 1
	.set _ZN9rocsparseL19gtsv_LBM_rhs_kernelILj256ELj32ELj1EdEEviiiPKT2_S3_S3_PS1_S3_PKi.uses_flat_scratch, 0
	.set _ZN9rocsparseL19gtsv_LBM_rhs_kernelILj256ELj32ELj1EdEEviiiPKT2_S3_S3_PS1_S3_PKi.has_dyn_sized_stack, 0
	.set _ZN9rocsparseL19gtsv_LBM_rhs_kernelILj256ELj32ELj1EdEEviiiPKT2_S3_S3_PS1_S3_PKi.has_recursion, 0
	.set _ZN9rocsparseL19gtsv_LBM_rhs_kernelILj256ELj32ELj1EdEEviiiPKT2_S3_S3_PS1_S3_PKi.has_indirect_call, 0
	.section	.AMDGPU.csdata,"",@progbits
; Kernel info:
; codeLenInByte = 1348
; TotalNumSgprs: 34
; NumVgprs: 38
; NumAgprs: 0
; TotalNumVgprs: 38
; ScratchSize: 0
; MemoryBound: 0
; FloatMode: 240
; IeeeMode: 1
; LDSByteSize: 0 bytes/workgroup (compile time only)
; SGPRBlocks: 4
; VGPRBlocks: 4
; NumSGPRsForWavesPerEU: 34
; NumVGPRsForWavesPerEU: 38
; AccumOffset: 40
; Occupancy: 8
; WaveLimiterHint : 0
; COMPUTE_PGM_RSRC2:SCRATCH_EN: 0
; COMPUTE_PGM_RSRC2:USER_SGPR: 2
; COMPUTE_PGM_RSRC2:TRAP_HANDLER: 0
; COMPUTE_PGM_RSRC2:TGID_X_EN: 1
; COMPUTE_PGM_RSRC2:TGID_Y_EN: 1
; COMPUTE_PGM_RSRC2:TGID_Z_EN: 0
; COMPUTE_PGM_RSRC2:TIDIG_COMP_CNT: 0
; COMPUTE_PGM_RSRC3_GFX90A:ACCUM_OFFSET: 9
; COMPUTE_PGM_RSRC3_GFX90A:TG_SPLIT: 0
	.section	.text._ZN9rocsparseL29gtsv_spike_block_level_kernelILj256ELj32EdEEviiiPT1_PKS1_S4_S2_S2_S2_S2_S2_,"axG",@progbits,_ZN9rocsparseL29gtsv_spike_block_level_kernelILj256ELj32EdEEviiiPT1_PKS1_S4_S2_S2_S2_S2_S2_,comdat
	.globl	_ZN9rocsparseL29gtsv_spike_block_level_kernelILj256ELj32EdEEviiiPT1_PKS1_S4_S2_S2_S2_S2_S2_ ; -- Begin function _ZN9rocsparseL29gtsv_spike_block_level_kernelILj256ELj32EdEEviiiPT1_PKS1_S4_S2_S2_S2_S2_S2_
	.p2align	8
	.type	_ZN9rocsparseL29gtsv_spike_block_level_kernelILj256ELj32EdEEviiiPT1_PKS1_S4_S2_S2_S2_S2_S2_,@function
_ZN9rocsparseL29gtsv_spike_block_level_kernelILj256ELj32EdEEviiiPT1_PKS1_S4_S2_S2_S2_S2_S2_: ; @_ZN9rocsparseL29gtsv_spike_block_level_kernelILj256ELj32EdEEviiiPT1_PKS1_S4_S2_S2_S2_S2_S2_
; %bb.0:
	s_load_dword s14, s[0:1], 0x0
	s_load_dwordx2 s[8:9], s[0:1], 0x18
	v_lshl_or_b32 v2, s2, 8, v0
	v_mov_b64_e32 v[4:5], 0
	v_mov_b64_e32 v[8:9], 0
	s_waitcnt lgkmcnt(0)
	s_lshr_b32 s18, s14, 5
	v_cmp_gt_i32_e64 s[4:5], s18, v2
	s_and_saveexec_b64 s[6:7], s[4:5]
	s_cbranch_execz .LBB144_2
; %bb.1:
	v_ashrrev_i32_e32 v3, 31, v2
	v_lshl_add_u64 v[6:7], v[2:3], 3, s[8:9]
	global_load_dwordx2 v[8:9], v[6:7], off
.LBB144_2:
	s_or_b64 exec, exec, s[6:7]
	s_load_dwordx2 s[6:7], s[0:1], 0x20
	v_lshlrev_b32_e32 v1, 3, v0
	v_or_b32_e32 v6, 0x1000, v1
	s_waitcnt vmcnt(0)
	ds_write_b64 v1, v[8:9] offset:4096
	s_and_saveexec_b64 s[10:11], s[4:5]
	s_cbranch_execz .LBB144_4
; %bb.3:
	v_mad_u64_u32 v[4:5], s[12:13], s18, 31, v[2:3]
	v_mov_b32_e32 v5, 0
	v_lshl_add_u64 v[4:5], v[4:5], 3, s[8:9]
	global_load_dwordx2 v[4:5], v[4:5], off
.LBB144_4:
	s_or_b64 exec, exec, s[10:11]
	s_waitcnt vmcnt(0)
	ds_write_b64 v6, v[4:5] offset:2048
	v_mov_b64_e32 v[4:5], 0
	v_mov_b64_e32 v[8:9], 0
	s_and_saveexec_b64 s[8:9], s[4:5]
	s_cbranch_execz .LBB144_6
; %bb.5:
	v_ashrrev_i32_e32 v3, 31, v2
	s_waitcnt lgkmcnt(0)
	v_lshl_add_u64 v[8:9], v[2:3], 3, s[6:7]
	global_load_dwordx2 v[8:9], v[8:9], off
.LBB144_6:
	s_or_b64 exec, exec, s[8:9]
	s_load_dwordx2 s[12:13], s[0:1], 0x10
	s_waitcnt vmcnt(0)
	ds_write_b64 v1, v[8:9]
	s_and_saveexec_b64 s[8:9], s[4:5]
	s_cbranch_execz .LBB144_8
; %bb.7:
	v_mad_u64_u32 v[4:5], s[10:11], s18, 31, v[2:3]
	v_mov_b32_e32 v5, 0
	s_waitcnt lgkmcnt(0)
	v_lshl_add_u64 v[4:5], v[4:5], 3, s[6:7]
	global_load_dwordx2 v[4:5], v[4:5], off
.LBB144_8:
	s_or_b64 exec, exec, s[8:9]
	s_mul_i32 s14, s14, s3
	s_waitcnt vmcnt(0)
	ds_write_b64 v1, v[4:5] offset:2048
	v_mov_b64_e32 v[8:9], 0
	v_add_u32_e32 v4, s14, v2
	v_mov_b64_e32 v[10:11], 0
	s_waitcnt lgkmcnt(0)
	s_and_saveexec_b64 s[6:7], s[4:5]
	s_cbranch_execz .LBB144_10
; %bb.9:
	v_ashrrev_i32_e32 v5, 31, v4
	v_lshl_add_u64 v[10:11], v[4:5], 3, s[12:13]
	global_load_dwordx2 v[10:11], v[10:11], off
.LBB144_10:
	s_or_b64 exec, exec, s[6:7]
	v_or_b32_e32 v5, 0x2000, v1
	s_mul_i32 s19, s18, 31
	s_waitcnt vmcnt(0)
	ds_write_b64 v1, v[10:11] offset:8192
	s_and_saveexec_b64 s[6:7], s[4:5]
	s_cbranch_execz .LBB144_12
; %bb.11:
	s_mul_i32 s8, s18, 31
	s_add_i32 s8, s8, s14
	v_add_u32_e32 v8, s8, v2
	v_mov_b32_e32 v9, 0
	v_lshl_add_u64 v[8:9], v[8:9], 3, s[12:13]
	global_load_dwordx2 v[8:9], v[8:9], off
.LBB144_12:
	s_or_b64 exec, exec, s[6:7]
	s_movk_i32 s6, 0x80
	v_cmp_gt_u32_e32 vcc, s6, v0
	s_waitcnt vmcnt(0)
	ds_write_b64 v5, v[8:9] offset:2048
	s_waitcnt lgkmcnt(0)
	s_barrier
	s_and_saveexec_b64 s[6:7], vcc
	s_cbranch_execz .LBB144_14
; %bb.13:
	v_add_u32_e32 v3, v6, v1
	ds_read_b128 v[8:11], v3
	v_add_u32_e32 v7, v1, v1
	ds_read_b128 v[12:15], v7 offset:2048
	ds_read_b128 v[16:19], v7
	ds_read_b128 v[20:23], v3 offset:2048
	v_add_u32_e32 v42, v5, v1
	s_waitcnt lgkmcnt(2)
	v_fma_f64 v[32:33], -v[10:11], v[12:13], 1.0
	v_div_scale_f64 v[34:35], s[8:9], v[32:33], v[32:33], 1.0
	v_rcp_f64_e32 v[36:37], v[34:35]
	v_div_scale_f64 v[38:39], vcc, 1.0, v[32:33], 1.0
	v_fma_f64 v[24:25], -v[34:35], v[36:37], 1.0
	v_fmac_f64_e32 v[36:37], v[36:37], v[24:25]
	v_fma_f64 v[24:25], -v[34:35], v[36:37], 1.0
	v_fmac_f64_e32 v[36:37], v[36:37], v[24:25]
	ds_read_b128 v[24:27], v42 offset:2048
	ds_read_b128 v[28:31], v42
	v_mul_f64 v[40:41], v[38:39], v[36:37]
	v_fma_f64 v[34:35], -v[34:35], v[40:41], v[38:39]
	v_div_fmas_f64 v[34:35], v[34:35], v[36:37], v[40:41]
	v_div_fixup_f64 v[36:37], v[34:35], v[32:33], 1.0
	s_waitcnt lgkmcnt(0)
	v_fma_f64 v[32:33], -v[12:13], v[30:31], v[24:25]
	v_fma_f64 v[24:25], -v[10:11], v[24:25], v[30:31]
	v_mul_f64 v[12:13], v[12:13], v[18:19]
	v_mul_f64 v[10:11], v[10:11], v[20:21]
	;; [unrolled: 1-line block ×4, first 2 shown]
	v_mul_f64 v[12:13], v[12:13], -v[36:37]
	v_mul_f64 v[18:19], v[36:37], v[18:19]
	v_mul_f64 v[10:11], v[10:11], -v[36:37]
	v_mul_f64 v[20:21], v[36:37], v[20:21]
	v_fma_f64 v[28:29], -v[30:31], v[16:17], v[28:29]
	v_fma_f64 v[34:35], -v[22:23], v[32:33], v[26:27]
	;; [unrolled: 1-line block ×3, first 2 shown]
	v_mul_f64 v[16:17], v[18:19], -v[16:17]
	v_fma_f64 v[14:15], -v[12:13], v[22:23], v[14:15]
	v_mul_f64 v[22:23], v[20:21], -v[22:23]
	ds_write_b128 v42, v[28:31]
	ds_write_b128 v42, v[32:35] offset:2048
	ds_write_b128 v3, v[8:11]
	ds_write_b128 v7, v[16:19]
	ds_write_b128 v7, v[12:15] offset:2048
	ds_write_b128 v3, v[20:23] offset:2048
.LBB144_14:
	s_or_b64 exec, exec, s[6:7]
	v_cmp_gt_u32_e32 vcc, 64, v0
	s_waitcnt lgkmcnt(0)
	s_barrier
	s_and_saveexec_b64 s[6:7], vcc
	s_cbranch_execz .LBB144_16
; %bb.15:
	v_lshlrev_b32_e32 v3, 5, v0
	v_add_u32_e32 v7, 0x1000, v3
	v_add_u32_e32 v36, 0x800, v3
	ds_read2_b64 v[8:11], v7 offset1:2
	ds_read2_b64 v[12:15], v36 offset0:1 offset1:3
	v_mad_u32_u24 v37, v0, 24, v5
	v_add_u32_e32 v38, 0x800, v37
	v_add_u32_e32 v39, 0x1800, v3
	s_waitcnt lgkmcnt(0)
	v_fma_f64 v[24:25], -v[10:11], v[12:13], 1.0
	v_div_scale_f64 v[26:27], s[8:9], v[24:25], v[24:25], 1.0
	v_rcp_f64_e32 v[28:29], v[26:27]
	v_div_scale_f64 v[30:31], vcc, 1.0, v[24:25], 1.0
	v_fma_f64 v[16:17], -v[26:27], v[28:29], 1.0
	v_fmac_f64_e32 v[28:29], v[28:29], v[16:17]
	v_fma_f64 v[16:17], -v[26:27], v[28:29], 1.0
	v_fmac_f64_e32 v[28:29], v[28:29], v[16:17]
	ds_read2_b64 v[16:19], v38 offset0:1 offset1:3
	ds_read2_b64 v[20:23], v37 offset1:2
	v_mul_f64 v[32:33], v[30:31], v[28:29]
	v_fma_f64 v[26:27], -v[26:27], v[32:33], v[30:31]
	v_div_fmas_f64 v[26:27], v[26:27], v[28:29], v[32:33]
	v_div_fixup_f64 v[32:33], v[26:27], v[24:25], 1.0
	s_waitcnt lgkmcnt(0)
	v_fma_f64 v[24:25], -v[12:13], v[22:23], v[16:17]
	v_mul_f64 v[34:35], v[32:33], v[24:25]
	ds_read2_b64 v[24:27], v3 offset1:2
	ds_read2_b64 v[28:31], v39 offset0:1 offset1:3
	v_fma_f64 v[16:17], -v[10:11], v[16:17], v[22:23]
	v_mul_f64 v[16:17], v[16:17], v[32:33]
	s_waitcnt lgkmcnt(1)
	v_fma_f64 v[20:21], -v[16:17], v[24:25], v[20:21]
	s_waitcnt lgkmcnt(0)
	v_mul_f64 v[10:11], v[10:11], v[28:29]
	ds_write2_b64 v37, v[20:21], v[16:17] offset1:2
	v_fma_f64 v[16:17], -v[30:31], v[34:35], v[18:19]
	v_mul_f64 v[10:11], v[10:11], -v[32:33]
	ds_write2_b64 v38, v[34:35], v[16:17] offset0:1 offset1:3
	v_mul_f64 v[12:13], v[12:13], v[26:27]
	v_mul_f64 v[16:17], v[32:33], v[26:27]
	v_fma_f64 v[8:9], -v[10:11], v[24:25], v[8:9]
	v_mul_f64 v[12:13], v[12:13], -v[32:33]
	ds_write2_b64 v7, v[8:9], v[10:11] offset1:2
	v_mul_f64 v[8:9], v[16:17], -v[24:25]
	v_mul_f64 v[18:19], v[32:33], v[28:29]
	ds_write2_b64 v3, v[8:9], v[16:17] offset1:2
	v_fma_f64 v[8:9], -v[12:13], v[30:31], v[14:15]
	ds_write2_b64 v36, v[12:13], v[8:9] offset0:1 offset1:3
	v_mul_f64 v[8:9], v[18:19], -v[30:31]
	ds_write2_b64 v39, v[18:19], v[8:9] offset0:1 offset1:3
.LBB144_16:
	s_or_b64 exec, exec, s[6:7]
	v_cmp_gt_u32_e32 vcc, 32, v0
	s_waitcnt lgkmcnt(0)
	s_barrier
	s_and_saveexec_b64 s[6:7], vcc
	s_cbranch_execz .LBB144_18
; %bb.17:
	v_lshlrev_b32_e32 v3, 6, v0
	v_add_u32_e32 v7, 0x1000, v3
	v_add_u32_e32 v36, 0x800, v3
	ds_read2_b64 v[8:11], v7 offset1:4
	ds_read2_b64 v[12:15], v36 offset0:3 offset1:7
	v_add_u32_e32 v37, 0x2800, v3
	v_add_u32_e32 v38, 0x2000, v3
	ds_read2_b64 v[16:19], v37 offset0:3 offset1:7
	v_add_u32_e32 v39, 0x1800, v3
	s_waitcnt lgkmcnt(1)
	v_fma_f64 v[24:25], -v[10:11], v[12:13], 1.0
	v_div_scale_f64 v[26:27], s[8:9], v[24:25], v[24:25], 1.0
	v_rcp_f64_e32 v[28:29], v[26:27]
	v_div_scale_f64 v[30:31], vcc, 1.0, v[24:25], 1.0
	v_fma_f64 v[20:21], -v[26:27], v[28:29], 1.0
	v_fmac_f64_e32 v[28:29], v[28:29], v[20:21]
	v_fma_f64 v[20:21], -v[26:27], v[28:29], 1.0
	v_fmac_f64_e32 v[28:29], v[28:29], v[20:21]
	ds_read2_b64 v[20:23], v38 offset1:4
	v_mul_f64 v[32:33], v[30:31], v[28:29]
	v_fma_f64 v[26:27], -v[26:27], v[32:33], v[30:31]
	v_div_fmas_f64 v[26:27], v[26:27], v[28:29], v[32:33]
	v_div_fixup_f64 v[32:33], v[26:27], v[24:25], 1.0
	s_waitcnt lgkmcnt(0)
	v_fma_f64 v[24:25], -v[12:13], v[22:23], v[16:17]
	v_mul_f64 v[34:35], v[32:33], v[24:25]
	ds_read2_b64 v[24:27], v3 offset1:4
	ds_read2_b64 v[28:31], v39 offset0:3 offset1:7
	v_fma_f64 v[16:17], -v[10:11], v[16:17], v[22:23]
	v_mul_f64 v[16:17], v[16:17], v[32:33]
	s_waitcnt lgkmcnt(1)
	v_fma_f64 v[20:21], -v[16:17], v[24:25], v[20:21]
	s_waitcnt lgkmcnt(0)
	v_mul_f64 v[10:11], v[10:11], v[28:29]
	ds_write2_b64 v38, v[20:21], v[16:17] offset1:4
	v_fma_f64 v[16:17], -v[30:31], v[34:35], v[18:19]
	v_mul_f64 v[10:11], v[10:11], -v[32:33]
	ds_write2_b64 v37, v[34:35], v[16:17] offset0:3 offset1:7
	v_mul_f64 v[12:13], v[12:13], v[26:27]
	v_mul_f64 v[16:17], v[32:33], v[26:27]
	v_fma_f64 v[8:9], -v[10:11], v[24:25], v[8:9]
	v_mul_f64 v[12:13], v[12:13], -v[32:33]
	ds_write2_b64 v7, v[8:9], v[10:11] offset1:4
	v_mul_f64 v[8:9], v[16:17], -v[24:25]
	v_mul_f64 v[18:19], v[32:33], v[28:29]
	ds_write2_b64 v3, v[8:9], v[16:17] offset1:4
	v_fma_f64 v[8:9], -v[12:13], v[30:31], v[14:15]
	ds_write2_b64 v36, v[12:13], v[8:9] offset0:3 offset1:7
	v_mul_f64 v[8:9], v[18:19], -v[30:31]
	ds_write2_b64 v39, v[18:19], v[8:9] offset0:3 offset1:7
.LBB144_18:
	s_or_b64 exec, exec, s[6:7]
	v_cmp_gt_u32_e32 vcc, 16, v0
	s_waitcnt lgkmcnt(0)
	s_barrier
	s_and_saveexec_b64 s[6:7], vcc
	s_cbranch_execz .LBB144_20
; %bb.19:
	v_lshlrev_b32_e32 v3, 7, v0
	v_add_u32_e32 v7, 0x1000, v3
	v_add_u32_e32 v36, 0x800, v3
	ds_read2_b64 v[8:11], v7 offset1:8
	ds_read2_b64 v[12:15], v36 offset0:7 offset1:15
	v_add_u32_e32 v37, 0x2800, v3
	v_add_u32_e32 v38, 0x2000, v3
	ds_read2_b64 v[16:19], v37 offset0:7 offset1:15
	v_add_u32_e32 v39, 0x1800, v3
	s_waitcnt lgkmcnt(1)
	v_fma_f64 v[24:25], -v[10:11], v[12:13], 1.0
	v_div_scale_f64 v[26:27], s[8:9], v[24:25], v[24:25], 1.0
	v_rcp_f64_e32 v[28:29], v[26:27]
	v_div_scale_f64 v[30:31], vcc, 1.0, v[24:25], 1.0
	v_fma_f64 v[20:21], -v[26:27], v[28:29], 1.0
	v_fmac_f64_e32 v[28:29], v[28:29], v[20:21]
	v_fma_f64 v[20:21], -v[26:27], v[28:29], 1.0
	v_fmac_f64_e32 v[28:29], v[28:29], v[20:21]
	ds_read2_b64 v[20:23], v38 offset1:8
	v_mul_f64 v[32:33], v[30:31], v[28:29]
	v_fma_f64 v[26:27], -v[26:27], v[32:33], v[30:31]
	v_div_fmas_f64 v[26:27], v[26:27], v[28:29], v[32:33]
	v_div_fixup_f64 v[32:33], v[26:27], v[24:25], 1.0
	s_waitcnt lgkmcnt(0)
	v_fma_f64 v[24:25], -v[12:13], v[22:23], v[16:17]
	v_mul_f64 v[34:35], v[32:33], v[24:25]
	ds_read2_b64 v[24:27], v3 offset1:8
	ds_read2_b64 v[28:31], v39 offset0:7 offset1:15
	v_fma_f64 v[16:17], -v[10:11], v[16:17], v[22:23]
	v_mul_f64 v[16:17], v[16:17], v[32:33]
	s_waitcnt lgkmcnt(1)
	v_fma_f64 v[20:21], -v[16:17], v[24:25], v[20:21]
	s_waitcnt lgkmcnt(0)
	v_mul_f64 v[10:11], v[10:11], v[28:29]
	ds_write2_b64 v38, v[20:21], v[16:17] offset1:8
	v_fma_f64 v[16:17], -v[30:31], v[34:35], v[18:19]
	v_mul_f64 v[10:11], v[10:11], -v[32:33]
	ds_write2_b64 v37, v[34:35], v[16:17] offset0:7 offset1:15
	v_mul_f64 v[12:13], v[12:13], v[26:27]
	v_mul_f64 v[16:17], v[32:33], v[26:27]
	v_fma_f64 v[8:9], -v[10:11], v[24:25], v[8:9]
	v_mul_f64 v[12:13], v[12:13], -v[32:33]
	ds_write2_b64 v7, v[8:9], v[10:11] offset1:8
	v_mul_f64 v[8:9], v[16:17], -v[24:25]
	v_mul_f64 v[18:19], v[32:33], v[28:29]
	ds_write2_b64 v3, v[8:9], v[16:17] offset1:8
	v_fma_f64 v[8:9], -v[12:13], v[30:31], v[14:15]
	ds_write2_b64 v36, v[12:13], v[8:9] offset0:7 offset1:15
	v_mul_f64 v[8:9], v[18:19], -v[30:31]
	ds_write2_b64 v39, v[18:19], v[8:9] offset0:7 offset1:15
.LBB144_20:
	s_or_b64 exec, exec, s[6:7]
	v_cmp_gt_u32_e32 vcc, 8, v0
	s_waitcnt lgkmcnt(0)
	s_barrier
	s_and_saveexec_b64 s[6:7], vcc
	s_cbranch_execz .LBB144_22
; %bb.21:
	v_lshlrev_b32_e32 v3, 8, v0
	v_add_u32_e32 v7, 0x1000, v3
	v_add_u32_e32 v36, 0x800, v3
	ds_read2_b64 v[8:11], v7 offset1:16
	ds_read2_b64 v[12:15], v36 offset0:15 offset1:31
	v_add_u32_e32 v37, 0x2800, v3
	v_add_u32_e32 v38, 0x2000, v3
	ds_read2_b64 v[16:19], v37 offset0:15 offset1:31
	v_add_u32_e32 v39, 0x1800, v3
	s_waitcnt lgkmcnt(1)
	v_fma_f64 v[24:25], -v[10:11], v[12:13], 1.0
	v_div_scale_f64 v[26:27], s[8:9], v[24:25], v[24:25], 1.0
	v_rcp_f64_e32 v[28:29], v[26:27]
	v_div_scale_f64 v[30:31], vcc, 1.0, v[24:25], 1.0
	v_fma_f64 v[20:21], -v[26:27], v[28:29], 1.0
	v_fmac_f64_e32 v[28:29], v[28:29], v[20:21]
	v_fma_f64 v[20:21], -v[26:27], v[28:29], 1.0
	v_fmac_f64_e32 v[28:29], v[28:29], v[20:21]
	ds_read2_b64 v[20:23], v38 offset1:16
	v_mul_f64 v[32:33], v[30:31], v[28:29]
	v_fma_f64 v[26:27], -v[26:27], v[32:33], v[30:31]
	v_div_fmas_f64 v[26:27], v[26:27], v[28:29], v[32:33]
	v_div_fixup_f64 v[32:33], v[26:27], v[24:25], 1.0
	s_waitcnt lgkmcnt(0)
	v_fma_f64 v[24:25], -v[12:13], v[22:23], v[16:17]
	v_mul_f64 v[34:35], v[32:33], v[24:25]
	ds_read2_b64 v[24:27], v3 offset1:16
	ds_read2_b64 v[28:31], v39 offset0:15 offset1:31
	v_fma_f64 v[16:17], -v[10:11], v[16:17], v[22:23]
	v_mul_f64 v[16:17], v[16:17], v[32:33]
	s_waitcnt lgkmcnt(1)
	v_fma_f64 v[20:21], -v[16:17], v[24:25], v[20:21]
	s_waitcnt lgkmcnt(0)
	v_mul_f64 v[10:11], v[10:11], v[28:29]
	ds_write2_b64 v38, v[20:21], v[16:17] offset1:16
	v_fma_f64 v[16:17], -v[30:31], v[34:35], v[18:19]
	v_mul_f64 v[10:11], v[10:11], -v[32:33]
	ds_write2_b64 v37, v[34:35], v[16:17] offset0:15 offset1:31
	v_mul_f64 v[12:13], v[12:13], v[26:27]
	v_mul_f64 v[16:17], v[32:33], v[26:27]
	v_fma_f64 v[8:9], -v[10:11], v[24:25], v[8:9]
	v_mul_f64 v[12:13], v[12:13], -v[32:33]
	ds_write2_b64 v7, v[8:9], v[10:11] offset1:16
	v_mul_f64 v[8:9], v[16:17], -v[24:25]
	v_mul_f64 v[18:19], v[32:33], v[28:29]
	ds_write2_b64 v3, v[8:9], v[16:17] offset1:16
	v_fma_f64 v[8:9], -v[12:13], v[30:31], v[14:15]
	ds_write2_b64 v36, v[12:13], v[8:9] offset0:15 offset1:31
	v_mul_f64 v[8:9], v[18:19], -v[30:31]
	ds_write2_b64 v39, v[18:19], v[8:9] offset0:15 offset1:31
.LBB144_22:
	s_or_b64 exec, exec, s[6:7]
	v_cmp_gt_u32_e32 vcc, 4, v0
	s_waitcnt lgkmcnt(0)
	s_barrier
	s_and_saveexec_b64 s[6:7], vcc
	s_cbranch_execz .LBB144_24
; %bb.23:
	v_lshlrev_b32_e32 v3, 9, v0
	v_add_u32_e32 v7, 0x1000, v3
	v_add_u32_e32 v36, 0x800, v3
	ds_read2_b64 v[8:11], v7 offset1:32
	ds_read2_b64 v[12:15], v36 offset0:31 offset1:63
	v_add_u32_e32 v37, 0x2800, v3
	v_add_u32_e32 v38, 0x2000, v3
	ds_read2_b64 v[16:19], v37 offset0:31 offset1:63
	v_add_u32_e32 v39, 0x1800, v3
	s_waitcnt lgkmcnt(1)
	v_fma_f64 v[24:25], -v[10:11], v[12:13], 1.0
	v_div_scale_f64 v[26:27], s[8:9], v[24:25], v[24:25], 1.0
	v_rcp_f64_e32 v[28:29], v[26:27]
	v_div_scale_f64 v[30:31], vcc, 1.0, v[24:25], 1.0
	v_fma_f64 v[20:21], -v[26:27], v[28:29], 1.0
	v_fmac_f64_e32 v[28:29], v[28:29], v[20:21]
	v_fma_f64 v[20:21], -v[26:27], v[28:29], 1.0
	v_fmac_f64_e32 v[28:29], v[28:29], v[20:21]
	ds_read2_b64 v[20:23], v38 offset1:32
	v_mul_f64 v[32:33], v[30:31], v[28:29]
	v_fma_f64 v[26:27], -v[26:27], v[32:33], v[30:31]
	v_div_fmas_f64 v[26:27], v[26:27], v[28:29], v[32:33]
	v_div_fixup_f64 v[32:33], v[26:27], v[24:25], 1.0
	s_waitcnt lgkmcnt(0)
	v_fma_f64 v[24:25], -v[12:13], v[22:23], v[16:17]
	v_mul_f64 v[34:35], v[32:33], v[24:25]
	ds_read2_b64 v[24:27], v3 offset1:32
	ds_read2_b64 v[28:31], v39 offset0:31 offset1:63
	v_fma_f64 v[16:17], -v[10:11], v[16:17], v[22:23]
	v_mul_f64 v[16:17], v[16:17], v[32:33]
	s_waitcnt lgkmcnt(1)
	v_fma_f64 v[20:21], -v[16:17], v[24:25], v[20:21]
	s_waitcnt lgkmcnt(0)
	v_mul_f64 v[10:11], v[10:11], v[28:29]
	ds_write2_b64 v38, v[20:21], v[16:17] offset1:32
	v_fma_f64 v[16:17], -v[30:31], v[34:35], v[18:19]
	v_mul_f64 v[10:11], v[10:11], -v[32:33]
	ds_write2_b64 v37, v[34:35], v[16:17] offset0:31 offset1:63
	v_mul_f64 v[12:13], v[12:13], v[26:27]
	v_mul_f64 v[16:17], v[32:33], v[26:27]
	v_fma_f64 v[8:9], -v[10:11], v[24:25], v[8:9]
	v_mul_f64 v[12:13], v[12:13], -v[32:33]
	ds_write2_b64 v7, v[8:9], v[10:11] offset1:32
	v_mul_f64 v[8:9], v[16:17], -v[24:25]
	v_mul_f64 v[18:19], v[32:33], v[28:29]
	ds_write2_b64 v3, v[8:9], v[16:17] offset1:32
	v_fma_f64 v[8:9], -v[12:13], v[30:31], v[14:15]
	ds_write2_b64 v36, v[12:13], v[8:9] offset0:31 offset1:63
	v_mul_f64 v[8:9], v[18:19], -v[30:31]
	ds_write2_b64 v39, v[18:19], v[8:9] offset0:31 offset1:63
.LBB144_24:
	s_or_b64 exec, exec, s[6:7]
	v_cmp_gt_u32_e32 vcc, 2, v0
	s_waitcnt lgkmcnt(0)
	s_barrier
	s_and_saveexec_b64 s[6:7], vcc
	s_cbranch_execz .LBB144_26
; %bb.25:
	v_lshlrev_b32_e32 v3, 10, v0
	v_add_u32_e32 v7, 0x1f8, v3
	ds_read2st64_b64 v[8:11], v7 offset0:4 offset1:5
	ds_read2st64_b64 v[12:15], v3 offset0:8 offset1:9
	ds_read2st64_b64 v[16:19], v3 offset1:1
	ds_read2st64_b64 v[20:23], v7 offset0:12 offset1:13
	ds_read2st64_b64 v[24:27], v7 offset0:20 offset1:21
	s_waitcnt lgkmcnt(3)
	v_fma_f64 v[32:33], -v[14:15], v[8:9], 1.0
	v_div_scale_f64 v[34:35], s[8:9], v[32:33], v[32:33], 1.0
	v_rcp_f64_e32 v[36:37], v[34:35]
	v_div_scale_f64 v[38:39], vcc, 1.0, v[32:33], 1.0
	v_fma_f64 v[28:29], -v[34:35], v[36:37], 1.0
	v_fmac_f64_e32 v[36:37], v[36:37], v[28:29]
	v_fma_f64 v[28:29], -v[34:35], v[36:37], 1.0
	v_fmac_f64_e32 v[36:37], v[36:37], v[28:29]
	ds_read2st64_b64 v[28:31], v3 offset0:16 offset1:17
	v_mul_f64 v[40:41], v[38:39], v[36:37]
	v_fma_f64 v[34:35], -v[34:35], v[40:41], v[38:39]
	v_div_fmas_f64 v[34:35], v[34:35], v[36:37], v[40:41]
	v_div_fixup_f64 v[32:33], v[34:35], v[32:33], 1.0
	s_waitcnt lgkmcnt(0)
	v_fma_f64 v[34:35], -v[8:9], v[30:31], v[24:25]
	v_fma_f64 v[24:25], -v[14:15], v[24:25], v[30:31]
	v_mul_f64 v[8:9], v[8:9], v[18:19]
	v_mul_f64 v[14:15], v[14:15], v[20:21]
	;; [unrolled: 1-line block ×3, first 2 shown]
	v_mul_f64 v[8:9], v[8:9], -v[32:33]
	v_mul_f64 v[14:15], v[14:15], -v[32:33]
	v_mul_f64 v[34:35], v[32:33], v[34:35]
	v_fma_f64 v[28:29], -v[24:25], v[16:17], v[28:29]
	v_mul_f64 v[18:19], v[32:33], v[18:19]
	v_mul_f64 v[20:21], v[32:33], v[20:21]
	v_fma_f64 v[12:13], -v[14:15], v[16:17], v[12:13]
	v_fma_f64 v[10:11], -v[8:9], v[22:23], v[10:11]
	ds_write2st64_b64 v3, v[28:29], v[24:25] offset0:16 offset1:17
	v_fma_f64 v[24:25], -v[22:23], v[34:35], v[26:27]
	ds_write2st64_b64 v3, v[12:13], v[14:15] offset0:8 offset1:9
	v_mul_f64 v[12:13], v[18:19], -v[16:17]
	ds_write2st64_b64 v7, v[8:9], v[10:11] offset0:4 offset1:5
	v_mul_f64 v[8:9], v[20:21], -v[22:23]
	ds_write2st64_b64 v7, v[34:35], v[24:25] offset0:20 offset1:21
	ds_write2st64_b64 v3, v[12:13], v[18:19] offset1:1
	ds_write2st64_b64 v7, v[20:21], v[8:9] offset0:12 offset1:13
.LBB144_26:
	s_or_b64 exec, exec, s[6:7]
	v_cmp_eq_u32_e64 s[6:7], 0, v0
	s_waitcnt lgkmcnt(0)
	s_barrier
	s_and_saveexec_b64 s[8:9], s[6:7]
	s_cbranch_execz .LBB144_28
; %bb.27:
	s_movk_i32 s10, 0x1400
	v_add_u32_e64 v3, s10, 0
	v_mov_b32_e32 v0, 0
	ds_read2_b64 v[8:11], v3 offset1:255
	ds_read_b64 v[24:25], v0 offset:3064
	ds_read_b64 v[26:27], v0 offset:12280
	v_mov_b32_e32 v34, 0x1ff8
	s_waitcnt lgkmcnt(1)
	v_fma_f64 v[16:17], -v[8:9], v[24:25], 1.0
	v_div_scale_f64 v[18:19], s[10:11], v[16:17], v[16:17], 1.0
	v_rcp_f64_e32 v[20:21], v[18:19]
	s_movk_i32 s10, 0x2400
	v_add_u32_e64 v7, s10, 0
	v_div_scale_f64 v[22:23], vcc, 1.0, v[16:17], 1.0
	v_fma_f64 v[12:13], -v[18:19], v[20:21], 1.0
	v_fmac_f64_e32 v[20:21], v[20:21], v[12:13]
	v_fma_f64 v[12:13], -v[18:19], v[20:21], 1.0
	v_fmac_f64_e32 v[20:21], v[20:21], v[12:13]
	ds_read2_b64 v[12:15], v7 offset1:255
	v_mul_f64 v[28:29], v[22:23], v[20:21]
	v_fma_f64 v[18:19], -v[18:19], v[28:29], v[22:23]
	v_div_fmas_f64 v[18:19], v[18:19], v[20:21], v[28:29]
	v_div_fixup_f64 v[28:29], v[18:19], v[16:17], 1.0
	s_waitcnt lgkmcnt(0)
	v_fma_f64 v[16:17], -v[24:25], v[12:13], v[14:15]
	v_fma_f64 v[20:21], -v[8:9], v[14:15], v[12:13]
	v_mul_f64 v[30:31], v[28:29], v[16:17]
	v_mul_f64 v[32:33], v[20:21], v[28:29]
	ds_read2_b64 v[12:15], v34 offset1:1
	ds_read2st64_b64 v[16:19], v0 offset1:2
	ds_write2_b64 v7, v[32:33], v[30:31] offset1:255
	v_mov_b32_e32 v7, 0xff8
	ds_read2_b64 v[20:23], v7 offset1:1
	v_mul_f64 v[8:9], v[8:9], v[10:11]
	s_waitcnt lgkmcnt(2)
	v_mul_f64 v[24:25], v[24:25], v[18:19]
	v_mul_f64 v[18:19], v[28:29], v[18:19]
	v_mul_f64 v[8:9], v[8:9], -v[28:29]
	v_mul_f64 v[10:11], v[28:29], v[10:11]
	v_fma_f64 v[14:15], -v[32:33], v[16:17], v[14:15]
	v_mul_f64 v[24:25], v[24:25], -v[28:29]
	ds_write2_b64 v3, v[8:9], v[10:11] offset1:255
	s_waitcnt lgkmcnt(1)
	v_fma_f64 v[8:9], -v[8:9], v[16:17], v[22:23]
	v_mul_f64 v[16:17], v[18:19], -v[16:17]
	ds_write2st64_b64 v0, v[16:17], v[18:19] offset1:2
	v_fma_f64 v[16:17], -v[24:25], v[12:13], v[20:21]
	v_fma_f64 v[26:27], -v[12:13], v[30:31], v[26:27]
	ds_write2_b64 v7, v[16:17], v[8:9] offset1:1
	v_mul_f64 v[8:9], v[10:11], -v[12:13]
	ds_write_b64 v0, v[26:27] offset:12280
	ds_write_b64 v0, v[24:25] offset:3064
	ds_write2_b64 v34, v[8:9], v[14:15] offset1:1
.LBB144_28:
	s_or_b64 exec, exec, s[8:9]
	s_load_dwordx2 s[14:15], s[0:1], 0x48
	s_load_dwordx4 s[8:11], s[0:1], 0x38
	s_waitcnt lgkmcnt(0)
	s_barrier
	s_and_saveexec_b64 s[16:17], s[4:5]
	s_cbranch_execnz .LBB144_31
; %bb.29:
	s_or_b64 exec, exec, s[16:17]
	s_and_saveexec_b64 s[4:5], s[6:7]
	s_cbranch_execnz .LBB144_35
.LBB144_30:
	s_endpgm
.LBB144_31:
	s_cmp_eq_u32 s3, 0
	s_cbranch_scc1 .LBB144_39
; %bb.32:
	s_mul_i32 s18, s18, 31
	s_cbranch_execnz .LBB144_34
.LBB144_33:
	s_load_dwordx4 s[20:23], s[0:1], 0x28
	ds_read2st64_b64 v[6:9], v6 offset1:4
	v_ashrrev_i32_e32 v3, 31, v2
	v_lshlrev_b64 v[12:13], 3, v[2:3]
	v_add_u32_e32 v10, s19, v2
	s_waitcnt lgkmcnt(0)
	v_lshl_add_u64 v[2:3], s[20:21], 0, v[12:13]
	global_store_dwordx2 v[2:3], v[6:7], off
	ds_read2st64_b64 v[0:3], v1 offset1:4
	v_mov_b32_e32 v11, 0
	v_lshlrev_b64 v[6:7], 3, v[10:11]
	v_lshl_add_u64 v[10:11], s[20:21], 0, v[6:7]
	global_store_dwordx2 v[10:11], v[8:9], off
	v_lshl_add_u64 v[8:9], s[22:23], 0, v[12:13]
	s_waitcnt lgkmcnt(0)
	global_store_dwordx2 v[8:9], v[0:1], off
	v_lshl_add_u64 v[0:1], s[22:23], 0, v[6:7]
	s_mov_b32 s18, s19
	global_store_dwordx2 v[0:1], v[2:3], off
.LBB144_34:
	ds_read2st64_b64 v[0:3], v5 offset1:4
	v_ashrrev_i32_e32 v5, 31, v4
	v_add_u32_e32 v6, s18, v4
	v_mov_b32_e32 v7, 0
	v_lshl_add_u64 v[4:5], v[4:5], 3, s[12:13]
	s_waitcnt lgkmcnt(0)
	global_store_dwordx2 v[4:5], v[0:1], off
	v_lshl_add_u64 v[0:1], v[6:7], 3, s[12:13]
	global_store_dwordx2 v[0:1], v[2:3], off
	s_or_b64 exec, exec, s[16:17]
	s_and_saveexec_b64 s[4:5], s[6:7]
	s_cbranch_execz .LBB144_30
.LBB144_35:
	s_cmp_eq_u32 s3, 0
	s_cbranch_scc1 .LBB144_40
; %bb.36:
	s_load_dword s6, s[0:1], 0x50
	s_cbranch_execnz .LBB144_38
.LBB144_37:
	s_waitcnt lgkmcnt(0)
	s_load_dword s6, s[0:1], 0x50
	v_mov_b32_e32 v0, 0xff8
	ds_read2_b64 v[6:9], v0 offset1:1
	s_mov_b32 s4, s3
	s_ashr_i32 s3, s2, 31
	s_lshl_b64 s[12:13], s[2:3], 3
	v_mov_b32_e32 v4, 0
	s_mov_b32 s3, s4
	s_add_u32 s4, s10, s12
	ds_read_b64 v[2:3], v4 offset:8184
	s_addc_u32 s5, s11, s13
	s_waitcnt lgkmcnt(0)
	s_add_i32 s0, s6, s2
	s_mov_b32 s1, 0
	s_lshl_b64 s[0:1], s[0:1], 3
	global_store_dwordx2 v4, v[8:9], s[4:5]
	s_add_u32 s4, s10, s0
	ds_read_b64 v[0:1], v4
	s_addc_u32 s5, s11, s1
	global_store_dwordx2 v4, v[2:3], s[4:5]
	s_add_u32 s4, s14, s12
	s_addc_u32 s5, s15, s13
	s_add_u32 s0, s14, s0
	s_addc_u32 s1, s15, s1
	s_waitcnt lgkmcnt(0)
	global_store_dwordx2 v4, v[0:1], s[4:5]
	global_store_dwordx2 v4, v[6:7], s[0:1]
.LBB144_38:
	s_waitcnt lgkmcnt(0)
	s_mul_i32 s0, s6, s3
	s_lshl_b32 s0, s0, 1
	s_add_i32 s0, s0, s2
	s_mov_b32 s1, 0
	v_mov_b32_e32 v4, 0
	s_lshl_b64 s[2:3], s[0:1], 3
	ds_read_b64 v[0:1], v4 offset:8192
	ds_read_b64 v[2:3], v4 offset:12280
	s_add_u32 s2, s8, s2
	s_addc_u32 s3, s9, s3
	s_add_i32 s0, s0, s6
	s_lshl_b64 s[0:1], s[0:1], 3
	s_add_u32 s0, s8, s0
	s_addc_u32 s1, s9, s1
	s_waitcnt lgkmcnt(1)
	global_store_dwordx2 v4, v[0:1], s[2:3]
	s_waitcnt lgkmcnt(0)
	global_store_dwordx2 v4, v[2:3], s[0:1]
	s_endpgm
.LBB144_39:
                                        ; implicit-def: $sgpr18
	s_branch .LBB144_33
.LBB144_40:
                                        ; implicit-def: $sgpr6
	s_branch .LBB144_37
	.section	.rodata,"a",@progbits
	.p2align	6, 0x0
	.amdhsa_kernel _ZN9rocsparseL29gtsv_spike_block_level_kernelILj256ELj32EdEEviiiPT1_PKS1_S4_S2_S2_S2_S2_S2_
		.amdhsa_group_segment_fixed_size 12288
		.amdhsa_private_segment_fixed_size 0
		.amdhsa_kernarg_size 336
		.amdhsa_user_sgpr_count 2
		.amdhsa_user_sgpr_dispatch_ptr 0
		.amdhsa_user_sgpr_queue_ptr 0
		.amdhsa_user_sgpr_kernarg_segment_ptr 1
		.amdhsa_user_sgpr_dispatch_id 0
		.amdhsa_user_sgpr_kernarg_preload_length 0
		.amdhsa_user_sgpr_kernarg_preload_offset 0
		.amdhsa_user_sgpr_private_segment_size 0
		.amdhsa_uses_dynamic_stack 0
		.amdhsa_enable_private_segment 0
		.amdhsa_system_sgpr_workgroup_id_x 1
		.amdhsa_system_sgpr_workgroup_id_y 1
		.amdhsa_system_sgpr_workgroup_id_z 0
		.amdhsa_system_sgpr_workgroup_info 0
		.amdhsa_system_vgpr_workitem_id 0
		.amdhsa_next_free_vgpr 43
		.amdhsa_next_free_sgpr 24
		.amdhsa_accum_offset 44
		.amdhsa_reserve_vcc 1
		.amdhsa_float_round_mode_32 0
		.amdhsa_float_round_mode_16_64 0
		.amdhsa_float_denorm_mode_32 3
		.amdhsa_float_denorm_mode_16_64 3
		.amdhsa_dx10_clamp 1
		.amdhsa_ieee_mode 1
		.amdhsa_fp16_overflow 0
		.amdhsa_tg_split 0
		.amdhsa_exception_fp_ieee_invalid_op 0
		.amdhsa_exception_fp_denorm_src 0
		.amdhsa_exception_fp_ieee_div_zero 0
		.amdhsa_exception_fp_ieee_overflow 0
		.amdhsa_exception_fp_ieee_underflow 0
		.amdhsa_exception_fp_ieee_inexact 0
		.amdhsa_exception_int_div_zero 0
	.end_amdhsa_kernel
	.section	.text._ZN9rocsparseL29gtsv_spike_block_level_kernelILj256ELj32EdEEviiiPT1_PKS1_S4_S2_S2_S2_S2_S2_,"axG",@progbits,_ZN9rocsparseL29gtsv_spike_block_level_kernelILj256ELj32EdEEviiiPT1_PKS1_S4_S2_S2_S2_S2_S2_,comdat
.Lfunc_end144:
	.size	_ZN9rocsparseL29gtsv_spike_block_level_kernelILj256ELj32EdEEviiiPT1_PKS1_S4_S2_S2_S2_S2_S2_, .Lfunc_end144-_ZN9rocsparseL29gtsv_spike_block_level_kernelILj256ELj32EdEEviiiPT1_PKS1_S4_S2_S2_S2_S2_S2_
                                        ; -- End function
	.set _ZN9rocsparseL29gtsv_spike_block_level_kernelILj256ELj32EdEEviiiPT1_PKS1_S4_S2_S2_S2_S2_S2_.num_vgpr, 43
	.set _ZN9rocsparseL29gtsv_spike_block_level_kernelILj256ELj32EdEEviiiPT1_PKS1_S4_S2_S2_S2_S2_S2_.num_agpr, 0
	.set _ZN9rocsparseL29gtsv_spike_block_level_kernelILj256ELj32EdEEviiiPT1_PKS1_S4_S2_S2_S2_S2_S2_.numbered_sgpr, 24
	.set _ZN9rocsparseL29gtsv_spike_block_level_kernelILj256ELj32EdEEviiiPT1_PKS1_S4_S2_S2_S2_S2_S2_.num_named_barrier, 0
	.set _ZN9rocsparseL29gtsv_spike_block_level_kernelILj256ELj32EdEEviiiPT1_PKS1_S4_S2_S2_S2_S2_S2_.private_seg_size, 0
	.set _ZN9rocsparseL29gtsv_spike_block_level_kernelILj256ELj32EdEEviiiPT1_PKS1_S4_S2_S2_S2_S2_S2_.uses_vcc, 1
	.set _ZN9rocsparseL29gtsv_spike_block_level_kernelILj256ELj32EdEEviiiPT1_PKS1_S4_S2_S2_S2_S2_S2_.uses_flat_scratch, 0
	.set _ZN9rocsparseL29gtsv_spike_block_level_kernelILj256ELj32EdEEviiiPT1_PKS1_S4_S2_S2_S2_S2_S2_.has_dyn_sized_stack, 0
	.set _ZN9rocsparseL29gtsv_spike_block_level_kernelILj256ELj32EdEEviiiPT1_PKS1_S4_S2_S2_S2_S2_S2_.has_recursion, 0
	.set _ZN9rocsparseL29gtsv_spike_block_level_kernelILj256ELj32EdEEviiiPT1_PKS1_S4_S2_S2_S2_S2_S2_.has_indirect_call, 0
	.section	.AMDGPU.csdata,"",@progbits
; Kernel info:
; codeLenInByte = 4028
; TotalNumSgprs: 30
; NumVgprs: 43
; NumAgprs: 0
; TotalNumVgprs: 43
; ScratchSize: 0
; MemoryBound: 0
; FloatMode: 240
; IeeeMode: 1
; LDSByteSize: 12288 bytes/workgroup (compile time only)
; SGPRBlocks: 3
; VGPRBlocks: 5
; NumSGPRsForWavesPerEU: 30
; NumVGPRsForWavesPerEU: 43
; AccumOffset: 44
; Occupancy: 8
; WaveLimiterHint : 0
; COMPUTE_PGM_RSRC2:SCRATCH_EN: 0
; COMPUTE_PGM_RSRC2:USER_SGPR: 2
; COMPUTE_PGM_RSRC2:TRAP_HANDLER: 0
; COMPUTE_PGM_RSRC2:TGID_X_EN: 1
; COMPUTE_PGM_RSRC2:TGID_Y_EN: 1
; COMPUTE_PGM_RSRC2:TGID_Z_EN: 0
; COMPUTE_PGM_RSRC2:TIDIG_COMP_CNT: 0
; COMPUTE_PGM_RSRC3_GFX90A:ACCUM_OFFSET: 10
; COMPUTE_PGM_RSRC3_GFX90A:TG_SPLIT: 0
	.section	.text._ZN9rocsparseL33gtsv_solve_spike_propagate_kernelILj256ELj32EdEEviiiPT1_PKS1_S4_S4_,"axG",@progbits,_ZN9rocsparseL33gtsv_solve_spike_propagate_kernelILj256ELj32EdEEviiiPT1_PKS1_S4_S4_,comdat
	.globl	_ZN9rocsparseL33gtsv_solve_spike_propagate_kernelILj256ELj32EdEEviiiPT1_PKS1_S4_S4_ ; -- Begin function _ZN9rocsparseL33gtsv_solve_spike_propagate_kernelILj256ELj32EdEEviiiPT1_PKS1_S4_S4_
	.p2align	8
	.type	_ZN9rocsparseL33gtsv_solve_spike_propagate_kernelILj256ELj32EdEEviiiPT1_PKS1_S4_S4_,@function
_ZN9rocsparseL33gtsv_solve_spike_propagate_kernelILj256ELj32EdEEviiiPT1_PKS1_S4_S4_: ; @_ZN9rocsparseL33gtsv_solve_spike_propagate_kernelILj256ELj32EdEEviiiPT1_PKS1_S4_S4_
; %bb.0:
	s_load_dword s8, s[0:1], 0x0
	v_lshl_or_b32 v2, s2, 8, v0
	v_mov_b64_e32 v[4:5], 0
	v_ashrrev_i32_e32 v3, 31, v2
	v_mov_b64_e32 v[6:7], 0
	s_waitcnt lgkmcnt(0)
	s_lshr_b32 s14, s8, 5
	v_cmp_le_i32_e64 s[4:5], s14, v2
	v_cmp_gt_i32_e32 vcc, s14, v2
	s_and_saveexec_b64 s[6:7], vcc
	s_cbranch_execz .LBB145_2
; %bb.1:
	s_load_dwordx2 s[10:11], s[0:1], 0x18
	v_mad_u64_u32 v[4:5], s[12:13], s14, 31, v[2:3]
	v_mov_b32_e32 v5, 0
	s_waitcnt lgkmcnt(0)
	v_lshl_add_u64 v[8:9], v[2:3], 3, s[10:11]
	v_lshl_add_u64 v[10:11], v[4:5], 3, s[10:11]
	global_load_dwordx2 v[4:5], v[8:9], off
	global_load_dwordx2 v[6:7], v[10:11], off
.LBB145_2:
	s_or_b64 exec, exec, s[6:7]
	s_load_dwordx2 s[6:7], s[0:1], 0x10
	v_lshlrev_b32_e32 v1, 3, v0
	v_add_u32_e32 v8, 16, v1
	s_waitcnt vmcnt(0)
	ds_write2st64_b64 v8, v[4:5], v[6:7] offset0:16 offset1:20
	s_and_saveexec_b64 s[10:11], s[4:5]
	s_xor_b64 s[4:5], exec, s[10:11]
; %bb.3:
	s_mov_b32 s10, 0
	s_mov_b32 s11, s10
	v_mov_b64_e32 v[4:5], s[10:11]
	ds_write2st64_b64 v8, v[4:5], v[4:5] offset0:8 offset1:12
; %bb.4:
	s_or_saveexec_b64 s[4:5], s[4:5]
	v_mov_b64_e32 v[4:5], 0
	s_mul_i32 s8, s8, s3
	v_mov_b64_e32 v[6:7], 0
	s_xor_b64 exec, exec, s[4:5]
	s_cbranch_execz .LBB145_6
; %bb.5:
	s_load_dwordx2 s[10:11], s[0:1], 0x20
	v_mad_u64_u32 v[6:7], s[12:13], s14, 31, v[2:3]
	v_mov_b32_e32 v7, 0
	s_waitcnt lgkmcnt(0)
	v_lshl_add_u64 v[10:11], v[6:7], 3, s[10:11]
	v_add_u32_e32 v6, s8, v6
	v_lshl_add_u64 v[8:9], v[2:3], 3, s[10:11]
	v_lshl_add_u64 v[6:7], v[6:7], 3, s[6:7]
	global_load_dwordx2 v[12:13], v[8:9], off
	global_load_dwordx2 v[14:15], v[10:11], off
	v_add_u32_e32 v3, 16, v1
	global_load_dwordx2 v[6:7], v[6:7], off
	s_waitcnt vmcnt(1)
	ds_write2st64_b64 v3, v[12:13], v[14:15] offset0:8 offset1:12
.LBB145_6:
	s_or_b64 exec, exec, s[4:5]
	v_add_u32_e32 v2, s8, v2
	s_waitcnt vmcnt(0)
	ds_write_b64 v1, v[6:7] offset:8
	s_and_saveexec_b64 s[4:5], vcc
	s_cbranch_execz .LBB145_8
; %bb.7:
	v_ashrrev_i32_e32 v3, 31, v2
	s_waitcnt lgkmcnt(0)
	v_lshl_add_u64 v[4:5], v[2:3], 3, s[6:7]
	global_load_dwordx2 v[4:5], v[4:5], off
.LBB145_8:
	s_or_b64 exec, exec, s[4:5]
	v_cmp_eq_u32_e64 s[4:5], 0, v0
	s_waitcnt vmcnt(0)
	ds_write_b64 v1, v[4:5] offset:2056
	s_waitcnt lgkmcnt(0)
	s_barrier
	s_and_saveexec_b64 s[8:9], s[4:5]
	s_cbranch_execz .LBB145_14
; %bb.9:
	s_load_dword s15, s[0:1], 0x30
	s_load_dwordx2 s[10:11], s[0:1], 0x28
	s_cmp_lt_i32 s2, 1
	s_mov_b64 s[0:1], 0
	s_mov_b64 s[12:13], 0
	s_waitcnt lgkmcnt(0)
	s_mul_i32 s3, s3, s15
	s_cbranch_scc1 .LBB145_11
; %bb.10:
	s_lshl_b32 s12, s3, 1
	s_add_i32 s13, s2, s15
	s_add_i32 s12, s13, s12
	s_add_i32 s12, s12, -1
	s_mov_b32 s13, 0
	s_lshl_b64 s[12:13], s[12:13], 3
	s_add_u32 s12, s10, s12
	s_addc_u32 s13, s11, s13
	s_load_dwordx2 s[12:13], s[12:13], 0x0
.LBB145_11:
	s_waitcnt lgkmcnt(0)
	v_mov_b64_e32 v[4:5], s[12:13]
	s_add_i32 s12, s15, -1
	v_mov_b32_e32 v3, 0
	s_cmp_ge_u32 s2, s12
	ds_write_b64 v3, v[4:5]
	s_cbranch_scc1 .LBB145_13
; %bb.12:
	s_lshl_b32 s0, s3, 1
	s_add_i32 s0, s2, s0
	s_add_i32 s0, s0, 1
	s_mov_b32 s1, 0
	s_lshl_b64 s[0:1], s[0:1], 3
	s_add_u32 s0, s10, s0
	s_addc_u32 s1, s11, s1
	s_load_dwordx2 s[0:1], s[0:1], 0x0
.LBB145_13:
	s_lshl_b32 s3, s3, 1
	s_add_i32 s2, s3, s2
	s_mov_b32 s3, 0
	s_lshl_b64 s[12:13], s[2:3], 3
	s_add_u32 s12, s10, s12
	s_addc_u32 s13, s11, s13
	s_add_i32 s2, s2, s15
	s_lshl_b64 s[2:3], s[2:3], 3
	s_add_u32 s2, s10, s2
	s_addc_u32 s3, s11, s3
	s_load_dwordx2 s[10:11], s[2:3], 0x0
	s_load_dwordx2 s[16:17], s[12:13], 0x0
	s_waitcnt lgkmcnt(0)
	v_mov_b64_e32 v[4:5], s[0:1]
	ds_write_b64 v3, v[4:5] offset:4104
	v_mov_b32_e32 v4, s10
	v_mov_b32_e32 v5, s11
	;; [unrolled: 1-line block ×4, first 2 shown]
	ds_write_b128 v3, v[4:7] offset:2048
.LBB145_14:
	s_or_b64 exec, exec, s[8:9]
	s_waitcnt lgkmcnt(0)
	s_barrier
	s_and_saveexec_b64 s[0:1], s[4:5]
	s_cbranch_execz .LBB145_16
; %bb.15:
	s_movk_i32 s2, 0x1410
	v_mov_b32_e32 v3, 0
	v_add_u32_e64 v8, s2, 0
	v_add_u32_e64 v12, 8, 0
	s_movk_i32 s2, 0x2410
	ds_read2st64_b64 v[4:7], v3 offset1:2
	ds_read2_b64 v[8:11], v8 offset1:255
	ds_read2st64_b64 v[12:15], v12 offset0:6 offset1:8
	v_add_u32_e64 v16, s2, 0
	ds_read2_b64 v[16:19], v16 offset1:255
	s_waitcnt lgkmcnt(1)
	v_fma_f64 v[6:7], -v[10:11], v[14:15], v[6:7]
	s_waitcnt lgkmcnt(0)
	v_fma_f64 v[6:7], -v[18:19], v[4:5], v[6:7]
	ds_write_b64 v3, v[6:7] offset:1024
	v_fma_f64 v[6:7], -v[8:9], v[14:15], v[12:13]
	v_fma_f64 v[4:5], -v[16:17], v[4:5], v[6:7]
	ds_write_b64 v3, v[4:5] offset:3080
.LBB145_16:
	s_or_b64 exec, exec, s[0:1]
	v_cmp_gt_u32_e64 s[0:1], 2, v0
	s_waitcnt lgkmcnt(0)
	s_barrier
	s_and_saveexec_b64 s[2:3], s[0:1]
	s_cbranch_execz .LBB145_18
; %bb.17:
	s_movk_i32 s0, 0x3f8
	v_mad_u32_u24 v3, v0, s0, v1
	v_lshlrev_b32_e32 v16, 10, v0
	v_add_u32_e32 v8, 0x1210, v16
	v_add_u32_e32 v12, 8, v3
	ds_read2st64_b64 v[4:7], v3 offset1:1
	ds_read2_b64 v[8:11], v8 offset1:255
	ds_read2st64_b64 v[12:15], v12 offset0:5 offset1:6
	v_add_u32_e32 v16, 0x2210, v16
	ds_read2_b64 v[16:19], v16 offset1:255
	s_waitcnt lgkmcnt(1)
	v_fma_f64 v[6:7], -v[10:11], v[14:15], v[6:7]
	s_waitcnt lgkmcnt(0)
	v_fma_f64 v[6:7], -v[18:19], v[4:5], v[6:7]
	ds_write_b64 v3, v[6:7] offset:512
	v_fma_f64 v[6:7], -v[8:9], v[14:15], v[12:13]
	v_fma_f64 v[4:5], -v[16:17], v[4:5], v[6:7]
	ds_write_b64 v3, v[4:5] offset:2568
.LBB145_18:
	s_or_b64 exec, exec, s[2:3]
	v_cmp_gt_u32_e64 s[0:1], 4, v0
	s_waitcnt lgkmcnt(0)
	s_barrier
	s_and_saveexec_b64 s[2:3], s[0:1]
	s_cbranch_execz .LBB145_20
; %bb.19:
	v_lshlrev_b32_e32 v3, 9, v0
	v_add_u32_e32 v8, 0x1110, v3
	v_add_u32_e32 v12, 0x800, v3
	ds_read2_b64 v[4:7], v3 offset1:32
	ds_read2_b64 v[8:11], v8 offset1:255
	ds_read2_b64 v[12:15], v12 offset0:33 offset1:65
	v_add_u32_e32 v16, 0x2110, v3
	ds_read2_b64 v[16:19], v16 offset1:255
	s_waitcnt lgkmcnt(1)
	v_fma_f64 v[6:7], -v[10:11], v[14:15], v[6:7]
	s_waitcnt lgkmcnt(0)
	v_fma_f64 v[6:7], -v[18:19], v[4:5], v[6:7]
	ds_write_b64 v3, v[6:7] offset:256
	v_fma_f64 v[6:7], -v[8:9], v[14:15], v[12:13]
	v_fma_f64 v[4:5], -v[16:17], v[4:5], v[6:7]
	ds_write_b64 v3, v[4:5] offset:2312
.LBB145_20:
	s_or_b64 exec, exec, s[2:3]
	v_cmp_gt_u32_e64 s[0:1], 8, v0
	s_waitcnt lgkmcnt(0)
	s_barrier
	s_and_saveexec_b64 s[2:3], s[0:1]
	s_cbranch_execz .LBB145_22
; %bb.21:
	v_lshlrev_b32_e32 v3, 8, v0
	v_add_u32_e32 v8, 0x1090, v3
	v_add_u32_e32 v12, 0x800, v3
	ds_read2_b64 v[4:7], v3 offset1:16
	ds_read2_b64 v[8:11], v8 offset1:255
	ds_read2_b64 v[12:15], v12 offset0:17 offset1:33
	v_add_u32_e32 v16, 0x2090, v3
	ds_read2_b64 v[16:19], v16 offset1:255
	s_waitcnt lgkmcnt(1)
	v_fma_f64 v[6:7], -v[10:11], v[14:15], v[6:7]
	s_waitcnt lgkmcnt(0)
	v_fma_f64 v[6:7], -v[18:19], v[4:5], v[6:7]
	ds_write_b64 v3, v[6:7] offset:128
	v_fma_f64 v[6:7], -v[8:9], v[14:15], v[12:13]
	v_fma_f64 v[4:5], -v[16:17], v[4:5], v[6:7]
	ds_write_b64 v3, v[4:5] offset:2184
.LBB145_22:
	;; [unrolled: 24-line block ×5, first 2 shown]
	s_or_b64 exec, exec, s[2:3]
	s_movk_i32 s0, 0x80
	v_cmp_gt_u32_e64 s[0:1], s0, v0
	s_waitcnt lgkmcnt(0)
	s_barrier
	s_and_saveexec_b64 s[2:3], s[0:1]
	s_cbranch_execz .LBB145_30
; %bb.29:
	v_lshlrev_b32_e32 v0, 4, v0
	v_add_u32_e32 v3, 0x1018, v0
	ds_read2_b64 v[4:7], v3 offset1:255
	ds_read_b128 v[8:11], v0
	ds_read_b128 v[12:15], v0 offset:2064
	v_add_u32_e32 v3, 0x2018, v0
	ds_read2_b64 v[16:19], v3 offset1:255
	s_waitcnt lgkmcnt(1)
	v_fma_f64 v[6:7], -v[6:7], v[14:15], v[10:11]
	v_fma_f64 v[4:5], -v[4:5], v[14:15], v[12:13]
	s_waitcnt lgkmcnt(0)
	v_fma_f64 v[6:7], -v[18:19], v[8:9], v[6:7]
	v_fma_f64 v[4:5], -v[16:17], v[8:9], v[4:5]
	ds_write_b64 v0, v[6:7] offset:8
	ds_write_b64 v0, v[4:5] offset:2064
.LBB145_30:
	s_or_b64 exec, exec, s[2:3]
	s_waitcnt lgkmcnt(0)
	s_barrier
	s_and_saveexec_b64 s[0:1], vcc
	s_cbranch_execz .LBB145_32
; %bb.31:
	v_add_u32_e32 v0, 8, v1
	ds_read2st64_b64 v[4:7], v0 offset1:4
	v_ashrrev_i32_e32 v3, 31, v2
	v_lshl_add_u64 v[0:1], v[2:3], 3, s[6:7]
	v_mad_u64_u32 v[2:3], s[0:1], s14, 31, v[2:3]
	v_mov_b32_e32 v3, 0
	s_waitcnt lgkmcnt(0)
	global_store_dwordx2 v[0:1], v[6:7], off
	v_lshl_add_u64 v[0:1], v[2:3], 3, s[6:7]
	global_store_dwordx2 v[0:1], v[4:5], off
.LBB145_32:
	s_endpgm
	.section	.rodata,"a",@progbits
	.p2align	6, 0x0
	.amdhsa_kernel _ZN9rocsparseL33gtsv_solve_spike_propagate_kernelILj256ELj32EdEEviiiPT1_PKS1_S4_S4_
		.amdhsa_group_segment_fixed_size 12304
		.amdhsa_private_segment_fixed_size 0
		.amdhsa_kernarg_size 304
		.amdhsa_user_sgpr_count 2
		.amdhsa_user_sgpr_dispatch_ptr 0
		.amdhsa_user_sgpr_queue_ptr 0
		.amdhsa_user_sgpr_kernarg_segment_ptr 1
		.amdhsa_user_sgpr_dispatch_id 0
		.amdhsa_user_sgpr_kernarg_preload_length 0
		.amdhsa_user_sgpr_kernarg_preload_offset 0
		.amdhsa_user_sgpr_private_segment_size 0
		.amdhsa_uses_dynamic_stack 0
		.amdhsa_enable_private_segment 0
		.amdhsa_system_sgpr_workgroup_id_x 1
		.amdhsa_system_sgpr_workgroup_id_y 1
		.amdhsa_system_sgpr_workgroup_id_z 0
		.amdhsa_system_sgpr_workgroup_info 0
		.amdhsa_system_vgpr_workitem_id 0
		.amdhsa_next_free_vgpr 20
		.amdhsa_next_free_sgpr 18
		.amdhsa_accum_offset 20
		.amdhsa_reserve_vcc 1
		.amdhsa_float_round_mode_32 0
		.amdhsa_float_round_mode_16_64 0
		.amdhsa_float_denorm_mode_32 3
		.amdhsa_float_denorm_mode_16_64 3
		.amdhsa_dx10_clamp 1
		.amdhsa_ieee_mode 1
		.amdhsa_fp16_overflow 0
		.amdhsa_tg_split 0
		.amdhsa_exception_fp_ieee_invalid_op 0
		.amdhsa_exception_fp_denorm_src 0
		.amdhsa_exception_fp_ieee_div_zero 0
		.amdhsa_exception_fp_ieee_overflow 0
		.amdhsa_exception_fp_ieee_underflow 0
		.amdhsa_exception_fp_ieee_inexact 0
		.amdhsa_exception_int_div_zero 0
	.end_amdhsa_kernel
	.section	.text._ZN9rocsparseL33gtsv_solve_spike_propagate_kernelILj256ELj32EdEEviiiPT1_PKS1_S4_S4_,"axG",@progbits,_ZN9rocsparseL33gtsv_solve_spike_propagate_kernelILj256ELj32EdEEviiiPT1_PKS1_S4_S4_,comdat
.Lfunc_end145:
	.size	_ZN9rocsparseL33gtsv_solve_spike_propagate_kernelILj256ELj32EdEEviiiPT1_PKS1_S4_S4_, .Lfunc_end145-_ZN9rocsparseL33gtsv_solve_spike_propagate_kernelILj256ELj32EdEEviiiPT1_PKS1_S4_S4_
                                        ; -- End function
	.set _ZN9rocsparseL33gtsv_solve_spike_propagate_kernelILj256ELj32EdEEviiiPT1_PKS1_S4_S4_.num_vgpr, 20
	.set _ZN9rocsparseL33gtsv_solve_spike_propagate_kernelILj256ELj32EdEEviiiPT1_PKS1_S4_S4_.num_agpr, 0
	.set _ZN9rocsparseL33gtsv_solve_spike_propagate_kernelILj256ELj32EdEEviiiPT1_PKS1_S4_S4_.numbered_sgpr, 18
	.set _ZN9rocsparseL33gtsv_solve_spike_propagate_kernelILj256ELj32EdEEviiiPT1_PKS1_S4_S4_.num_named_barrier, 0
	.set _ZN9rocsparseL33gtsv_solve_spike_propagate_kernelILj256ELj32EdEEviiiPT1_PKS1_S4_S4_.private_seg_size, 0
	.set _ZN9rocsparseL33gtsv_solve_spike_propagate_kernelILj256ELj32EdEEviiiPT1_PKS1_S4_S4_.uses_vcc, 1
	.set _ZN9rocsparseL33gtsv_solve_spike_propagate_kernelILj256ELj32EdEEviiiPT1_PKS1_S4_S4_.uses_flat_scratch, 0
	.set _ZN9rocsparseL33gtsv_solve_spike_propagate_kernelILj256ELj32EdEEviiiPT1_PKS1_S4_S4_.has_dyn_sized_stack, 0
	.set _ZN9rocsparseL33gtsv_solve_spike_propagate_kernelILj256ELj32EdEEviiiPT1_PKS1_S4_S4_.has_recursion, 0
	.set _ZN9rocsparseL33gtsv_solve_spike_propagate_kernelILj256ELj32EdEEviiiPT1_PKS1_S4_S4_.has_indirect_call, 0
	.section	.AMDGPU.csdata,"",@progbits
; Kernel info:
; codeLenInByte = 1868
; TotalNumSgprs: 24
; NumVgprs: 20
; NumAgprs: 0
; TotalNumVgprs: 20
; ScratchSize: 0
; MemoryBound: 0
; FloatMode: 240
; IeeeMode: 1
; LDSByteSize: 12304 bytes/workgroup (compile time only)
; SGPRBlocks: 2
; VGPRBlocks: 2
; NumSGPRsForWavesPerEU: 24
; NumVGPRsForWavesPerEU: 20
; AccumOffset: 20
; Occupancy: 8
; WaveLimiterHint : 0
; COMPUTE_PGM_RSRC2:SCRATCH_EN: 0
; COMPUTE_PGM_RSRC2:USER_SGPR: 2
; COMPUTE_PGM_RSRC2:TRAP_HANDLER: 0
; COMPUTE_PGM_RSRC2:TGID_X_EN: 1
; COMPUTE_PGM_RSRC2:TGID_Y_EN: 1
; COMPUTE_PGM_RSRC2:TGID_Z_EN: 0
; COMPUTE_PGM_RSRC2:TIDIG_COMP_CNT: 0
; COMPUTE_PGM_RSRC3_GFX90A:ACCUM_OFFSET: 4
; COMPUTE_PGM_RSRC3_GFX90A:TG_SPLIT: 0
	.section	.text._ZN9rocsparseL39gtsv_spike_backward_substitution_kernelILj256ELj32EdEEviiiPT1_PKS1_S4_,"axG",@progbits,_ZN9rocsparseL39gtsv_spike_backward_substitution_kernelILj256ELj32EdEEviiiPT1_PKS1_S4_,comdat
	.globl	_ZN9rocsparseL39gtsv_spike_backward_substitution_kernelILj256ELj32EdEEviiiPT1_PKS1_S4_ ; -- Begin function _ZN9rocsparseL39gtsv_spike_backward_substitution_kernelILj256ELj32EdEEviiiPT1_PKS1_S4_
	.p2align	8
	.type	_ZN9rocsparseL39gtsv_spike_backward_substitution_kernelILj256ELj32EdEEviiiPT1_PKS1_S4_,@function
_ZN9rocsparseL39gtsv_spike_backward_substitution_kernelILj256ELj32EdEEviiiPT1_PKS1_S4_: ; @_ZN9rocsparseL39gtsv_spike_backward_substitution_kernelILj256ELj32EdEEviiiPT1_PKS1_S4_
; %bb.0:
	s_load_dword s6, s[0:1], 0x0
	s_lshl_b32 s10, s2, 8
	v_or_b32_e32 v6, s10, v0
	s_waitcnt lgkmcnt(0)
	s_lshr_b32 s11, s6, 5
	v_cmp_gt_i32_e32 vcc, s11, v6
	s_and_saveexec_b64 s[4:5], vcc
	s_cbranch_execz .LBB146_9
; %bb.1:
	s_load_dwordx2 s[8:9], s[0:1], 0x10
	v_cmp_lt_i32_e32 vcc, 0, v6
	v_mov_b64_e32 v[2:3], 0
	s_mul_i32 s2, s6, s3
	s_and_saveexec_b64 s[4:5], vcc
	s_cbranch_execz .LBB146_3
; %bb.2:
	s_mul_i32 s7, s11, 31
	s_mul_i32 s3, s6, s3
	s_add_i32 s7, s7, s3
	v_add3_u32 v2, v6, s7, -1
	v_mov_b32_e32 v3, 0
	s_waitcnt lgkmcnt(0)
	v_lshl_add_u64 v[2:3], v[2:3], 3, s[8:9]
	global_load_dwordx2 v[2:3], v[2:3], off
.LBB146_3:
	s_or_b64 exec, exec, s[4:5]
	v_add_u32_e32 v1, 32, v6
	v_cmp_le_u32_e32 vcc, s6, v1
	s_and_saveexec_b64 s[4:5], vcc
	s_xor_b64 s[4:5], exec, s[4:5]
; %bb.4:
                                        ; implicit-def: $vgpr6
; %bb.5:
	s_or_saveexec_b64 s[4:5], s[4:5]
	v_mov_b64_e32 v[4:5], 0
	v_mov_b32_e32 v15, s2
	s_xor_b64 exec, exec, s[4:5]
	s_cbranch_execz .LBB146_7
; %bb.6:
	s_ashr_i32 s3, s2, 31
	v_ashrrev_i32_e32 v7, 31, v6
	v_lshl_add_u64 v[4:5], v[6:7], 0, s[2:3]
	s_waitcnt lgkmcnt(0)
	v_lshl_add_u64 v[4:5], v[4:5], 3, s[8:9]
	global_load_dwordx2 v[4:5], v[4:5], off offset:8
	v_mov_b32_e32 v15, s2
.LBB146_7:
	s_or_b64 exec, exec, s[4:5]
	s_load_dwordx4 s[4:7], s[0:1], 0x18
	v_add_u32_e32 v13, v0, v15
	s_lshl_b32 s1, s11, 1
	v_add_u32_e32 v1, s1, v13
	v_add_u32_e32 v6, s1, v0
	s_mul_i32 s1, s11, 3
	v_add_u32_e32 v7, s1, v13
	v_add_u32_e32 v8, s1, v0
	s_lshl_b32 s1, s11, 2
	s_mul_i32 s0, s11, 6
	v_add_u32_e32 v9, s1, v13
	v_add_u32_e32 v10, s1, v0
	s_mul_i32 s1, s11, 5
	v_add_u32_e32 v12, s1, v0
	v_add_u32_e32 v14, s0, v0
	;; [unrolled: 1-line block ×6, first 2 shown]
	s_mov_b32 s1, 30
.LBB146_8:                              ; =>This Inner Loop Header: Depth=1
	v_add_u32_e32 v16, s10, v0
	v_add_u32_e32 v18, s10, v15
	v_ashrrev_i32_e32 v19, 31, v18
	v_ashrrev_i32_e32 v17, 31, v16
	s_waitcnt lgkmcnt(0)
	v_lshl_add_u64 v[18:19], v[18:19], 3, s[8:9]
	v_lshlrev_b64 v[16:17], 3, v[16:17]
	global_load_dwordx2 v[20:21], v[18:19], off
	v_lshl_add_u64 v[22:23], s[4:5], 0, v[16:17]
	v_lshl_add_u64 v[16:17], s[6:7], 0, v[16:17]
	global_load_dwordx2 v[24:25], v[22:23], off
	global_load_dwordx2 v[26:27], v[16:17], off
	v_add_u32_e32 v16, s10, v6
	v_ashrrev_i32_e32 v17, 31, v16
	v_add_u32_e32 v22, s10, v1
	v_lshlrev_b64 v[16:17], 3, v[16:17]
	v_ashrrev_i32_e32 v23, 31, v22
	v_lshl_add_u64 v[28:29], s[4:5], 0, v[16:17]
	v_lshl_add_u64 v[22:23], v[22:23], 3, s[8:9]
	global_load_dwordx2 v[28:29], v[28:29], off
	v_lshl_add_u64 v[16:17], s[6:7], 0, v[16:17]
	s_add_i32 s1, s1, -6
	v_add_u32_e32 v1, s0, v1
	v_add_u32_e32 v6, s0, v6
	;; [unrolled: 1-line block ×4, first 2 shown]
	s_cmp_lg_u32 s1, 0
	s_waitcnt vmcnt(2)
	v_fma_f64 v[20:21], -v[2:3], v[24:25], v[20:21]
	s_waitcnt vmcnt(1)
	v_fma_f64 v[20:21], -v[4:5], v[26:27], v[20:21]
	global_store_dwordx2 v[18:19], v[20:21], off
	global_load_dwordx2 v[18:19], v[22:23], off
	s_nop 0
	global_load_dwordx2 v[20:21], v[16:17], off
	v_add_u32_e32 v16, s10, v8
	v_ashrrev_i32_e32 v17, 31, v16
	v_add_u32_e32 v24, s10, v7
	v_lshlrev_b64 v[16:17], 3, v[16:17]
	v_ashrrev_i32_e32 v25, 31, v24
	v_lshl_add_u64 v[26:27], s[4:5], 0, v[16:17]
	v_lshl_add_u64 v[24:25], v[24:25], 3, s[8:9]
	global_load_dwordx2 v[26:27], v[26:27], off
	v_lshl_add_u64 v[16:17], s[6:7], 0, v[16:17]
	v_add_u32_e32 v7, s0, v7
	v_add_u32_e32 v8, s0, v8
	s_waitcnt vmcnt(2)
	v_fma_f64 v[18:19], -v[2:3], v[28:29], v[18:19]
	s_waitcnt vmcnt(1)
	v_fma_f64 v[18:19], -v[4:5], v[20:21], v[18:19]
	global_store_dwordx2 v[22:23], v[18:19], off
	global_load_dwordx2 v[18:19], v[24:25], off
	s_nop 0
	global_load_dwordx2 v[20:21], v[16:17], off
	v_add_u32_e32 v16, s10, v10
	v_ashrrev_i32_e32 v17, 31, v16
	v_add_u32_e32 v22, s10, v9
	v_lshlrev_b64 v[16:17], 3, v[16:17]
	v_ashrrev_i32_e32 v23, 31, v22
	v_lshl_add_u64 v[28:29], s[4:5], 0, v[16:17]
	v_lshl_add_u64 v[22:23], v[22:23], 3, s[8:9]
	global_load_dwordx2 v[28:29], v[28:29], off
	v_lshl_add_u64 v[16:17], s[6:7], 0, v[16:17]
	v_add_u32_e32 v9, s0, v9
	v_add_u32_e32 v10, s0, v10
	;; [unrolled: 19-line block ×4, first 2 shown]
	s_waitcnt vmcnt(2)
	v_fma_f64 v[18:19], -v[2:3], v[26:27], v[18:19]
	s_waitcnt vmcnt(1)
	v_fma_f64 v[18:19], -v[4:5], v[20:21], v[18:19]
	global_store_dwordx2 v[24:25], v[18:19], off
	global_load_dwordx2 v[18:19], v[22:23], off
	s_nop 0
	global_load_dwordx2 v[20:21], v[16:17], off
	s_waitcnt vmcnt(1)
	v_fma_f64 v[16:17], -v[2:3], v[28:29], v[18:19]
	s_waitcnt vmcnt(0)
	v_fma_f64 v[16:17], -v[4:5], v[20:21], v[16:17]
	global_store_dwordx2 v[22:23], v[16:17], off
	s_cbranch_scc1 .LBB146_8
.LBB146_9:
	s_endpgm
	.section	.rodata,"a",@progbits
	.p2align	6, 0x0
	.amdhsa_kernel _ZN9rocsparseL39gtsv_spike_backward_substitution_kernelILj256ELj32EdEEviiiPT1_PKS1_S4_
		.amdhsa_group_segment_fixed_size 0
		.amdhsa_private_segment_fixed_size 0
		.amdhsa_kernarg_size 40
		.amdhsa_user_sgpr_count 2
		.amdhsa_user_sgpr_dispatch_ptr 0
		.amdhsa_user_sgpr_queue_ptr 0
		.amdhsa_user_sgpr_kernarg_segment_ptr 1
		.amdhsa_user_sgpr_dispatch_id 0
		.amdhsa_user_sgpr_kernarg_preload_length 0
		.amdhsa_user_sgpr_kernarg_preload_offset 0
		.amdhsa_user_sgpr_private_segment_size 0
		.amdhsa_uses_dynamic_stack 0
		.amdhsa_enable_private_segment 0
		.amdhsa_system_sgpr_workgroup_id_x 1
		.amdhsa_system_sgpr_workgroup_id_y 1
		.amdhsa_system_sgpr_workgroup_id_z 0
		.amdhsa_system_sgpr_workgroup_info 0
		.amdhsa_system_vgpr_workitem_id 0
		.amdhsa_next_free_vgpr 30
		.amdhsa_next_free_sgpr 12
		.amdhsa_accum_offset 32
		.amdhsa_reserve_vcc 1
		.amdhsa_float_round_mode_32 0
		.amdhsa_float_round_mode_16_64 0
		.amdhsa_float_denorm_mode_32 3
		.amdhsa_float_denorm_mode_16_64 3
		.amdhsa_dx10_clamp 1
		.amdhsa_ieee_mode 1
		.amdhsa_fp16_overflow 0
		.amdhsa_tg_split 0
		.amdhsa_exception_fp_ieee_invalid_op 0
		.amdhsa_exception_fp_denorm_src 0
		.amdhsa_exception_fp_ieee_div_zero 0
		.amdhsa_exception_fp_ieee_overflow 0
		.amdhsa_exception_fp_ieee_underflow 0
		.amdhsa_exception_fp_ieee_inexact 0
		.amdhsa_exception_int_div_zero 0
	.end_amdhsa_kernel
	.section	.text._ZN9rocsparseL39gtsv_spike_backward_substitution_kernelILj256ELj32EdEEviiiPT1_PKS1_S4_,"axG",@progbits,_ZN9rocsparseL39gtsv_spike_backward_substitution_kernelILj256ELj32EdEEviiiPT1_PKS1_S4_,comdat
.Lfunc_end146:
	.size	_ZN9rocsparseL39gtsv_spike_backward_substitution_kernelILj256ELj32EdEEviiiPT1_PKS1_S4_, .Lfunc_end146-_ZN9rocsparseL39gtsv_spike_backward_substitution_kernelILj256ELj32EdEEviiiPT1_PKS1_S4_
                                        ; -- End function
	.set _ZN9rocsparseL39gtsv_spike_backward_substitution_kernelILj256ELj32EdEEviiiPT1_PKS1_S4_.num_vgpr, 30
	.set _ZN9rocsparseL39gtsv_spike_backward_substitution_kernelILj256ELj32EdEEviiiPT1_PKS1_S4_.num_agpr, 0
	.set _ZN9rocsparseL39gtsv_spike_backward_substitution_kernelILj256ELj32EdEEviiiPT1_PKS1_S4_.numbered_sgpr, 12
	.set _ZN9rocsparseL39gtsv_spike_backward_substitution_kernelILj256ELj32EdEEviiiPT1_PKS1_S4_.num_named_barrier, 0
	.set _ZN9rocsparseL39gtsv_spike_backward_substitution_kernelILj256ELj32EdEEviiiPT1_PKS1_S4_.private_seg_size, 0
	.set _ZN9rocsparseL39gtsv_spike_backward_substitution_kernelILj256ELj32EdEEviiiPT1_PKS1_S4_.uses_vcc, 1
	.set _ZN9rocsparseL39gtsv_spike_backward_substitution_kernelILj256ELj32EdEEviiiPT1_PKS1_S4_.uses_flat_scratch, 0
	.set _ZN9rocsparseL39gtsv_spike_backward_substitution_kernelILj256ELj32EdEEviiiPT1_PKS1_S4_.has_dyn_sized_stack, 0
	.set _ZN9rocsparseL39gtsv_spike_backward_substitution_kernelILj256ELj32EdEEviiiPT1_PKS1_S4_.has_recursion, 0
	.set _ZN9rocsparseL39gtsv_spike_backward_substitution_kernelILj256ELj32EdEEviiiPT1_PKS1_S4_.has_indirect_call, 0
	.section	.AMDGPU.csdata,"",@progbits
; Kernel info:
; codeLenInByte = 988
; TotalNumSgprs: 18
; NumVgprs: 30
; NumAgprs: 0
; TotalNumVgprs: 30
; ScratchSize: 0
; MemoryBound: 0
; FloatMode: 240
; IeeeMode: 1
; LDSByteSize: 0 bytes/workgroup (compile time only)
; SGPRBlocks: 2
; VGPRBlocks: 3
; NumSGPRsForWavesPerEU: 18
; NumVGPRsForWavesPerEU: 30
; AccumOffset: 32
; Occupancy: 8
; WaveLimiterHint : 0
; COMPUTE_PGM_RSRC2:SCRATCH_EN: 0
; COMPUTE_PGM_RSRC2:USER_SGPR: 2
; COMPUTE_PGM_RSRC2:TRAP_HANDLER: 0
; COMPUTE_PGM_RSRC2:TGID_X_EN: 1
; COMPUTE_PGM_RSRC2:TGID_Y_EN: 1
; COMPUTE_PGM_RSRC2:TGID_Z_EN: 0
; COMPUTE_PGM_RSRC2:TIDIG_COMP_CNT: 0
; COMPUTE_PGM_RSRC3_GFX90A:ACCUM_OFFSET: 7
; COMPUTE_PGM_RSRC3_GFX90A:TG_SPLIT: 0
	.section	.text._ZN9rocsparseL32gtsv_transpose_back_array_kernelILj256ELj32EdEEviiiPKT1_PS1_,"axG",@progbits,_ZN9rocsparseL32gtsv_transpose_back_array_kernelILj256ELj32EdEEviiiPKT1_PS1_,comdat
	.globl	_ZN9rocsparseL32gtsv_transpose_back_array_kernelILj256ELj32EdEEviiiPKT1_PS1_ ; -- Begin function _ZN9rocsparseL32gtsv_transpose_back_array_kernelILj256ELj32EdEEviiiPKT1_PS1_
	.p2align	8
	.type	_ZN9rocsparseL32gtsv_transpose_back_array_kernelILj256ELj32EdEEviiiPKT1_PS1_,@function
_ZN9rocsparseL32gtsv_transpose_back_array_kernelILj256ELj32EdEEviiiPKT1_PS1_: ; @_ZN9rocsparseL32gtsv_transpose_back_array_kernelILj256ELj32EdEEviiiPKT1_PS1_
; %bb.0:
	s_load_dwordx4 s[4:7], s[0:1], 0x0
	v_lshl_or_b32 v0, s2, 8, v0
	v_lshlrev_b32_e32 v2, 5, v0
	s_waitcnt lgkmcnt(0)
	v_cvt_f32_u32_e32 v1, s5
	s_sub_i32 s2, 0, s5
	v_rcp_iflag_f32_e32 v1, v1
	s_nop 0
	v_mul_f32_e32 v1, 0x4f7ffffe, v1
	v_cvt_u32_f32_e32 v1, v1
	v_mul_lo_u32 v3, s2, v1
	v_mul_hi_u32 v3, v1, v3
	v_add_u32_e32 v1, v1, v3
	v_mul_hi_u32 v1, v2, v1
	v_mul_lo_u32 v3, v1, s5
	v_sub_u32_e32 v3, v2, v3
	v_add_u32_e32 v4, 1, v1
	v_cmp_le_u32_e32 vcc, s5, v3
	s_nop 1
	v_cndmask_b32_e32 v1, v1, v4, vcc
	v_subrev_u32_e32 v4, s5, v3
	v_cndmask_b32_e32 v3, v3, v4, vcc
	v_add_u32_e32 v4, 1, v1
	v_cmp_le_u32_e32 vcc, s5, v3
	s_nop 1
	v_cndmask_b32_e32 v1, v1, v4, vcc
	v_mul_lo_u32 v3, v1, s5
	v_sub_u32_e32 v2, v2, v3
	v_add_u32_e32 v1, v1, v2
	v_cmp_gt_i32_e32 vcc, s4, v1
	s_and_saveexec_b64 s[8:9], vcc
	s_cbranch_execz .LBB147_2
; %bb.1:
	s_load_dwordx4 s[8:11], s[0:1], 0x10
	s_mul_i32 s0, s5, s3
	v_add_u32_e32 v2, s0, v0
	v_ashrrev_i32_e32 v3, 31, v2
	s_mul_i32 s0, s6, s3
	s_waitcnt lgkmcnt(0)
	v_lshl_add_u64 v[2:3], v[2:3], 3, s[8:9]
	global_load_dwordx2 v[2:3], v[2:3], off
	v_add_u32_e32 v0, s0, v1
	v_ashrrev_i32_e32 v1, 31, v0
	v_lshl_add_u64 v[0:1], v[0:1], 3, s[10:11]
	s_waitcnt vmcnt(0)
	global_store_dwordx2 v[0:1], v[2:3], off
.LBB147_2:
	s_endpgm
	.section	.rodata,"a",@progbits
	.p2align	6, 0x0
	.amdhsa_kernel _ZN9rocsparseL32gtsv_transpose_back_array_kernelILj256ELj32EdEEviiiPKT1_PS1_
		.amdhsa_group_segment_fixed_size 0
		.amdhsa_private_segment_fixed_size 0
		.amdhsa_kernarg_size 32
		.amdhsa_user_sgpr_count 2
		.amdhsa_user_sgpr_dispatch_ptr 0
		.amdhsa_user_sgpr_queue_ptr 0
		.amdhsa_user_sgpr_kernarg_segment_ptr 1
		.amdhsa_user_sgpr_dispatch_id 0
		.amdhsa_user_sgpr_kernarg_preload_length 0
		.amdhsa_user_sgpr_kernarg_preload_offset 0
		.amdhsa_user_sgpr_private_segment_size 0
		.amdhsa_uses_dynamic_stack 0
		.amdhsa_enable_private_segment 0
		.amdhsa_system_sgpr_workgroup_id_x 1
		.amdhsa_system_sgpr_workgroup_id_y 1
		.amdhsa_system_sgpr_workgroup_id_z 0
		.amdhsa_system_sgpr_workgroup_info 0
		.amdhsa_system_vgpr_workitem_id 0
		.amdhsa_next_free_vgpr 5
		.amdhsa_next_free_sgpr 12
		.amdhsa_accum_offset 8
		.amdhsa_reserve_vcc 1
		.amdhsa_float_round_mode_32 0
		.amdhsa_float_round_mode_16_64 0
		.amdhsa_float_denorm_mode_32 3
		.amdhsa_float_denorm_mode_16_64 3
		.amdhsa_dx10_clamp 1
		.amdhsa_ieee_mode 1
		.amdhsa_fp16_overflow 0
		.amdhsa_tg_split 0
		.amdhsa_exception_fp_ieee_invalid_op 0
		.amdhsa_exception_fp_denorm_src 0
		.amdhsa_exception_fp_ieee_div_zero 0
		.amdhsa_exception_fp_ieee_overflow 0
		.amdhsa_exception_fp_ieee_underflow 0
		.amdhsa_exception_fp_ieee_inexact 0
		.amdhsa_exception_int_div_zero 0
	.end_amdhsa_kernel
	.section	.text._ZN9rocsparseL32gtsv_transpose_back_array_kernelILj256ELj32EdEEviiiPKT1_PS1_,"axG",@progbits,_ZN9rocsparseL32gtsv_transpose_back_array_kernelILj256ELj32EdEEviiiPKT1_PS1_,comdat
.Lfunc_end147:
	.size	_ZN9rocsparseL32gtsv_transpose_back_array_kernelILj256ELj32EdEEviiiPKT1_PS1_, .Lfunc_end147-_ZN9rocsparseL32gtsv_transpose_back_array_kernelILj256ELj32EdEEviiiPKT1_PS1_
                                        ; -- End function
	.set _ZN9rocsparseL32gtsv_transpose_back_array_kernelILj256ELj32EdEEviiiPKT1_PS1_.num_vgpr, 5
	.set _ZN9rocsparseL32gtsv_transpose_back_array_kernelILj256ELj32EdEEviiiPKT1_PS1_.num_agpr, 0
	.set _ZN9rocsparseL32gtsv_transpose_back_array_kernelILj256ELj32EdEEviiiPKT1_PS1_.numbered_sgpr, 12
	.set _ZN9rocsparseL32gtsv_transpose_back_array_kernelILj256ELj32EdEEviiiPKT1_PS1_.num_named_barrier, 0
	.set _ZN9rocsparseL32gtsv_transpose_back_array_kernelILj256ELj32EdEEviiiPKT1_PS1_.private_seg_size, 0
	.set _ZN9rocsparseL32gtsv_transpose_back_array_kernelILj256ELj32EdEEviiiPKT1_PS1_.uses_vcc, 1
	.set _ZN9rocsparseL32gtsv_transpose_back_array_kernelILj256ELj32EdEEviiiPKT1_PS1_.uses_flat_scratch, 0
	.set _ZN9rocsparseL32gtsv_transpose_back_array_kernelILj256ELj32EdEEviiiPKT1_PS1_.has_dyn_sized_stack, 0
	.set _ZN9rocsparseL32gtsv_transpose_back_array_kernelILj256ELj32EdEEviiiPKT1_PS1_.has_recursion, 0
	.set _ZN9rocsparseL32gtsv_transpose_back_array_kernelILj256ELj32EdEEviiiPKT1_PS1_.has_indirect_call, 0
	.section	.AMDGPU.csdata,"",@progbits
; Kernel info:
; codeLenInByte = 236
; TotalNumSgprs: 18
; NumVgprs: 5
; NumAgprs: 0
; TotalNumVgprs: 5
; ScratchSize: 0
; MemoryBound: 0
; FloatMode: 240
; IeeeMode: 1
; LDSByteSize: 0 bytes/workgroup (compile time only)
; SGPRBlocks: 2
; VGPRBlocks: 0
; NumSGPRsForWavesPerEU: 18
; NumVGPRsForWavesPerEU: 5
; AccumOffset: 8
; Occupancy: 8
; WaveLimiterHint : 0
; COMPUTE_PGM_RSRC2:SCRATCH_EN: 0
; COMPUTE_PGM_RSRC2:USER_SGPR: 2
; COMPUTE_PGM_RSRC2:TRAP_HANDLER: 0
; COMPUTE_PGM_RSRC2:TGID_X_EN: 1
; COMPUTE_PGM_RSRC2:TGID_Y_EN: 1
; COMPUTE_PGM_RSRC2:TGID_Z_EN: 0
; COMPUTE_PGM_RSRC2:TIDIG_COMP_CNT: 0
; COMPUTE_PGM_RSRC3_GFX90A:ACCUM_OFFSET: 1
; COMPUTE_PGM_RSRC3_GFX90A:TG_SPLIT: 0
	.section	.text._ZN9rocsparseL42gtsv_transpose_and_pad_array_shared_kernelILj256ELj64EdEEviiiPKT1_PS1_S1_,"axG",@progbits,_ZN9rocsparseL42gtsv_transpose_and_pad_array_shared_kernelILj256ELj64EdEEviiiPKT1_PS1_S1_,comdat
	.globl	_ZN9rocsparseL42gtsv_transpose_and_pad_array_shared_kernelILj256ELj64EdEEviiiPKT1_PS1_S1_ ; -- Begin function _ZN9rocsparseL42gtsv_transpose_and_pad_array_shared_kernelILj256ELj64EdEEviiiPKT1_PS1_S1_
	.p2align	8
	.type	_ZN9rocsparseL42gtsv_transpose_and_pad_array_shared_kernelILj256ELj64EdEEviiiPKT1_PS1_S1_,@function
_ZN9rocsparseL42gtsv_transpose_and_pad_array_shared_kernelILj256ELj64EdEEviiiPKT1_PS1_S1_: ; @_ZN9rocsparseL42gtsv_transpose_and_pad_array_shared_kernelILj256ELj64EdEEviiiPKT1_PS1_S1_
; %bb.0:
	s_load_dwordx4 s[4:7], s[0:1], 0x0
	s_load_dwordx2 s[8:9], s[0:1], 0x20
	v_lshl_or_b32 v1, s2, 8, v0
	s_waitcnt lgkmcnt(0)
	v_cmp_gt_i32_e32 vcc, s4, v1
	v_mov_b64_e32 v[4:5], s[8:9]
	s_and_saveexec_b64 s[8:9], vcc
	s_cbranch_execz .LBB148_2
; %bb.1:
	s_load_dwordx2 s[10:11], s[0:1], 0x10
	s_mul_i32 s4, s6, s3
	v_add_u32_e32 v2, s4, v1
	v_ashrrev_i32_e32 v3, 31, v2
	s_waitcnt lgkmcnt(0)
	v_lshl_add_u64 v[2:3], v[2:3], 3, s[10:11]
	global_load_dwordx2 v[4:5], v[2:3], off
.LBB148_2:
	s_or_b64 exec, exec, s[8:9]
	v_lshrrev_b32_e32 v2, 2, v0
	v_and_b32_e32 v3, 3, v0
	v_lshlrev_b32_e32 v0, 3, v0
	s_waitcnt vmcnt(0)
	ds_write_b64 v0, v[4:5]
	s_lshr_b32 s4, s5, 6
	v_lshl_or_b32 v0, s2, 2, v3
	v_mad_u64_u32 v[0:1], s[6:7], s4, v2, v[0:1]
	v_cmp_gt_i32_e32 vcc, s5, v0
	s_waitcnt lgkmcnt(0)
	s_barrier
	s_and_saveexec_b64 s[6:7], vcc
	s_cbranch_execz .LBB148_4
; %bb.3:
	v_lshlrev_b32_e32 v1, 3, v2
	s_load_dwordx2 s[0:1], s[0:1], 0x18
	v_lshl_or_b32 v1, v3, 9, v1
	ds_read_b64 v[2:3], v1
	s_mul_i32 s2, s5, s3
	v_add_u32_e32 v0, s2, v0
	v_ashrrev_i32_e32 v1, 31, v0
	s_waitcnt lgkmcnt(0)
	v_lshl_add_u64 v[0:1], v[0:1], 3, s[0:1]
	global_store_dwordx2 v[0:1], v[2:3], off
.LBB148_4:
	s_endpgm
	.section	.rodata,"a",@progbits
	.p2align	6, 0x0
	.amdhsa_kernel _ZN9rocsparseL42gtsv_transpose_and_pad_array_shared_kernelILj256ELj64EdEEviiiPKT1_PS1_S1_
		.amdhsa_group_segment_fixed_size 2048
		.amdhsa_private_segment_fixed_size 0
		.amdhsa_kernarg_size 40
		.amdhsa_user_sgpr_count 2
		.amdhsa_user_sgpr_dispatch_ptr 0
		.amdhsa_user_sgpr_queue_ptr 0
		.amdhsa_user_sgpr_kernarg_segment_ptr 1
		.amdhsa_user_sgpr_dispatch_id 0
		.amdhsa_user_sgpr_kernarg_preload_length 0
		.amdhsa_user_sgpr_kernarg_preload_offset 0
		.amdhsa_user_sgpr_private_segment_size 0
		.amdhsa_uses_dynamic_stack 0
		.amdhsa_enable_private_segment 0
		.amdhsa_system_sgpr_workgroup_id_x 1
		.amdhsa_system_sgpr_workgroup_id_y 1
		.amdhsa_system_sgpr_workgroup_id_z 0
		.amdhsa_system_sgpr_workgroup_info 0
		.amdhsa_system_vgpr_workitem_id 0
		.amdhsa_next_free_vgpr 6
		.amdhsa_next_free_sgpr 12
		.amdhsa_accum_offset 8
		.amdhsa_reserve_vcc 1
		.amdhsa_float_round_mode_32 0
		.amdhsa_float_round_mode_16_64 0
		.amdhsa_float_denorm_mode_32 3
		.amdhsa_float_denorm_mode_16_64 3
		.amdhsa_dx10_clamp 1
		.amdhsa_ieee_mode 1
		.amdhsa_fp16_overflow 0
		.amdhsa_tg_split 0
		.amdhsa_exception_fp_ieee_invalid_op 0
		.amdhsa_exception_fp_denorm_src 0
		.amdhsa_exception_fp_ieee_div_zero 0
		.amdhsa_exception_fp_ieee_overflow 0
		.amdhsa_exception_fp_ieee_underflow 0
		.amdhsa_exception_fp_ieee_inexact 0
		.amdhsa_exception_int_div_zero 0
	.end_amdhsa_kernel
	.section	.text._ZN9rocsparseL42gtsv_transpose_and_pad_array_shared_kernelILj256ELj64EdEEviiiPKT1_PS1_S1_,"axG",@progbits,_ZN9rocsparseL42gtsv_transpose_and_pad_array_shared_kernelILj256ELj64EdEEviiiPKT1_PS1_S1_,comdat
.Lfunc_end148:
	.size	_ZN9rocsparseL42gtsv_transpose_and_pad_array_shared_kernelILj256ELj64EdEEviiiPKT1_PS1_S1_, .Lfunc_end148-_ZN9rocsparseL42gtsv_transpose_and_pad_array_shared_kernelILj256ELj64EdEEviiiPKT1_PS1_S1_
                                        ; -- End function
	.set _ZN9rocsparseL42gtsv_transpose_and_pad_array_shared_kernelILj256ELj64EdEEviiiPKT1_PS1_S1_.num_vgpr, 6
	.set _ZN9rocsparseL42gtsv_transpose_and_pad_array_shared_kernelILj256ELj64EdEEviiiPKT1_PS1_S1_.num_agpr, 0
	.set _ZN9rocsparseL42gtsv_transpose_and_pad_array_shared_kernelILj256ELj64EdEEviiiPKT1_PS1_S1_.numbered_sgpr, 12
	.set _ZN9rocsparseL42gtsv_transpose_and_pad_array_shared_kernelILj256ELj64EdEEviiiPKT1_PS1_S1_.num_named_barrier, 0
	.set _ZN9rocsparseL42gtsv_transpose_and_pad_array_shared_kernelILj256ELj64EdEEviiiPKT1_PS1_S1_.private_seg_size, 0
	.set _ZN9rocsparseL42gtsv_transpose_and_pad_array_shared_kernelILj256ELj64EdEEviiiPKT1_PS1_S1_.uses_vcc, 1
	.set _ZN9rocsparseL42gtsv_transpose_and_pad_array_shared_kernelILj256ELj64EdEEviiiPKT1_PS1_S1_.uses_flat_scratch, 0
	.set _ZN9rocsparseL42gtsv_transpose_and_pad_array_shared_kernelILj256ELj64EdEEviiiPKT1_PS1_S1_.has_dyn_sized_stack, 0
	.set _ZN9rocsparseL42gtsv_transpose_and_pad_array_shared_kernelILj256ELj64EdEEviiiPKT1_PS1_S1_.has_recursion, 0
	.set _ZN9rocsparseL42gtsv_transpose_and_pad_array_shared_kernelILj256ELj64EdEEviiiPKT1_PS1_S1_.has_indirect_call, 0
	.section	.AMDGPU.csdata,"",@progbits
; Kernel info:
; codeLenInByte = 216
; TotalNumSgprs: 18
; NumVgprs: 6
; NumAgprs: 0
; TotalNumVgprs: 6
; ScratchSize: 0
; MemoryBound: 0
; FloatMode: 240
; IeeeMode: 1
; LDSByteSize: 2048 bytes/workgroup (compile time only)
; SGPRBlocks: 2
; VGPRBlocks: 0
; NumSGPRsForWavesPerEU: 18
; NumVGPRsForWavesPerEU: 6
; AccumOffset: 8
; Occupancy: 8
; WaveLimiterHint : 0
; COMPUTE_PGM_RSRC2:SCRATCH_EN: 0
; COMPUTE_PGM_RSRC2:USER_SGPR: 2
; COMPUTE_PGM_RSRC2:TRAP_HANDLER: 0
; COMPUTE_PGM_RSRC2:TGID_X_EN: 1
; COMPUTE_PGM_RSRC2:TGID_Y_EN: 1
; COMPUTE_PGM_RSRC2:TGID_Z_EN: 0
; COMPUTE_PGM_RSRC2:TIDIG_COMP_CNT: 0
; COMPUTE_PGM_RSRC3_GFX90A:ACCUM_OFFSET: 1
; COMPUTE_PGM_RSRC3_GFX90A:TG_SPLIT: 0
	.section	.text._ZN9rocsparseL18gtsv_LBM_wv_kernelILj256ELj64EdEEviiiPKT1_S3_S3_PS1_S4_S4_Pi,"axG",@progbits,_ZN9rocsparseL18gtsv_LBM_wv_kernelILj256ELj64EdEEviiiPKT1_S3_S3_PS1_S4_S4_Pi,comdat
	.globl	_ZN9rocsparseL18gtsv_LBM_wv_kernelILj256ELj64EdEEviiiPKT1_S3_S3_PS1_S4_S4_Pi ; -- Begin function _ZN9rocsparseL18gtsv_LBM_wv_kernelILj256ELj64EdEEviiiPKT1_S3_S3_PS1_S4_S4_Pi
	.p2align	8
	.type	_ZN9rocsparseL18gtsv_LBM_wv_kernelILj256ELj64EdEEviiiPKT1_S3_S3_PS1_S4_S4_Pi,@function
_ZN9rocsparseL18gtsv_LBM_wv_kernelILj256ELj64EdEEviiiPKT1_S3_S3_PS1_S4_S4_Pi: ; @_ZN9rocsparseL18gtsv_LBM_wv_kernelILj256ELj64EdEEviiiPKT1_S3_S3_PS1_S4_S4_Pi
; %bb.0:
	s_load_dword s27, s[0:1], 0x0
	v_lshl_or_b32 v0, s2, 8, v0
	s_waitcnt lgkmcnt(0)
	s_lshr_b32 s26, s27, 6
	v_cmp_gt_i32_e32 vcc, s26, v0
	s_and_saveexec_b64 s[2:3], vcc
	s_cbranch_execz .LBB149_30
; %bb.1:
	s_load_dwordx2 s[16:17], s[0:1], 0x10
	s_load_dwordx8 s[8:15], s[0:1], 0x20
	v_ashrrev_i32_e32 v1, 31, v0
	s_mul_i32 s28, s26, 63
	v_lshlrev_b64 v[2:3], 3, v[0:1]
	v_add_u32_e32 v6, s28, v0
	v_mov_b32_e32 v7, 0
	s_waitcnt lgkmcnt(0)
	v_lshl_add_u64 v[4:5], s[16:17], 0, v[2:3]
	v_lshlrev_b64 v[8:9], 3, v[6:7]
	global_load_dwordx2 v[4:5], v[4:5], off
	v_lshl_add_u64 v[10:11], s[8:9], 0, v[8:9]
	global_load_dwordx2 v[10:11], v[10:11], off
	s_load_dwordx2 s[6:7], s[0:1], 0x40
	v_lshl_add_u64 v[2:3], s[10:11], 0, v[2:3]
	s_cmp_lt_i32 s27, 1
	v_add_u32_e32 v36, s26, v0
	v_lshl_add_u64 v[8:9], s[12:13], 0, v[8:9]
	s_waitcnt vmcnt(1)
	global_store_dwordx2 v[2:3], v[4:5], off
	s_waitcnt vmcnt(1)
	global_store_dwordx2 v[8:9], v[10:11], off
	v_mov_b32_e32 v4, v7
	s_cbranch_scc1 .LBB149_23
; %bb.2:
	s_load_dwordx2 s[18:19], s[0:1], 0x18
	s_mov_b32 s22, 0x372fe950
	s_mul_i32 s29, s26, 62
	s_lshl_b32 s30, s26, 1
	s_mov_b64 s[20:21], 0
	s_waitcnt lgkmcnt(0)
	v_lshl_add_u64 v[4:5], v[0:1], 3, s[18:19]
	global_load_dwordx2 v[6:7], v[4:5], off
	v_add_u32_e32 v1, s26, v36
	v_mov_b32_e32 v4, 0
	s_mov_b32 s23, 0x3fe3c6ef
	v_mov_b32_e32 v37, 2
	v_mov_b32_e32 v38, 1
	s_branch .LBB149_5
.LBB149_3:                              ;   in Loop: Header=BB149_5 Depth=1
	s_or_b64 exec, exec, s[4:5]
	v_fma_f64 v[6:7], -v[6:7], v[20:21], v[10:11]
	v_mov_b32_e32 v5, s26
.LBB149_4:                              ;   in Loop: Header=BB149_5 Depth=1
	s_or_b64 exec, exec, s[2:3]
	v_add_u32_e32 v4, v5, v4
	v_cmp_le_i32_e32 vcc, s27, v4
	s_or_b64 s[20:21], vcc, s[20:21]
	s_andn2_b64 exec, exec, s[20:21]
	s_cbranch_execz .LBB149_22
.LBB149_5:                              ; =>This Inner Loop Header: Depth=1
	v_add_u32_e32 v14, v4, v0
	v_ashrrev_i32_e32 v15, 31, v14
	v_lshl_add_u64 v[8:9], v[14:15], 3, s[8:9]
	global_load_dwordx2 v[12:13], v[8:9], off
	v_cmp_gt_u32_e64 s[0:1], s28, v4
	v_mov_b64_e32 v[10:11], 0
	v_mov_b64_e32 v[8:9], 0
	s_and_saveexec_b64 s[2:3], s[0:1]
	s_cbranch_execz .LBB149_7
; %bb.6:                                ;   in Loop: Header=BB149_5 Depth=1
	v_add_u32_e32 v8, v36, v4
	v_ashrrev_i32_e32 v9, 31, v8
	v_lshl_add_u64 v[8:9], v[8:9], 3, s[16:17]
	global_load_dwordx2 v[8:9], v[8:9], off
.LBB149_7:                              ;   in Loop: Header=BB149_5 Depth=1
	s_or_b64 exec, exec, s[2:3]
	s_and_saveexec_b64 s[2:3], s[0:1]
	s_cbranch_execz .LBB149_9
; %bb.8:                                ;   in Loop: Header=BB149_5 Depth=1
	v_add_u32_e32 v10, v36, v4
	v_ashrrev_i32_e32 v11, 31, v10
	v_lshl_add_u64 v[10:11], v[10:11], 3, s[18:19]
	global_load_dwordx2 v[10:11], v[10:11], off
.LBB149_9:                              ;   in Loop: Header=BB149_5 Depth=1
	s_or_b64 exec, exec, s[2:3]
	v_mov_b64_e32 v[18:19], 0
	v_mov_b64_e32 v[16:17], 0
	s_and_saveexec_b64 s[2:3], s[0:1]
	s_cbranch_execz .LBB149_11
; %bb.10:                               ;   in Loop: Header=BB149_5 Depth=1
	v_add_u32_e32 v16, v36, v4
	v_ashrrev_i32_e32 v17, 31, v16
	v_lshl_add_u64 v[16:17], v[16:17], 3, s[8:9]
	global_load_dwordx2 v[16:17], v[16:17], off
.LBB149_11:                             ;   in Loop: Header=BB149_5 Depth=1
	s_or_b64 exec, exec, s[2:3]
	v_cmp_gt_u32_e64 s[2:3], s29, v4
	s_and_saveexec_b64 s[4:5], s[2:3]
	s_cbranch_execz .LBB149_13
; %bb.12:                               ;   in Loop: Header=BB149_5 Depth=1
	v_add_u32_e32 v18, v1, v4
	v_ashrrev_i32_e32 v19, 31, v18
	v_lshl_add_u64 v[18:19], v[18:19], 3, s[16:17]
	global_load_dwordx2 v[18:19], v[18:19], off
.LBB149_13:                             ;   in Loop: Header=BB149_5 Depth=1
	s_or_b64 exec, exec, s[4:5]
	s_waitcnt vmcnt(0)
	v_xor_b32_e32 v5, 0x80000000, v9
	v_cmp_gt_f64_e32 vcc, 0, v[8:9]
	v_mov_b32_e32 v20, v8
	v_mov_b32_e32 v22, v18
	v_cndmask_b32_e32 v21, v9, v5, vcc
	v_xor_b32_e32 v5, 0x80000000, v19
	v_cmp_gt_f64_e32 vcc, 0, v[18:19]
	v_cmp_ne_u32_e64 s[4:5], s28, v4
	s_nop 0
	v_cndmask_b32_e32 v23, v19, v5, vcc
	v_cmp_lt_f64_e32 vcc, v[20:21], v[22:23]
	v_xor_b32_e32 v5, 0x80000000, v11
	v_mov_b32_e32 v22, v10
	v_cndmask_b32_e32 v21, v21, v23, vcc
	v_cndmask_b32_e32 v20, v8, v18, vcc
	v_cmp_gt_f64_e32 vcc, 0, v[10:11]
	s_nop 1
	v_cndmask_b32_e32 v23, v11, v5, vcc
	v_cmp_lt_f64_e32 vcc, v[22:23], v[20:21]
	v_xor_b32_e32 v5, 0x80000000, v13
	v_mov_b32_e32 v22, v12
	v_cndmask_b32_e32 v21, v23, v21, vcc
	v_cndmask_b32_e32 v20, v10, v20, vcc
	v_cmp_gt_f64_e32 vcc, 0, v[12:13]
	;; [unrolled: 8-line block ×4, first 2 shown]
	s_nop 1
	v_cndmask_b32_e32 v23, v7, v5, vcc
	v_mul_f64 v[22:23], v[22:23], v[20:21]
	v_mul_f64 v[20:21], v[12:13], v[8:9]
	v_xor_b32_e32 v5, 0x80000000, v21
	v_cmp_gt_f64_e32 vcc, 0, v[20:21]
	v_mov_b32_e32 v24, v20
	s_nop 0
	v_cndmask_b32_e32 v25, v21, v5, vcc
	v_mul_f64 v[24:25], v[24:25], s[22:23]
	v_cmp_nge_f64_e32 vcc, v[22:23], v[24:25]
	s_and_b64 s[4:5], s[4:5], vcc
	s_and_saveexec_b64 s[24:25], s[4:5]
	s_xor_b64 s[4:5], exec, s[24:25]
	s_cbranch_execz .LBB149_19
; %bb.14:                               ;   in Loop: Header=BB149_5 Depth=1
	v_add_u32_e32 v26, v36, v4
	v_ashrrev_i32_e32 v27, 31, v26
	v_lshlrev_b64 v[30:31], 3, v[26:27]
	v_ashrrev_i32_e32 v5, 31, v4
	v_lshl_add_u64 v[28:29], s[10:11], 0, v[30:31]
	v_lshl_add_u64 v[40:41], v[4:5], 3, v[2:3]
	global_load_dwordx2 v[24:25], v[28:29], off
	v_lshlrev_b64 v[42:43], 3, v[14:15]
	v_lshl_add_u64 v[30:31], s[12:13], 0, v[30:31]
	global_load_dwordx2 v[22:23], v[40:41], off
	global_load_dwordx2 v[32:33], v[30:31], off
	v_lshl_add_u64 v[44:45], s[12:13], 0, v[42:43]
	global_load_dwordx2 v[34:35], v[44:45], off
	v_fma_f64 v[20:21], v[6:7], v[10:11], -v[20:21]
	v_lshl_add_u64 v[48:49], v[14:15], 2, s[6:7]
	v_div_scale_f64 v[14:15], s[24:25], v[20:21], v[20:21], 1.0
	v_rcp_f64_e32 v[50:51], v[14:15]
	v_div_scale_f64 v[52:53], vcc, 1.0, v[20:21], 1.0
	v_mul_f64 v[46:47], v[16:17], -v[12:13]
	v_fma_f64 v[54:55], -v[14:15], v[50:51], 1.0
	v_fmac_f64_e32 v[50:51], v[50:51], v[54:55]
	v_fma_f64 v[54:55], -v[14:15], v[50:51], 1.0
	v_fmac_f64_e32 v[50:51], v[50:51], v[54:55]
	v_mul_f64 v[54:55], v[52:53], v[50:51]
	v_fma_f64 v[14:15], -v[14:15], v[54:55], v[52:53]
	v_div_fmas_f64 v[14:15], v[14:15], v[50:51], v[54:55]
	v_div_fixup_f64 v[14:15], v[14:15], v[20:21], 1.0
	v_lshl_add_u64 v[42:43], s[14:15], 0, v[42:43]
	v_mul_f64 v[20:21], v[14:15], v[46:47]
	global_store_dwordx2 v[42:43], v[20:21], off
	s_waitcnt vmcnt(4)
	v_mul_f64 v[20:21], v[12:13], v[24:25]
	s_waitcnt vmcnt(3)
	v_fma_f64 v[20:21], v[10:11], v[22:23], -v[20:21]
	s_waitcnt vmcnt(2)
	v_mul_f64 v[12:13], v[12:13], v[32:33]
	s_waitcnt vmcnt(1)
	v_fma_f64 v[10:11], v[10:11], v[34:35], -v[12:13]
	v_mul_f64 v[12:13], v[14:15], v[20:21]
	v_mul_f64 v[10:11], v[14:15], v[10:11]
	global_store_dwordx2 v[40:41], v[12:13], off
	global_store_dwordx2 v[44:45], v[10:11], off
	global_store_dword v[48:49], v37, off
	s_and_saveexec_b64 s[24:25], s[0:1]
	s_cbranch_execz .LBB149_16
; %bb.15:                               ;   in Loop: Header=BB149_5 Depth=1
	v_mul_f64 v[10:11], v[8:9], v[22:23]
	v_fma_f64 v[10:11], v[6:7], v[24:25], -v[10:11]
	v_mul_f64 v[10:11], v[14:15], v[10:11]
	global_store_dwordx2 v[28:29], v[10:11], off
	v_mul_f64 v[10:11], v[8:9], v[34:35]
	v_fma_f64 v[10:11], v[6:7], v[32:33], -v[10:11]
	v_mul_f64 v[10:11], v[14:15], v[10:11]
	global_store_dwordx2 v[30:31], v[10:11], off
	v_mul_f64 v[10:11], v[6:7], v[16:17]
	v_mul_f64 v[10:11], v[14:15], v[10:11]
	v_lshl_add_u64 v[12:13], v[26:27], 3, s[14:15]
	global_store_dwordx2 v[12:13], v[10:11], off
	v_lshl_add_u64 v[10:11], v[26:27], 2, s[6:7]
	global_store_dword v[10:11], v37, off
.LBB149_16:                             ;   in Loop: Header=BB149_5 Depth=1
	s_or_b64 exec, exec, s[24:25]
	v_mov_b64_e32 v[10:11], 0
	s_and_saveexec_b64 s[24:25], s[2:3]
	s_cbranch_execz .LBB149_18
; %bb.17:                               ;   in Loop: Header=BB149_5 Depth=1
	v_add_u32_e32 v10, v1, v4
	v_ashrrev_i32_e32 v11, 31, v10
	v_lshlrev_b64 v[10:11], 3, v[10:11]
	v_lshl_add_u64 v[12:13], s[10:11], 0, v[10:11]
	v_lshl_add_u64 v[10:11], s[18:19], 0, v[10:11]
	global_load_dwordx2 v[20:21], v[12:13], off
	v_mul_f64 v[6:7], v[6:7], v[18:19]
	global_load_dwordx2 v[10:11], v[10:11], off
	v_mul_f64 v[8:9], v[18:19], v[8:9]
	v_mul_f64 v[18:19], v[14:15], v[6:7]
	;; [unrolled: 1-line block ×5, first 2 shown]
	v_fma_f64 v[8:9], v[8:9], v[22:23], -v[16:17]
	s_waitcnt vmcnt(1)
	v_add_f64 v[8:9], v[8:9], v[20:21]
	global_store_dwordx2 v[12:13], v[8:9], off
	s_waitcnt vmcnt(1)
	v_fma_f64 v[10:11], -v[14:15], v[6:7], v[10:11]
.LBB149_18:                             ;   in Loop: Header=BB149_5 Depth=1
	s_or_b64 exec, exec, s[24:25]
	v_mov_b64_e32 v[6:7], v[10:11]
                                        ; implicit-def: $vgpr20_vgpr21
                                        ; implicit-def: $vgpr10_vgpr11
                                        ; implicit-def: $vgpr12_vgpr13
                                        ; implicit-def: $vgpr14_vgpr15
                                        ; implicit-def: $vgpr8_vgpr9
.LBB149_19:                             ;   in Loop: Header=BB149_5 Depth=1
	s_or_saveexec_b64 s[2:3], s[4:5]
	v_mov_b32_e32 v5, s30
	s_xor_b64 exec, exec, s[2:3]
	s_cbranch_execz .LBB149_4
; %bb.20:                               ;   in Loop: Header=BB149_5 Depth=1
	v_ashrrev_i32_e32 v5, 31, v4
	v_lshl_add_u64 v[18:19], v[4:5], 3, v[2:3]
	v_lshlrev_b64 v[22:23], 3, v[14:15]
	global_load_dwordx2 v[16:17], v[18:19], off
	v_lshl_add_u64 v[24:25], s[12:13], 0, v[22:23]
	global_load_dwordx2 v[26:27], v[24:25], off
	v_div_scale_f64 v[28:29], s[4:5], v[6:7], v[6:7], 1.0
	v_rcp_f64_e32 v[30:31], v[28:29]
	v_div_scale_f64 v[32:33], vcc, 1.0, v[6:7], 1.0
	v_lshl_add_u64 v[22:23], s[14:15], 0, v[22:23]
	v_fma_f64 v[34:35], -v[28:29], v[30:31], 1.0
	v_fmac_f64_e32 v[30:31], v[30:31], v[34:35]
	v_fma_f64 v[34:35], -v[28:29], v[30:31], 1.0
	v_fmac_f64_e32 v[30:31], v[30:31], v[34:35]
	v_mul_f64 v[34:35], v[32:33], v[30:31]
	v_fma_f64 v[28:29], -v[28:29], v[34:35], v[32:33]
	v_div_fmas_f64 v[28:29], v[28:29], v[30:31], v[34:35]
	v_div_fixup_f64 v[6:7], v[28:29], v[6:7], 1.0
	v_mul_f64 v[12:13], v[6:7], v[12:13]
	global_store_dwordx2 v[22:23], v[12:13], off
	v_lshl_add_u64 v[14:15], v[14:15], 2, s[6:7]
	s_waitcnt vmcnt(2)
	v_mul_f64 v[12:13], v[6:7], v[16:17]
	s_waitcnt vmcnt(1)
	v_mul_f64 v[22:23], v[6:7], v[26:27]
	global_store_dwordx2 v[18:19], v[12:13], off
	global_store_dwordx2 v[24:25], v[22:23], off
	global_store_dword v[14:15], v38, off
	s_and_saveexec_b64 s[4:5], s[0:1]
	s_cbranch_execz .LBB149_3
; %bb.21:                               ;   in Loop: Header=BB149_5 Depth=1
	v_add_u32_e32 v12, v36, v4
	v_ashrrev_i32_e32 v13, 31, v12
	v_lshl_add_u64 v[12:13], v[12:13], 3, s[10:11]
	global_load_dwordx2 v[14:15], v[12:13], off
	v_mul_f64 v[8:9], v[8:9], v[6:7]
	s_waitcnt vmcnt(0)
	v_fma_f64 v[8:9], -v[8:9], v[16:17], v[14:15]
	global_store_dwordx2 v[12:13], v[8:9], off
	s_branch .LBB149_3
.LBB149_22:
	s_or_b64 exec, exec, s[20:21]
.LBB149_23:
	v_subrev_u32_e32 v1, s26, v4
	v_add_u32_e32 v4, v1, v0
	v_ashrrev_i32_e32 v5, 31, v4
	s_waitcnt lgkmcnt(0)
	v_lshl_add_u64 v[4:5], v[4:5], 2, s[6:7]
	buffer_wbl2 sc1
	s_waitcnt vmcnt(0)
	buffer_inv sc1
	global_load_dword v4, v[4:5], off
	s_waitcnt vmcnt(0)
	v_mul_lo_u32 v4, v4, s26
	v_sub_u32_e32 v4, v1, v4
	v_cmp_lt_i32_e32 vcc, -1, v4
	s_and_b64 exec, exec, vcc
	s_cbranch_execz .LBB149_30
; %bb.24:
	v_subrev_u32_e32 v1, s26, v0
	s_lshl_b32 s4, s26, 1
	s_mov_b64 s[0:1], 0
	s_branch .LBB149_26
.LBB149_25:                             ;   in Loop: Header=BB149_26 Depth=1
	s_or_b64 exec, exec, s[2:3]
	v_sub_u32_e32 v4, v4, v5
	v_cmp_gt_i32_e32 vcc, 0, v4
	s_or_b64 s[0:1], vcc, s[0:1]
	s_andn2_b64 exec, exec, s[0:1]
	s_cbranch_execz .LBB149_30
.LBB149_26:                             ; =>This Inner Loop Header: Depth=1
	v_add_u32_e32 v8, v4, v0
	v_ashrrev_i32_e32 v9, 31, v8
	s_waitcnt vmcnt(0)
	v_lshl_add_u64 v[6:7], v[8:9], 2, s[6:7]
	global_load_dword v5, v[6:7], off
	v_lshl_add_u64 v[6:7], v[8:9], 3, s[14:15]
	global_load_dwordx2 v[6:7], v[6:7], off
	s_waitcnt vmcnt(1)
	v_cmp_ne_u32_e32 vcc, 1, v5
	s_and_saveexec_b64 s[2:3], vcc
	s_xor_b64 s[2:3], exec, s[2:3]
	s_cbranch_execz .LBB149_28
; %bb.27:                               ;   in Loop: Header=BB149_26 Depth=1
	v_add_u32_e32 v10, v36, v4
	v_ashrrev_i32_e32 v11, 31, v10
	v_lshlrev_b64 v[10:11], 3, v[10:11]
	v_lshl_add_u64 v[12:13], s[10:11], 0, v[10:11]
	v_ashrrev_i32_e32 v5, 31, v4
	v_lshl_add_u64 v[14:15], v[4:5], 3, v[2:3]
	global_load_dwordx2 v[16:17], v[12:13], off
	global_load_dwordx2 v[18:19], v[14:15], off
	v_lshl_add_u64 v[10:11], s[12:13], 0, v[10:11]
	v_lshl_add_u64 v[8:9], v[8:9], 3, s[12:13]
	global_load_dwordx2 v[20:21], v[10:11], off
	global_load_dwordx2 v[22:23], v[8:9], off
	v_add_u32_e32 v24, v1, v4
	v_ashrrev_i32_e32 v25, 31, v24
	v_lshlrev_b64 v[24:25], 3, v[24:25]
	v_lshl_add_u64 v[26:27], s[14:15], 0, v[24:25]
	global_load_dwordx2 v[26:27], v[26:27], off
	v_lshl_add_u64 v[28:29], s[10:11], 0, v[24:25]
	v_lshl_add_u64 v[24:25], s[12:13], 0, v[24:25]
	s_waitcnt vmcnt(3)
	v_fma_f64 v[16:17], -v[6:7], v[16:17], v[18:19]
	s_waitcnt vmcnt(1)
	v_fma_f64 v[6:7], -v[6:7], v[20:21], v[22:23]
	global_store_dwordx2 v[14:15], v[16:17], off
	global_store_dwordx2 v[8:9], v[6:7], off
	global_load_dwordx2 v[6:7], v[12:13], off
	s_nop 0
	global_load_dwordx2 v[8:9], v[28:29], off
	global_load_dwordx2 v[14:15], v[10:11], off
	;; [unrolled: 1-line block ×3, first 2 shown]
	s_waitcnt vmcnt(2)
	v_fma_f64 v[6:7], -v[26:27], v[6:7], v[8:9]
	s_waitcnt vmcnt(0)
	v_fma_f64 v[8:9], -v[26:27], v[14:15], v[16:17]
	global_store_dwordx2 v[28:29], v[6:7], off
	global_store_dwordx2 v[24:25], v[8:9], off
                                        ; implicit-def: $vgpr6_vgpr7
                                        ; implicit-def: $vgpr8_vgpr9
.LBB149_28:                             ;   in Loop: Header=BB149_26 Depth=1
	s_or_saveexec_b64 s[2:3], s[2:3]
	v_mov_b32_e32 v5, s4
	s_xor_b64 exec, exec, s[2:3]
	s_cbranch_execz .LBB149_25
; %bb.29:                               ;   in Loop: Header=BB149_26 Depth=1
	v_add_u32_e32 v10, v36, v4
	v_ashrrev_i32_e32 v11, 31, v10
	v_lshlrev_b64 v[10:11], 3, v[10:11]
	v_lshl_add_u64 v[12:13], s[10:11], 0, v[10:11]
	v_ashrrev_i32_e32 v5, 31, v4
	v_lshl_add_u64 v[14:15], v[4:5], 3, v[2:3]
	global_load_dwordx2 v[16:17], v[12:13], off
	global_load_dwordx2 v[18:19], v[14:15], off
	v_lshl_add_u64 v[10:11], s[12:13], 0, v[10:11]
	v_lshl_add_u64 v[8:9], v[8:9], 3, s[12:13]
	global_load_dwordx2 v[12:13], v[10:11], off
	global_load_dwordx2 v[20:21], v[8:9], off
	v_mov_b32_e32 v5, s26
	s_waitcnt vmcnt(2)
	v_fma_f64 v[10:11], -v[6:7], v[16:17], v[18:19]
	s_waitcnt vmcnt(0)
	v_fma_f64 v[6:7], -v[6:7], v[12:13], v[20:21]
	global_store_dwordx2 v[14:15], v[10:11], off
	global_store_dwordx2 v[8:9], v[6:7], off
	s_branch .LBB149_25
.LBB149_30:
	s_endpgm
	.section	.rodata,"a",@progbits
	.p2align	6, 0x0
	.amdhsa_kernel _ZN9rocsparseL18gtsv_LBM_wv_kernelILj256ELj64EdEEviiiPKT1_S3_S3_PS1_S4_S4_Pi
		.amdhsa_group_segment_fixed_size 0
		.amdhsa_private_segment_fixed_size 0
		.amdhsa_kernarg_size 72
		.amdhsa_user_sgpr_count 2
		.amdhsa_user_sgpr_dispatch_ptr 0
		.amdhsa_user_sgpr_queue_ptr 0
		.amdhsa_user_sgpr_kernarg_segment_ptr 1
		.amdhsa_user_sgpr_dispatch_id 0
		.amdhsa_user_sgpr_kernarg_preload_length 0
		.amdhsa_user_sgpr_kernarg_preload_offset 0
		.amdhsa_user_sgpr_private_segment_size 0
		.amdhsa_uses_dynamic_stack 0
		.amdhsa_enable_private_segment 0
		.amdhsa_system_sgpr_workgroup_id_x 1
		.amdhsa_system_sgpr_workgroup_id_y 0
		.amdhsa_system_sgpr_workgroup_id_z 0
		.amdhsa_system_sgpr_workgroup_info 0
		.amdhsa_system_vgpr_workitem_id 0
		.amdhsa_next_free_vgpr 56
		.amdhsa_next_free_sgpr 31
		.amdhsa_accum_offset 56
		.amdhsa_reserve_vcc 1
		.amdhsa_float_round_mode_32 0
		.amdhsa_float_round_mode_16_64 0
		.amdhsa_float_denorm_mode_32 3
		.amdhsa_float_denorm_mode_16_64 3
		.amdhsa_dx10_clamp 1
		.amdhsa_ieee_mode 1
		.amdhsa_fp16_overflow 0
		.amdhsa_tg_split 0
		.amdhsa_exception_fp_ieee_invalid_op 0
		.amdhsa_exception_fp_denorm_src 0
		.amdhsa_exception_fp_ieee_div_zero 0
		.amdhsa_exception_fp_ieee_overflow 0
		.amdhsa_exception_fp_ieee_underflow 0
		.amdhsa_exception_fp_ieee_inexact 0
		.amdhsa_exception_int_div_zero 0
	.end_amdhsa_kernel
	.section	.text._ZN9rocsparseL18gtsv_LBM_wv_kernelILj256ELj64EdEEviiiPKT1_S3_S3_PS1_S4_S4_Pi,"axG",@progbits,_ZN9rocsparseL18gtsv_LBM_wv_kernelILj256ELj64EdEEviiiPKT1_S3_S3_PS1_S4_S4_Pi,comdat
.Lfunc_end149:
	.size	_ZN9rocsparseL18gtsv_LBM_wv_kernelILj256ELj64EdEEviiiPKT1_S3_S3_PS1_S4_S4_Pi, .Lfunc_end149-_ZN9rocsparseL18gtsv_LBM_wv_kernelILj256ELj64EdEEviiiPKT1_S3_S3_PS1_S4_S4_Pi
                                        ; -- End function
	.set _ZN9rocsparseL18gtsv_LBM_wv_kernelILj256ELj64EdEEviiiPKT1_S3_S3_PS1_S4_S4_Pi.num_vgpr, 56
	.set _ZN9rocsparseL18gtsv_LBM_wv_kernelILj256ELj64EdEEviiiPKT1_S3_S3_PS1_S4_S4_Pi.num_agpr, 0
	.set _ZN9rocsparseL18gtsv_LBM_wv_kernelILj256ELj64EdEEviiiPKT1_S3_S3_PS1_S4_S4_Pi.numbered_sgpr, 31
	.set _ZN9rocsparseL18gtsv_LBM_wv_kernelILj256ELj64EdEEviiiPKT1_S3_S3_PS1_S4_S4_Pi.num_named_barrier, 0
	.set _ZN9rocsparseL18gtsv_LBM_wv_kernelILj256ELj64EdEEviiiPKT1_S3_S3_PS1_S4_S4_Pi.private_seg_size, 0
	.set _ZN9rocsparseL18gtsv_LBM_wv_kernelILj256ELj64EdEEviiiPKT1_S3_S3_PS1_S4_S4_Pi.uses_vcc, 1
	.set _ZN9rocsparseL18gtsv_LBM_wv_kernelILj256ELj64EdEEviiiPKT1_S3_S3_PS1_S4_S4_Pi.uses_flat_scratch, 0
	.set _ZN9rocsparseL18gtsv_LBM_wv_kernelILj256ELj64EdEEviiiPKT1_S3_S3_PS1_S4_S4_Pi.has_dyn_sized_stack, 0
	.set _ZN9rocsparseL18gtsv_LBM_wv_kernelILj256ELj64EdEEviiiPKT1_S3_S3_PS1_S4_S4_Pi.has_recursion, 0
	.set _ZN9rocsparseL18gtsv_LBM_wv_kernelILj256ELj64EdEEviiiPKT1_S3_S3_PS1_S4_S4_Pi.has_indirect_call, 0
	.section	.AMDGPU.csdata,"",@progbits
; Kernel info:
; codeLenInByte = 2220
; TotalNumSgprs: 37
; NumVgprs: 56
; NumAgprs: 0
; TotalNumVgprs: 56
; ScratchSize: 0
; MemoryBound: 1
; FloatMode: 240
; IeeeMode: 1
; LDSByteSize: 0 bytes/workgroup (compile time only)
; SGPRBlocks: 4
; VGPRBlocks: 6
; NumSGPRsForWavesPerEU: 37
; NumVGPRsForWavesPerEU: 56
; AccumOffset: 56
; Occupancy: 8
; WaveLimiterHint : 0
; COMPUTE_PGM_RSRC2:SCRATCH_EN: 0
; COMPUTE_PGM_RSRC2:USER_SGPR: 2
; COMPUTE_PGM_RSRC2:TRAP_HANDLER: 0
; COMPUTE_PGM_RSRC2:TGID_X_EN: 1
; COMPUTE_PGM_RSRC2:TGID_Y_EN: 0
; COMPUTE_PGM_RSRC2:TGID_Z_EN: 0
; COMPUTE_PGM_RSRC2:TIDIG_COMP_CNT: 0
; COMPUTE_PGM_RSRC3_GFX90A:ACCUM_OFFSET: 13
; COMPUTE_PGM_RSRC3_GFX90A:TG_SPLIT: 0
	.section	.text._ZN9rocsparseL19gtsv_LBM_rhs_kernelILj256ELj64ELj8EdEEviiiPKT2_S3_S3_PS1_S3_PKi,"axG",@progbits,_ZN9rocsparseL19gtsv_LBM_rhs_kernelILj256ELj64ELj8EdEEviiiPKT2_S3_S3_PS1_S3_PKi,comdat
	.globl	_ZN9rocsparseL19gtsv_LBM_rhs_kernelILj256ELj64ELj8EdEEviiiPKT2_S3_S3_PS1_S3_PKi ; -- Begin function _ZN9rocsparseL19gtsv_LBM_rhs_kernelILj256ELj64ELj8EdEEviiiPKT2_S3_S3_PS1_S3_PKi
	.p2align	8
	.type	_ZN9rocsparseL19gtsv_LBM_rhs_kernelILj256ELj64ELj8EdEEviiiPKT2_S3_S3_PS1_S3_PKi,@function
_ZN9rocsparseL19gtsv_LBM_rhs_kernelILj256ELj64ELj8EdEEviiiPKT2_S3_S3_PS1_S3_PKi: ; @_ZN9rocsparseL19gtsv_LBM_rhs_kernelILj256ELj64ELj8EdEEviiiPKT2_S3_S3_PS1_S3_PKi
; %bb.0:
	s_load_dword s23, s[0:1], 0x0
	v_lshl_or_b32 v0, s2, 8, v0
	s_waitcnt lgkmcnt(0)
	s_lshr_b32 s22, s23, 6
	v_cmp_gt_i32_e32 vcc, s22, v0
	s_and_saveexec_b64 s[4:5], vcc
	s_cbranch_execz .LBB150_29
; %bb.1:
	s_load_dwordx4 s[8:11], s[0:1], 0x28
	s_load_dwordx2 s[6:7], s[0:1], 0x38
	s_cmp_lt_i32 s23, 1
	v_add_u32_e32 v60, s22, v0
	s_mul_i32 s24, s3, s23
	s_cbranch_scc1 .LBB150_21
; %bb.2:
	s_load_dwordx4 s[12:15], s[0:1], 0x10
	s_load_dwordx2 s[16:17], s[0:1], 0x20
	v_ashrrev_i32_e32 v1, 31, v0
	s_lshl_b32 s28, s24, 3
	s_add_i32 s29, s28, s23
	s_waitcnt lgkmcnt(0)
	v_lshl_add_u64 v[2:3], v[0:1], 3, s[14:15]
	global_load_dwordx2 v[6:7], v[2:3], off
	s_add_i32 s30, s29, s23
	s_add_i32 s31, s30, s23
	s_add_i32 s33, s31, s23
	s_add_i32 s34, s33, s23
	s_add_i32 s35, s34, s23
	s_mul_i32 s25, s22, 63
	s_mul_i32 s26, s22, 62
	s_lshl_b32 s27, s22, 1
	v_add_u32_e32 v1, s22, v60
	s_add_i32 s36, s35, s23
	v_mov_b32_e32 v3, 0
	s_mov_b64 s[18:19], 0
	v_mov_b32_e32 v61, 0
	s_branch .LBB150_5
.LBB150_3:                              ;   in Loop: Header=BB150_5 Depth=1
	s_or_b64 exec, exec, s[4:5]
	v_fma_f64 v[6:7], -v[6:7], v[22:23], v[8:9]
	v_mov_b32_e32 v2, s22
.LBB150_4:                              ;   in Loop: Header=BB150_5 Depth=1
	s_or_b64 exec, exec, s[2:3]
	v_add_u32_e32 v61, v2, v61
	v_cmp_le_i32_e32 vcc, s23, v61
	s_or_b64 s[18:19], vcc, s[18:19]
	s_andn2_b64 exec, exec, s[18:19]
	s_cbranch_execz .LBB150_20
.LBB150_5:                              ; =>This Inner Loop Header: Depth=1
	v_add_u32_e32 v16, v61, v0
	v_ashrrev_i32_e32 v17, 31, v16
	v_lshl_add_u64 v[4:5], v[16:17], 3, s[16:17]
	global_load_dwordx2 v[14:15], v[4:5], off
	v_cmp_gt_u32_e64 s[0:1], s25, v61
	v_mov_b64_e32 v[8:9], 0
	v_mov_b64_e32 v[4:5], 0
	s_and_saveexec_b64 s[2:3], s[0:1]
	s_cbranch_execz .LBB150_7
; %bb.6:                                ;   in Loop: Header=BB150_5 Depth=1
	v_add_u32_e32 v4, v60, v61
	v_ashrrev_i32_e32 v5, 31, v4
	v_lshl_add_u64 v[4:5], v[4:5], 3, s[12:13]
	global_load_dwordx2 v[4:5], v[4:5], off
.LBB150_7:                              ;   in Loop: Header=BB150_5 Depth=1
	s_or_b64 exec, exec, s[2:3]
	s_and_saveexec_b64 s[2:3], s[0:1]
	s_cbranch_execz .LBB150_9
; %bb.8:                                ;   in Loop: Header=BB150_5 Depth=1
	v_add_u32_e32 v8, v60, v61
	v_ashrrev_i32_e32 v9, 31, v8
	v_lshl_add_u64 v[8:9], v[8:9], 3, s[14:15]
	global_load_dwordx2 v[8:9], v[8:9], off
.LBB150_9:                              ;   in Loop: Header=BB150_5 Depth=1
	s_or_b64 exec, exec, s[2:3]
	v_mov_b64_e32 v[12:13], 0
	v_mov_b64_e32 v[10:11], 0
	s_and_saveexec_b64 s[2:3], s[0:1]
	s_cbranch_execz .LBB150_11
; %bb.10:                               ;   in Loop: Header=BB150_5 Depth=1
	v_add_u32_e32 v10, v60, v61
	v_ashrrev_i32_e32 v11, 31, v10
	v_lshl_add_u64 v[10:11], v[10:11], 3, s[16:17]
	global_load_dwordx2 v[10:11], v[10:11], off
.LBB150_11:                             ;   in Loop: Header=BB150_5 Depth=1
	s_or_b64 exec, exec, s[2:3]
	v_cmp_gt_u32_e64 s[2:3], s26, v61
	s_and_saveexec_b64 s[4:5], s[2:3]
	s_cbranch_execz .LBB150_13
; %bb.12:                               ;   in Loop: Header=BB150_5 Depth=1
	v_add_u32_e32 v12, v1, v61
	v_ashrrev_i32_e32 v13, 31, v12
	v_lshl_add_u64 v[12:13], v[12:13], 3, s[12:13]
	global_load_dwordx2 v[12:13], v[12:13], off
.LBB150_13:                             ;   in Loop: Header=BB150_5 Depth=1
	s_or_b64 exec, exec, s[4:5]
	v_add_u32_e32 v2, s28, v16
	v_lshl_add_u64 v[38:39], v[2:3], 3, s[8:9]
	v_add_u32_e32 v2, s29, v16
	v_lshl_add_u64 v[30:31], v[2:3], 3, s[8:9]
	;; [unrolled: 2-line block ×6, first 2 shown]
	v_lshl_add_u64 v[20:21], v[2:3], 3, s[8:9]
	v_add_u32_e32 v2, s35, v16
	global_load_dword v22, v[18:19], off
	v_lshl_add_u64 v[18:19], v[2:3], 3, s[8:9]
	v_add_u32_e32 v2, s36, v16
	global_load_dwordx2 v[50:51], v[38:39], off
	global_load_dwordx2 v[46:47], v[30:31], off
	;; [unrolled: 1-line block ×4, first 2 shown]
	v_lshl_add_u64 v[16:17], v[2:3], 3, s[8:9]
	global_load_dwordx2 v[44:45], v[26:27], off
	global_load_dwordx2 v[40:41], v[20:21], off
	;; [unrolled: 1-line block ×4, first 2 shown]
	v_cmp_ne_u32_e64 s[4:5], s25, v61
	s_waitcnt vmcnt(8)
	v_cmp_ne_u32_e32 vcc, 1, v22
	s_and_b64 s[4:5], s[4:5], vcc
	v_mul_f64 v[22:23], v[14:15], v[4:5]
	s_and_saveexec_b64 s[20:21], s[4:5]
	s_xor_b64 s[4:5], exec, s[20:21]
	s_cbranch_execz .LBB150_17
; %bb.14:                               ;   in Loop: Header=BB150_5 Depth=1
	v_add_u32_e32 v78, v60, v61
	v_add_u32_e32 v2, s28, v78
	v_fma_f64 v[22:23], v[6:7], v[8:9], -v[22:23]
	v_lshl_add_u64 v[48:49], v[2:3], 3, s[8:9]
	v_div_scale_f64 v[54:55], s[20:21], v[22:23], v[22:23], 1.0
	global_load_dwordx2 v[52:53], v[48:49], off
	v_rcp_f64_e32 v[58:59], v[54:55]
	v_add_u32_e32 v2, s29, v78
	v_lshl_add_u64 v[62:63], v[2:3], 3, s[8:9]
	v_add_u32_e32 v2, s30, v78
	global_load_dwordx2 v[66:67], v[62:63], off
	v_lshl_add_u64 v[64:65], v[2:3], 3, s[8:9]
	v_fma_f64 v[72:73], -v[54:55], v[58:59], 1.0
	global_load_dwordx2 v[70:71], v[64:65], off
	v_fmac_f64_e32 v[58:59], v[58:59], v[72:73]
	v_fma_f64 v[72:73], -v[54:55], v[58:59], 1.0
	v_div_scale_f64 v[56:57], vcc, 1.0, v[22:23], 1.0
	v_add_u32_e32 v2, s31, v78
	v_fmac_f64_e32 v[58:59], v[58:59], v[72:73]
	v_lshl_add_u64 v[68:69], v[2:3], 3, s[8:9]
	v_add_u32_e32 v2, s33, v78
	v_mul_f64 v[72:73], v[56:57], v[58:59]
	v_fma_f64 v[54:55], -v[54:55], v[72:73], v[56:57]
	v_lshl_add_u64 v[74:75], v[2:3], 3, s[8:9]
	v_add_u32_e32 v2, s34, v78
	v_div_fmas_f64 v[54:55], v[54:55], v[58:59], v[72:73]
	v_lshl_add_u64 v[72:73], v[2:3], 3, s[8:9]
	v_add_u32_e32 v2, s35, v78
	v_lshl_add_u64 v[76:77], v[2:3], 3, s[8:9]
	v_add_u32_e32 v2, s36, v78
	global_load_dwordx2 v[78:79], v[68:69], off
	global_load_dwordx2 v[80:81], v[74:75], off
	;; [unrolled: 1-line block ×4, first 2 shown]
	v_lshl_add_u64 v[86:87], v[2:3], 3, s[8:9]
	global_load_dwordx2 v[88:89], v[86:87], off
	v_div_fixup_f64 v[22:23], v[54:55], v[22:23], 1.0
	s_waitcnt vmcnt(15)
	v_mul_f64 v[50:51], v[22:23], v[50:51]
	s_waitcnt vmcnt(14)
	v_mul_f64 v[46:47], v[22:23], v[46:47]
	;; [unrolled: 2-line block ×4, first 2 shown]
	v_mul_f64 v[54:55], v[14:15], v[52:53]
	v_fma_f64 v[54:55], v[8:9], v[50:51], -v[54:55]
	global_store_dwordx2 v[38:39], v[54:55], off
	s_waitcnt vmcnt(7)
	v_mul_f64 v[54:55], v[22:23], v[66:67]
	v_mul_f64 v[38:39], v[14:15], v[54:55]
	v_fma_f64 v[38:39], v[8:9], v[46:47], -v[38:39]
	s_waitcnt vmcnt(6)
	v_mul_f64 v[58:59], v[22:23], v[70:71]
	global_store_dwordx2 v[30:31], v[38:39], off
	v_mul_f64 v[30:31], v[14:15], v[58:59]
	v_fma_f64 v[30:31], v[8:9], v[56:57], -v[30:31]
	global_store_dwordx2 v[28:29], v[30:31], off
	v_mul_f64 v[28:29], v[22:23], v[36:37]
	v_mul_f64 v[38:39], v[22:23], v[44:45]
	s_waitcnt vmcnt(7)
	v_mul_f64 v[30:31], v[22:23], v[78:79]
	v_mul_f64 v[36:37], v[14:15], v[30:31]
	v_fma_f64 v[36:37], v[8:9], v[28:29], -v[36:37]
	s_waitcnt vmcnt(6)
	v_mul_f64 v[42:43], v[22:23], v[80:81]
	global_store_dwordx2 v[24:25], v[36:37], off
	v_mul_f64 v[24:25], v[14:15], v[42:43]
	v_fma_f64 v[24:25], v[8:9], v[38:39], -v[24:25]
	s_waitcnt vmcnt(6)
	v_mul_f64 v[36:37], v[22:23], v[82:83]
	global_store_dwordx2 v[26:27], v[24:25], off
	v_mul_f64 v[26:27], v[22:23], v[40:41]
	v_mul_f64 v[24:25], v[14:15], v[36:37]
	v_fma_f64 v[24:25], v[8:9], v[26:27], -v[24:25]
	global_store_dwordx2 v[20:21], v[24:25], off
	v_mul_f64 v[20:21], v[22:23], v[32:33]
	s_waitcnt vmcnt(7)
	v_mul_f64 v[32:33], v[22:23], v[84:85]
	v_mul_f64 v[24:25], v[22:23], v[34:35]
	;; [unrolled: 1-line block ×3, first 2 shown]
	v_fma_f64 v[34:35], v[8:9], v[24:25], -v[34:35]
	global_store_dwordx2 v[18:19], v[34:35], off
	s_waitcnt vmcnt(7)
	v_mul_f64 v[18:19], v[22:23], v[88:89]
	v_mul_f64 v[14:15], v[14:15], v[18:19]
	v_fma_f64 v[8:9], v[8:9], v[20:21], -v[14:15]
	v_mul_f64 v[34:35], v[4:5], v[50:51]
	global_store_dwordx2 v[16:17], v[8:9], off
	v_mul_f64 v[8:9], v[4:5], v[28:29]
	v_mul_f64 v[40:41], v[4:5], v[46:47]
	;; [unrolled: 1-line block ×4, first 2 shown]
	v_fma_f64 v[34:35], v[6:7], v[52:53], -v[34:35]
	v_fma_f64 v[8:9], v[6:7], v[30:31], -v[8:9]
	;; [unrolled: 1-line block ×5, first 2 shown]
	global_store_dwordx2 v[48:49], v[34:35], off
	global_store_dwordx2 v[62:63], v[40:41], off
	;; [unrolled: 1-line block ×5, first 2 shown]
	v_mul_f64 v[8:9], v[4:5], v[26:27]
	v_fma_f64 v[8:9], v[6:7], v[36:37], -v[8:9]
	global_store_dwordx2 v[72:73], v[8:9], off
	v_mul_f64 v[8:9], v[4:5], v[24:25]
	v_fma_f64 v[8:9], v[6:7], v[32:33], -v[8:9]
	global_store_dwordx2 v[76:77], v[8:9], off
	;; [unrolled: 3-line block ×3, first 2 shown]
	v_mov_b64_e32 v[8:9], 0
	s_and_saveexec_b64 s[20:21], s[2:3]
	s_cbranch_execz .LBB150_16
; %bb.15:                               ;   in Loop: Header=BB150_5 Depth=1
	v_add_u32_e32 v8, v1, v61
	v_add_u32_e32 v2, s28, v8
	v_lshl_add_u64 v[14:15], v[2:3], 3, s[8:9]
	global_load_dwordx2 v[16:17], v[14:15], off
	v_mul_f64 v[6:7], v[6:7], v[12:13]
	v_mul_f64 v[4:5], v[4:5], v[12:13]
	;; [unrolled: 1-line block ×3, first 2 shown]
	v_add_u32_e32 v2, s29, v8
	v_fma_f64 v[12:13], v[4:5], v[50:51], -v[12:13]
	v_lshl_add_u64 v[34:35], v[2:3], 3, s[8:9]
	v_add_u32_e32 v2, s30, v8
	global_load_dwordx2 v[40:41], v[34:35], off
	v_lshl_add_u64 v[44:45], v[2:3], 3, s[8:9]
	v_add_u32_e32 v2, s31, v8
	v_ashrrev_i32_e32 v9, 31, v8
	s_waitcnt vmcnt(1)
	v_add_f64 v[12:13], v[12:13], v[16:17]
	global_store_dwordx2 v[14:15], v[12:13], off
	global_load_dwordx2 v[12:13], v[44:45], off
	v_mul_f64 v[14:15], v[6:7], v[54:55]
	v_fma_f64 v[14:15], v[4:5], v[46:47], -v[14:15]
	v_mul_f64 v[16:17], v[6:7], v[58:59]
	v_fma_f64 v[16:17], v[4:5], v[56:57], -v[16:17]
	v_lshl_add_u64 v[46:47], v[2:3], 3, s[8:9]
	s_waitcnt vmcnt(2)
	v_add_f64 v[14:15], v[14:15], v[40:41]
	global_store_dwordx2 v[34:35], v[14:15], off
	v_add_u32_e32 v2, s33, v8
	global_load_dwordx2 v[14:15], v[46:47], off
	v_lshl_add_u64 v[48:49], v[2:3], 3, s[8:9]
	v_add_u32_e32 v2, s34, v8
	s_waitcnt vmcnt(2)
	v_add_f64 v[12:13], v[16:17], v[12:13]
	global_store_dwordx2 v[44:45], v[12:13], off
	global_load_dwordx2 v[12:13], v[48:49], off
	v_mul_f64 v[16:17], v[6:7], v[30:31]
	v_mul_f64 v[30:31], v[6:7], v[42:43]
	v_fma_f64 v[16:17], v[4:5], v[28:29], -v[16:17]
	v_fma_f64 v[28:29], v[4:5], v[38:39], -v[30:31]
	v_lshl_add_u64 v[30:31], v[2:3], 3, s[8:9]
	v_add_u32_e32 v2, s35, v8
	s_waitcnt vmcnt(2)
	v_add_f64 v[14:15], v[16:17], v[14:15]
	global_store_dwordx2 v[46:47], v[14:15], off
	v_mul_f64 v[14:15], v[6:7], v[36:37]
	v_fma_f64 v[14:15], v[4:5], v[26:27], -v[14:15]
	v_lshl_add_u64 v[16:17], v[2:3], 3, s[8:9]
	v_add_u32_e32 v2, s36, v8
	v_lshl_add_u64 v[8:9], v[8:9], 3, s[14:15]
	global_load_dwordx2 v[8:9], v[8:9], off
	s_waitcnt vmcnt(2)
	v_add_f64 v[12:13], v[28:29], v[12:13]
	global_store_dwordx2 v[48:49], v[12:13], off
	global_load_dwordx2 v[12:13], v[30:31], off
	s_waitcnt vmcnt(0)
	v_add_f64 v[12:13], v[14:15], v[12:13]
	global_store_dwordx2 v[30:31], v[12:13], off
	global_load_dwordx2 v[12:13], v[16:17], off
	v_mul_f64 v[14:15], v[6:7], v[32:33]
	v_fma_f64 v[14:15], v[4:5], v[24:25], -v[14:15]
	v_lshl_add_u64 v[24:25], v[2:3], 3, s[8:9]
	s_waitcnt vmcnt(0)
	v_add_f64 v[12:13], v[14:15], v[12:13]
	global_store_dwordx2 v[16:17], v[12:13], off
	global_load_dwordx2 v[12:13], v[24:25], off
	v_mul_f64 v[14:15], v[6:7], v[18:19]
	v_mul_f64 v[6:7], v[10:11], v[6:7]
	v_fma_f64 v[4:5], v[4:5], v[20:21], -v[14:15]
	v_fma_f64 v[8:9], -v[22:23], v[6:7], v[8:9]
	s_waitcnt vmcnt(0)
	v_add_f64 v[4:5], v[4:5], v[12:13]
	global_store_dwordx2 v[24:25], v[4:5], off
.LBB150_16:                             ;   in Loop: Header=BB150_5 Depth=1
	s_or_b64 exec, exec, s[20:21]
	v_mov_b64_e32 v[6:7], v[8:9]
                                        ; implicit-def: $vgpr4_vgpr5
                                        ; implicit-def: $vgpr8_vgpr9
                                        ; implicit-def: $vgpr22_vgpr23
                                        ; implicit-def: $vgpr38_vgpr39
                                        ; implicit-def: $vgpr50_vgpr51
                                        ; implicit-def: $vgpr30_vgpr31
                                        ; implicit-def: $vgpr46_vgpr47
                                        ; implicit-def: $vgpr28_vgpr29
                                        ; implicit-def: $vgpr42_vgpr43
                                        ; implicit-def: $vgpr24_vgpr25
                                        ; implicit-def: $vgpr36_vgpr37
                                        ; implicit-def: $vgpr26_vgpr27
                                        ; implicit-def: $vgpr44_vgpr45
                                        ; implicit-def: $vgpr20_vgpr21
                                        ; implicit-def: $vgpr40_vgpr41
                                        ; implicit-def: $vgpr18_vgpr19
                                        ; implicit-def: $vgpr34_vgpr35
                                        ; implicit-def: $vgpr16_vgpr17
                                        ; implicit-def: $vgpr32_vgpr33
.LBB150_17:                             ;   in Loop: Header=BB150_5 Depth=1
	s_or_saveexec_b64 s[2:3], s[4:5]
	v_mov_b32_e32 v2, s27
	s_xor_b64 exec, exec, s[2:3]
	s_cbranch_execz .LBB150_4
; %bb.18:                               ;   in Loop: Header=BB150_5 Depth=1
	v_div_scale_f64 v[10:11], s[4:5], v[6:7], v[6:7], 1.0
	v_rcp_f64_e32 v[12:13], v[10:11]
	v_div_scale_f64 v[14:15], vcc, 1.0, v[6:7], 1.0
	v_fma_f64 v[48:49], -v[10:11], v[12:13], 1.0
	v_fmac_f64_e32 v[12:13], v[12:13], v[48:49]
	v_fma_f64 v[48:49], -v[10:11], v[12:13], 1.0
	v_fmac_f64_e32 v[12:13], v[12:13], v[48:49]
	v_mul_f64 v[48:49], v[14:15], v[12:13]
	v_fma_f64 v[10:11], -v[10:11], v[48:49], v[14:15]
	v_div_fmas_f64 v[10:11], v[10:11], v[12:13], v[48:49]
	v_div_fixup_f64 v[6:7], v[10:11], v[6:7], 1.0
	s_waitcnt vmcnt(7)
	v_mul_f64 v[50:51], v[6:7], v[50:51]
	s_waitcnt vmcnt(6)
	v_mul_f64 v[48:49], v[6:7], v[46:47]
	;; [unrolled: 2-line block ×8, first 2 shown]
	global_store_dwordx2 v[38:39], v[50:51], off
	global_store_dwordx2 v[30:31], v[48:49], off
	;; [unrolled: 1-line block ×8, first 2 shown]
	s_and_saveexec_b64 s[4:5], s[0:1]
	s_cbranch_execz .LBB150_3
; %bb.19:                               ;   in Loop: Header=BB150_5 Depth=1
	v_add_u32_e32 v30, v60, v61
	v_add_u32_e32 v2, s28, v30
	v_lshl_add_u64 v[16:17], v[2:3], 3, s[8:9]
	global_load_dwordx2 v[18:19], v[16:17], off
	v_add_u32_e32 v2, s29, v30
	v_lshl_add_u64 v[20:21], v[2:3], 3, s[8:9]
	v_add_u32_e32 v2, s30, v30
	global_load_dwordx2 v[24:25], v[20:21], off
	v_lshl_add_u64 v[26:27], v[2:3], 3, s[8:9]
	v_add_u32_e32 v2, s31, v30
	s_waitcnt vmcnt(1)
	v_fma_f64 v[18:19], -v[4:5], v[50:51], v[18:19]
	global_store_dwordx2 v[16:17], v[18:19], off
	global_load_dwordx2 v[16:17], v[26:27], off
	v_lshl_add_u64 v[18:19], v[2:3], 3, s[8:9]
	s_waitcnt vmcnt(2)
	v_fma_f64 v[24:25], -v[4:5], v[48:49], v[24:25]
	global_store_dwordx2 v[20:21], v[24:25], off
	v_add_u32_e32 v2, s33, v30
	global_load_dwordx2 v[20:21], v[18:19], off
	v_lshl_add_u64 v[28:29], v[2:3], 3, s[8:9]
	v_add_u32_e32 v2, s34, v30
	v_lshl_add_u64 v[24:25], v[2:3], 3, s[8:9]
	v_add_u32_e32 v2, s35, v30
	s_waitcnt vmcnt(2)
	v_fma_f64 v[16:17], -v[4:5], v[46:47], v[16:17]
	global_store_dwordx2 v[26:27], v[16:17], off
	global_load_dwordx2 v[16:17], v[28:29], off
	s_waitcnt vmcnt(2)
	v_fma_f64 v[20:21], -v[4:5], v[42:43], v[20:21]
	global_store_dwordx2 v[18:19], v[20:21], off
	v_lshl_add_u64 v[18:19], v[2:3], 3, s[8:9]
	v_add_u32_e32 v2, s36, v30
	s_waitcnt vmcnt(1)
	v_fma_f64 v[16:17], -v[4:5], v[36:37], v[16:17]
	global_store_dwordx2 v[28:29], v[16:17], off
	global_load_dwordx2 v[16:17], v[24:25], off
	s_waitcnt vmcnt(0)
	v_fma_f64 v[14:15], -v[4:5], v[14:15], v[16:17]
	global_store_dwordx2 v[24:25], v[14:15], off
	global_load_dwordx2 v[14:15], v[18:19], off
	s_waitcnt vmcnt(0)
	v_fma_f64 v[12:13], -v[4:5], v[12:13], v[14:15]
	global_store_dwordx2 v[18:19], v[12:13], off
	v_lshl_add_u64 v[12:13], v[2:3], 3, s[8:9]
	global_load_dwordx2 v[14:15], v[12:13], off
	s_waitcnt vmcnt(0)
	v_fma_f64 v[4:5], -v[4:5], v[10:11], v[14:15]
	global_store_dwordx2 v[12:13], v[4:5], off
	s_branch .LBB150_3
.LBB150_20:
	s_or_b64 exec, exec, s[18:19]
	s_branch .LBB150_22
.LBB150_21:
	v_mov_b32_e32 v61, 0
.LBB150_22:
	v_subrev_u32_e32 v1, s22, v61
	v_add_u32_e32 v2, v1, v0
	v_ashrrev_i32_e32 v3, 31, v2
	s_waitcnt lgkmcnt(0)
	v_lshl_add_u64 v[2:3], v[2:3], 2, s[6:7]
	buffer_wbl2 sc1
	s_waitcnt vmcnt(0)
	buffer_inv sc1
	global_load_dword v2, v[2:3], off
	s_waitcnt vmcnt(0)
	v_mul_lo_u32 v2, v2, s22
	v_sub_u32_e32 v1, v1, v2
	v_cmp_lt_i32_e32 vcc, -1, v1
	s_and_b64 exec, exec, vcc
	s_cbranch_execz .LBB150_29
; %bb.23:
	s_lshl_b32 s4, s24, 3
	s_add_i32 s5, s4, s23
	s_add_i32 s12, s5, s23
	;; [unrolled: 1-line block ×7, first 2 shown]
	s_lshl_b32 s18, s22, 1
	s_mov_b64 s[0:1], 0
	v_mov_b32_e32 v3, 0
	s_branch .LBB150_25
.LBB150_24:                             ;   in Loop: Header=BB150_25 Depth=1
	s_or_b64 exec, exec, s[2:3]
	v_sub_u32_e32 v1, v1, v2
	v_cmp_gt_i32_e32 vcc, 0, v1
	s_or_b64 s[0:1], vcc, s[0:1]
	s_andn2_b64 exec, exec, s[0:1]
	s_cbranch_execz .LBB150_29
.LBB150_25:                             ; =>This Inner Loop Header: Depth=1
	v_add_u32_e32 v6, v1, v0
	v_ashrrev_i32_e32 v7, 31, v6
	s_waitcnt vmcnt(0)
	v_lshl_add_u64 v[4:5], v[6:7], 2, s[6:7]
	global_load_dword v2, v[4:5], off
	v_lshl_add_u64 v[4:5], v[6:7], 3, s[10:11]
	global_load_dwordx2 v[4:5], v[4:5], off
	s_waitcnt vmcnt(1)
	v_cmp_ne_u32_e32 vcc, 1, v2
	s_and_saveexec_b64 s[2:3], vcc
	s_xor_b64 s[2:3], exec, s[2:3]
	s_cbranch_execz .LBB150_27
; %bb.26:                               ;   in Loop: Header=BB150_25 Depth=1
	v_add_u32_e32 v7, v60, v1
	v_add_u32_e32 v2, s4, v7
	v_lshl_add_u64 v[8:9], v[2:3], 3, s[8:9]
	v_add_u32_e32 v2, s5, v7
	v_lshl_add_u64 v[10:11], v[2:3], 3, s[8:9]
	;; [unrolled: 2-line block ×9, first 2 shown]
	global_load_dwordx2 v[26:27], v[24:25], off
	global_load_dwordx2 v[28:29], v[8:9], off
	;; [unrolled: 1-line block ×9, first 2 shown]
	v_add_u32_e32 v2, s5, v6
	v_lshl_add_u64 v[8:9], v[2:3], 3, s[8:9]
	v_add_u32_e32 v2, s12, v6
	v_lshl_add_u64 v[12:13], v[2:3], 3, s[8:9]
	v_add_u32_e32 v2, s13, v6
	s_waitcnt vmcnt(7)
	v_fma_f64 v[10:11], -v[4:5], v[28:29], v[26:27]
	global_store_dwordx2 v[24:25], v[10:11], off
	global_load_dwordx2 v[10:11], v[8:9], off
	s_waitcnt vmcnt(0)
	v_fma_f64 v[10:11], -v[4:5], v[30:31], v[10:11]
	global_store_dwordx2 v[8:9], v[10:11], off
	global_load_dwordx2 v[8:9], v[12:13], off
	v_lshl_add_u64 v[10:11], v[2:3], 3, s[8:9]
	v_add_u32_e32 v2, s14, v6
	s_waitcnt vmcnt(0)
	v_fma_f64 v[8:9], -v[4:5], v[32:33], v[8:9]
	global_store_dwordx2 v[12:13], v[8:9], off
	global_load_dwordx2 v[8:9], v[10:11], off
	v_lshl_add_u64 v[12:13], v[2:3], 3, s[8:9]
	v_add_u32_e32 v2, s15, v6
	s_waitcnt vmcnt(0)
	v_fma_f64 v[8:9], -v[4:5], v[34:35], v[8:9]
	global_store_dwordx2 v[10:11], v[8:9], off
	global_load_dwordx2 v[8:9], v[12:13], off
	v_lshl_add_u64 v[10:11], v[2:3], 3, s[8:9]
	v_add_u32_e32 v2, s16, v6
	s_waitcnt vmcnt(0)
	v_fma_f64 v[8:9], -v[4:5], v[36:37], v[8:9]
	global_store_dwordx2 v[12:13], v[8:9], off
	global_load_dwordx2 v[8:9], v[10:11], off
	v_lshl_add_u64 v[12:13], v[2:3], 3, s[8:9]
	v_add_u32_e32 v2, s17, v6
	v_lshl_add_u64 v[6:7], v[2:3], 3, s[8:9]
	v_subrev_u32_e32 v2, s22, v1
	s_waitcnt vmcnt(0)
	v_fma_f64 v[8:9], -v[4:5], v[38:39], v[8:9]
	global_store_dwordx2 v[10:11], v[8:9], off
	global_load_dwordx2 v[8:9], v[12:13], off
	v_add_u32_e32 v10, v2, v0
	v_ashrrev_i32_e32 v11, 31, v10
	v_add_u32_e32 v2, s4, v10
	v_lshl_add_u64 v[14:15], v[2:3], 3, s[8:9]
	v_add_u32_e32 v2, s5, v10
	s_waitcnt vmcnt(0)
	v_fma_f64 v[8:9], -v[4:5], v[40:41], v[8:9]
	global_store_dwordx2 v[12:13], v[8:9], off
	global_load_dwordx2 v[8:9], v[6:7], off
	v_lshl_add_u64 v[12:13], v[10:11], 3, s[10:11]
	global_load_dwordx2 v[12:13], v[12:13], off
	s_waitcnt vmcnt(1)
	v_fma_f64 v[4:5], -v[4:5], v[42:43], v[8:9]
	global_store_dwordx2 v[6:7], v[4:5], off
	global_load_dwordx2 v[4:5], v[14:15], off
	v_lshl_add_u64 v[6:7], v[2:3], 3, s[8:9]
	v_add_u32_e32 v2, s12, v10
	v_lshl_add_u64 v[8:9], v[2:3], 3, s[8:9]
	v_add_u32_e32 v2, s13, v10
	s_waitcnt vmcnt(0)
	v_fma_f64 v[4:5], -v[12:13], v[28:29], v[4:5]
	global_store_dwordx2 v[14:15], v[4:5], off
	global_load_dwordx2 v[4:5], v[6:7], off
	s_waitcnt vmcnt(0)
	v_fma_f64 v[4:5], -v[12:13], v[30:31], v[4:5]
	global_store_dwordx2 v[6:7], v[4:5], off
	global_load_dwordx2 v[4:5], v[8:9], off
	v_lshl_add_u64 v[6:7], v[2:3], 3, s[8:9]
	v_add_u32_e32 v2, s14, v10
	s_waitcnt vmcnt(0)
	v_fma_f64 v[4:5], -v[12:13], v[32:33], v[4:5]
	global_store_dwordx2 v[8:9], v[4:5], off
	global_load_dwordx2 v[4:5], v[6:7], off
	v_lshl_add_u64 v[8:9], v[2:3], 3, s[8:9]
	v_add_u32_e32 v2, s15, v10
	;; [unrolled: 6-line block ×4, first 2 shown]
	s_waitcnt vmcnt(0)
	v_fma_f64 v[4:5], -v[12:13], v[38:39], v[4:5]
	global_store_dwordx2 v[6:7], v[4:5], off
	global_load_dwordx2 v[4:5], v[8:9], off
	s_waitcnt vmcnt(0)
	v_fma_f64 v[4:5], -v[12:13], v[40:41], v[4:5]
	global_store_dwordx2 v[8:9], v[4:5], off
	v_lshl_add_u64 v[4:5], v[2:3], 3, s[8:9]
	global_load_dwordx2 v[6:7], v[4:5], off
	s_waitcnt vmcnt(0)
	v_fma_f64 v[6:7], -v[12:13], v[42:43], v[6:7]
	global_store_dwordx2 v[4:5], v[6:7], off
                                        ; implicit-def: $vgpr6
                                        ; implicit-def: $vgpr4_vgpr5
.LBB150_27:                             ;   in Loop: Header=BB150_25 Depth=1
	s_or_saveexec_b64 s[2:3], s[2:3]
	v_mov_b32_e32 v2, s18
	s_xor_b64 exec, exec, s[2:3]
	s_cbranch_execz .LBB150_24
; %bb.28:                               ;   in Loop: Header=BB150_25 Depth=1
	v_add_u32_e32 v7, v60, v1
	v_add_u32_e32 v2, s4, v7
	v_lshl_add_u64 v[8:9], v[2:3], 3, s[8:9]
	v_add_u32_e32 v2, s4, v6
	v_lshl_add_u64 v[10:11], v[2:3], 3, s[8:9]
	global_load_dwordx2 v[12:13], v[8:9], off
	global_load_dwordx2 v[14:15], v[10:11], off
	v_add_u32_e32 v2, s5, v7
	v_lshl_add_u64 v[8:9], v[2:3], 3, s[8:9]
	v_add_u32_e32 v2, s5, v6
	v_lshl_add_u64 v[16:17], v[2:3], 3, s[8:9]
	v_add_u32_e32 v2, s12, v7
	s_waitcnt vmcnt(0)
	v_fma_f64 v[12:13], -v[4:5], v[12:13], v[14:15]
	global_store_dwordx2 v[10:11], v[12:13], off
	global_load_dwordx2 v[10:11], v[8:9], off
	s_nop 0
	global_load_dwordx2 v[12:13], v[16:17], off
	v_lshl_add_u64 v[8:9], v[2:3], 3, s[8:9]
	v_add_u32_e32 v2, s12, v6
	v_lshl_add_u64 v[14:15], v[2:3], 3, s[8:9]
	v_add_u32_e32 v2, s13, v7
	s_waitcnt vmcnt(0)
	v_fma_f64 v[10:11], -v[4:5], v[10:11], v[12:13]
	global_store_dwordx2 v[16:17], v[10:11], off
	global_load_dwordx2 v[10:11], v[8:9], off
	s_nop 0
	global_load_dwordx2 v[12:13], v[14:15], off
	v_lshl_add_u64 v[8:9], v[2:3], 3, s[8:9]
	v_add_u32_e32 v2, s13, v6
	v_lshl_add_u64 v[16:17], v[2:3], 3, s[8:9]
	v_add_u32_e32 v2, s14, v7
	s_waitcnt vmcnt(0)
	v_fma_f64 v[10:11], -v[4:5], v[10:11], v[12:13]
	global_store_dwordx2 v[14:15], v[10:11], off
	global_load_dwordx2 v[10:11], v[8:9], off
	s_nop 0
	global_load_dwordx2 v[12:13], v[16:17], off
	v_lshl_add_u64 v[8:9], v[2:3], 3, s[8:9]
	v_add_u32_e32 v2, s14, v6
	v_lshl_add_u64 v[14:15], v[2:3], 3, s[8:9]
	v_add_u32_e32 v2, s15, v7
	s_waitcnt vmcnt(0)
	v_fma_f64 v[10:11], -v[4:5], v[10:11], v[12:13]
	global_store_dwordx2 v[16:17], v[10:11], off
	global_load_dwordx2 v[10:11], v[8:9], off
	s_nop 0
	global_load_dwordx2 v[12:13], v[14:15], off
	v_lshl_add_u64 v[8:9], v[2:3], 3, s[8:9]
	v_add_u32_e32 v2, s15, v6
	v_lshl_add_u64 v[16:17], v[2:3], 3, s[8:9]
	v_add_u32_e32 v2, s16, v7
	s_waitcnt vmcnt(0)
	v_fma_f64 v[10:11], -v[4:5], v[10:11], v[12:13]
	global_store_dwordx2 v[14:15], v[10:11], off
	global_load_dwordx2 v[10:11], v[8:9], off
	s_nop 0
	global_load_dwordx2 v[12:13], v[16:17], off
	v_lshl_add_u64 v[8:9], v[2:3], 3, s[8:9]
	v_add_u32_e32 v2, s16, v6
	v_lshl_add_u64 v[14:15], v[2:3], 3, s[8:9]
	v_add_u32_e32 v2, s17, v7
	s_waitcnt vmcnt(0)
	v_fma_f64 v[10:11], -v[4:5], v[10:11], v[12:13]
	global_store_dwordx2 v[16:17], v[10:11], off
	global_load_dwordx2 v[10:11], v[8:9], off
	s_nop 0
	global_load_dwordx2 v[12:13], v[14:15], off
	v_lshl_add_u64 v[8:9], v[2:3], 3, s[8:9]
	v_add_u32_e32 v2, s17, v6
	v_lshl_add_u64 v[6:7], v[2:3], 3, s[8:9]
	v_mov_b32_e32 v2, s22
	s_waitcnt vmcnt(0)
	v_fma_f64 v[10:11], -v[4:5], v[10:11], v[12:13]
	global_store_dwordx2 v[14:15], v[10:11], off
	global_load_dwordx2 v[10:11], v[8:9], off
	s_nop 0
	global_load_dwordx2 v[12:13], v[6:7], off
	s_waitcnt vmcnt(0)
	v_fma_f64 v[4:5], -v[4:5], v[10:11], v[12:13]
	global_store_dwordx2 v[6:7], v[4:5], off
	s_branch .LBB150_24
.LBB150_29:
	s_endpgm
	.section	.rodata,"a",@progbits
	.p2align	6, 0x0
	.amdhsa_kernel _ZN9rocsparseL19gtsv_LBM_rhs_kernelILj256ELj64ELj8EdEEviiiPKT2_S3_S3_PS1_S3_PKi
		.amdhsa_group_segment_fixed_size 0
		.amdhsa_private_segment_fixed_size 0
		.amdhsa_kernarg_size 64
		.amdhsa_user_sgpr_count 2
		.amdhsa_user_sgpr_dispatch_ptr 0
		.amdhsa_user_sgpr_queue_ptr 0
		.amdhsa_user_sgpr_kernarg_segment_ptr 1
		.amdhsa_user_sgpr_dispatch_id 0
		.amdhsa_user_sgpr_kernarg_preload_length 0
		.amdhsa_user_sgpr_kernarg_preload_offset 0
		.amdhsa_user_sgpr_private_segment_size 0
		.amdhsa_uses_dynamic_stack 0
		.amdhsa_enable_private_segment 0
		.amdhsa_system_sgpr_workgroup_id_x 1
		.amdhsa_system_sgpr_workgroup_id_y 1
		.amdhsa_system_sgpr_workgroup_id_z 0
		.amdhsa_system_sgpr_workgroup_info 0
		.amdhsa_system_vgpr_workitem_id 0
		.amdhsa_next_free_vgpr 90
		.amdhsa_next_free_sgpr 37
		.amdhsa_accum_offset 92
		.amdhsa_reserve_vcc 1
		.amdhsa_float_round_mode_32 0
		.amdhsa_float_round_mode_16_64 0
		.amdhsa_float_denorm_mode_32 3
		.amdhsa_float_denorm_mode_16_64 3
		.amdhsa_dx10_clamp 1
		.amdhsa_ieee_mode 1
		.amdhsa_fp16_overflow 0
		.amdhsa_tg_split 0
		.amdhsa_exception_fp_ieee_invalid_op 0
		.amdhsa_exception_fp_denorm_src 0
		.amdhsa_exception_fp_ieee_div_zero 0
		.amdhsa_exception_fp_ieee_overflow 0
		.amdhsa_exception_fp_ieee_underflow 0
		.amdhsa_exception_fp_ieee_inexact 0
		.amdhsa_exception_int_div_zero 0
	.end_amdhsa_kernel
	.section	.text._ZN9rocsparseL19gtsv_LBM_rhs_kernelILj256ELj64ELj8EdEEviiiPKT2_S3_S3_PS1_S3_PKi,"axG",@progbits,_ZN9rocsparseL19gtsv_LBM_rhs_kernelILj256ELj64ELj8EdEEviiiPKT2_S3_S3_PS1_S3_PKi,comdat
.Lfunc_end150:
	.size	_ZN9rocsparseL19gtsv_LBM_rhs_kernelILj256ELj64ELj8EdEEviiiPKT2_S3_S3_PS1_S3_PKi, .Lfunc_end150-_ZN9rocsparseL19gtsv_LBM_rhs_kernelILj256ELj64ELj8EdEEviiiPKT2_S3_S3_PS1_S3_PKi
                                        ; -- End function
	.set _ZN9rocsparseL19gtsv_LBM_rhs_kernelILj256ELj64ELj8EdEEviiiPKT2_S3_S3_PS1_S3_PKi.num_vgpr, 90
	.set _ZN9rocsparseL19gtsv_LBM_rhs_kernelILj256ELj64ELj8EdEEviiiPKT2_S3_S3_PS1_S3_PKi.num_agpr, 0
	.set _ZN9rocsparseL19gtsv_LBM_rhs_kernelILj256ELj64ELj8EdEEviiiPKT2_S3_S3_PS1_S3_PKi.numbered_sgpr, 37
	.set _ZN9rocsparseL19gtsv_LBM_rhs_kernelILj256ELj64ELj8EdEEviiiPKT2_S3_S3_PS1_S3_PKi.num_named_barrier, 0
	.set _ZN9rocsparseL19gtsv_LBM_rhs_kernelILj256ELj64ELj8EdEEviiiPKT2_S3_S3_PS1_S3_PKi.private_seg_size, 0
	.set _ZN9rocsparseL19gtsv_LBM_rhs_kernelILj256ELj64ELj8EdEEviiiPKT2_S3_S3_PS1_S3_PKi.uses_vcc, 1
	.set _ZN9rocsparseL19gtsv_LBM_rhs_kernelILj256ELj64ELj8EdEEviiiPKT2_S3_S3_PS1_S3_PKi.uses_flat_scratch, 0
	.set _ZN9rocsparseL19gtsv_LBM_rhs_kernelILj256ELj64ELj8EdEEviiiPKT2_S3_S3_PS1_S3_PKi.has_dyn_sized_stack, 0
	.set _ZN9rocsparseL19gtsv_LBM_rhs_kernelILj256ELj64ELj8EdEEviiiPKT2_S3_S3_PS1_S3_PKi.has_recursion, 0
	.set _ZN9rocsparseL19gtsv_LBM_rhs_kernelILj256ELj64ELj8EdEEviiiPKT2_S3_S3_PS1_S3_PKi.has_indirect_call, 0
	.section	.AMDGPU.csdata,"",@progbits
; Kernel info:
; codeLenInByte = 4144
; TotalNumSgprs: 43
; NumVgprs: 90
; NumAgprs: 0
; TotalNumVgprs: 90
; ScratchSize: 0
; MemoryBound: 0
; FloatMode: 240
; IeeeMode: 1
; LDSByteSize: 0 bytes/workgroup (compile time only)
; SGPRBlocks: 5
; VGPRBlocks: 11
; NumSGPRsForWavesPerEU: 43
; NumVGPRsForWavesPerEU: 90
; AccumOffset: 92
; Occupancy: 5
; WaveLimiterHint : 0
; COMPUTE_PGM_RSRC2:SCRATCH_EN: 0
; COMPUTE_PGM_RSRC2:USER_SGPR: 2
; COMPUTE_PGM_RSRC2:TRAP_HANDLER: 0
; COMPUTE_PGM_RSRC2:TGID_X_EN: 1
; COMPUTE_PGM_RSRC2:TGID_Y_EN: 1
; COMPUTE_PGM_RSRC2:TGID_Z_EN: 0
; COMPUTE_PGM_RSRC2:TIDIG_COMP_CNT: 0
; COMPUTE_PGM_RSRC3_GFX90A:ACCUM_OFFSET: 22
; COMPUTE_PGM_RSRC3_GFX90A:TG_SPLIT: 0
	.section	.text._ZN9rocsparseL19gtsv_LBM_rhs_kernelILj256ELj64ELj4EdEEviiiPKT2_S3_S3_PS1_S3_PKi,"axG",@progbits,_ZN9rocsparseL19gtsv_LBM_rhs_kernelILj256ELj64ELj4EdEEviiiPKT2_S3_S3_PS1_S3_PKi,comdat
	.globl	_ZN9rocsparseL19gtsv_LBM_rhs_kernelILj256ELj64ELj4EdEEviiiPKT2_S3_S3_PS1_S3_PKi ; -- Begin function _ZN9rocsparseL19gtsv_LBM_rhs_kernelILj256ELj64ELj4EdEEviiiPKT2_S3_S3_PS1_S3_PKi
	.p2align	8
	.type	_ZN9rocsparseL19gtsv_LBM_rhs_kernelILj256ELj64ELj4EdEEviiiPKT2_S3_S3_PS1_S3_PKi,@function
_ZN9rocsparseL19gtsv_LBM_rhs_kernelILj256ELj64ELj4EdEEviiiPKT2_S3_S3_PS1_S3_PKi: ; @_ZN9rocsparseL19gtsv_LBM_rhs_kernelILj256ELj64ELj4EdEEviiiPKT2_S3_S3_PS1_S3_PKi
; %bb.0:
	s_load_dword s23, s[0:1], 0x0
	v_lshl_or_b32 v0, s2, 8, v0
	s_waitcnt lgkmcnt(0)
	s_lshr_b32 s22, s23, 6
	v_cmp_gt_i32_e32 vcc, s22, v0
	s_and_saveexec_b64 s[4:5], vcc
	s_cbranch_execz .LBB151_29
; %bb.1:
	s_load_dwordx4 s[8:11], s[0:1], 0x28
	s_load_dwordx2 s[6:7], s[0:1], 0x38
	s_cmp_lt_i32 s23, 1
	v_add_u32_e32 v42, s22, v0
	s_mul_i32 s24, s3, s23
	s_cbranch_scc1 .LBB151_21
; %bb.2:
	s_load_dwordx4 s[12:15], s[0:1], 0x10
	s_load_dwordx2 s[16:17], s[0:1], 0x20
	v_ashrrev_i32_e32 v1, 31, v0
	s_lshl_b32 s28, s24, 2
	s_add_i32 s29, s28, s23
	s_waitcnt lgkmcnt(0)
	v_lshl_add_u64 v[2:3], v[0:1], 3, s[14:15]
	global_load_dwordx2 v[4:5], v[2:3], off
	s_add_i32 s30, s29, s23
	s_mul_i32 s25, s22, 63
	s_mul_i32 s26, s22, 62
	s_lshl_b32 s27, s22, 1
	v_add_u32_e32 v43, s22, v42
	s_add_i32 s31, s30, s23
	v_mov_b32_e32 v3, 0
	s_mov_b64 s[18:19], 0
	v_mov_b32_e32 v1, 0
	s_branch .LBB151_5
.LBB151_3:                              ;   in Loop: Header=BB151_5 Depth=1
	s_or_b64 exec, exec, s[4:5]
	v_fma_f64 v[4:5], -v[4:5], v[14:15], v[8:9]
	v_mov_b32_e32 v2, s22
.LBB151_4:                              ;   in Loop: Header=BB151_5 Depth=1
	s_or_b64 exec, exec, s[2:3]
	v_add_u32_e32 v1, v2, v1
	v_cmp_le_i32_e32 vcc, s23, v1
	s_or_b64 s[18:19], vcc, s[18:19]
	s_andn2_b64 exec, exec, s[18:19]
	s_cbranch_execz .LBB151_20
.LBB151_5:                              ; =>This Inner Loop Header: Depth=1
	v_add_u32_e32 v14, v1, v0
	v_ashrrev_i32_e32 v15, 31, v14
	v_lshl_add_u64 v[6:7], v[14:15], 3, s[16:17]
	global_load_dwordx2 v[20:21], v[6:7], off
	v_cmp_gt_u32_e64 s[0:1], s25, v1
	v_mov_b64_e32 v[8:9], 0
	v_mov_b64_e32 v[6:7], 0
	s_and_saveexec_b64 s[2:3], s[0:1]
	s_cbranch_execz .LBB151_7
; %bb.6:                                ;   in Loop: Header=BB151_5 Depth=1
	v_add_u32_e32 v6, v42, v1
	v_ashrrev_i32_e32 v7, 31, v6
	v_lshl_add_u64 v[6:7], v[6:7], 3, s[12:13]
	global_load_dwordx2 v[6:7], v[6:7], off
.LBB151_7:                              ;   in Loop: Header=BB151_5 Depth=1
	s_or_b64 exec, exec, s[2:3]
	s_and_saveexec_b64 s[2:3], s[0:1]
	s_cbranch_execz .LBB151_9
; %bb.8:                                ;   in Loop: Header=BB151_5 Depth=1
	v_add_u32_e32 v8, v42, v1
	v_ashrrev_i32_e32 v9, 31, v8
	v_lshl_add_u64 v[8:9], v[8:9], 3, s[14:15]
	global_load_dwordx2 v[8:9], v[8:9], off
.LBB151_9:                              ;   in Loop: Header=BB151_5 Depth=1
	s_or_b64 exec, exec, s[2:3]
	v_mov_b64_e32 v[12:13], 0
	v_mov_b64_e32 v[10:11], 0
	s_and_saveexec_b64 s[2:3], s[0:1]
	s_cbranch_execz .LBB151_11
; %bb.10:                               ;   in Loop: Header=BB151_5 Depth=1
	v_add_u32_e32 v10, v42, v1
	v_ashrrev_i32_e32 v11, 31, v10
	v_lshl_add_u64 v[10:11], v[10:11], 3, s[16:17]
	global_load_dwordx2 v[10:11], v[10:11], off
.LBB151_11:                             ;   in Loop: Header=BB151_5 Depth=1
	s_or_b64 exec, exec, s[2:3]
	v_cmp_gt_u32_e64 s[2:3], s26, v1
	s_and_saveexec_b64 s[4:5], s[2:3]
	s_cbranch_execz .LBB151_13
; %bb.12:                               ;   in Loop: Header=BB151_5 Depth=1
	v_add_u32_e32 v12, v43, v1
	v_ashrrev_i32_e32 v13, 31, v12
	v_lshl_add_u64 v[12:13], v[12:13], 3, s[12:13]
	global_load_dwordx2 v[12:13], v[12:13], off
.LBB151_13:                             ;   in Loop: Header=BB151_5 Depth=1
	s_or_b64 exec, exec, s[4:5]
	v_add_u32_e32 v2, s28, v14
	v_lshl_add_u64 v[26:27], v[2:3], 3, s[8:9]
	v_add_u32_e32 v2, s29, v14
	v_lshl_add_u64 v[28:29], v[2:3], 3, s[8:9]
	v_add_u32_e32 v2, s30, v14
	s_waitcnt vmcnt(4)
	v_lshl_add_u64 v[16:17], v[14:15], 2, s[6:7]
	v_lshl_add_u64 v[30:31], v[2:3], 3, s[8:9]
	v_add_u32_e32 v2, s31, v14
	global_load_dword v15, v[16:17], off
	v_lshl_add_u64 v[34:35], v[2:3], 3, s[8:9]
	global_load_dwordx2 v[16:17], v[26:27], off
	global_load_dwordx2 v[18:19], v[28:29], off
	;; [unrolled: 1-line block ×4, first 2 shown]
	v_cmp_ne_u32_e64 s[4:5], s25, v1
	s_waitcnt vmcnt(4)
	v_cmp_ne_u32_e32 vcc, 1, v15
	s_and_b64 s[4:5], s[4:5], vcc
	v_mul_f64 v[14:15], v[20:21], v[6:7]
	s_and_saveexec_b64 s[20:21], s[4:5]
	s_xor_b64 s[4:5], exec, s[20:21]
	s_cbranch_execz .LBB151_17
; %bb.14:                               ;   in Loop: Header=BB151_5 Depth=1
	v_fma_f64 v[14:15], v[4:5], v[8:9], -v[14:15]
	v_div_scale_f64 v[22:23], s[20:21], v[14:15], v[14:15], 1.0
	v_rcp_f64_e32 v[24:25], v[22:23]
	s_nop 0
	v_fma_f64 v[38:39], -v[22:23], v[24:25], 1.0
	v_fmac_f64_e32 v[24:25], v[24:25], v[38:39]
	v_fma_f64 v[38:39], -v[22:23], v[24:25], 1.0
	v_fmac_f64_e32 v[24:25], v[24:25], v[38:39]
	v_div_scale_f64 v[38:39], vcc, 1.0, v[14:15], 1.0
	v_mul_f64 v[40:41], v[38:39], v[24:25]
	v_fma_f64 v[22:23], -v[22:23], v[40:41], v[38:39]
	s_nop 1
	v_div_fmas_f64 v[22:23], v[22:23], v[24:25], v[40:41]
	v_div_fixup_f64 v[14:15], v[22:23], v[14:15], 1.0
	s_waitcnt vmcnt(2)
	v_mul_f64 v[24:25], v[14:15], v[18:19]
	s_waitcnt vmcnt(0)
	v_mul_f64 v[18:19], v[14:15], v[36:37]
	v_add_u32_e32 v36, v42, v1
	v_add_u32_e32 v2, s28, v36
	v_lshl_add_u64 v[44:45], v[2:3], 3, s[8:9]
	v_mul_f64 v[22:23], v[14:15], v[16:17]
	v_mul_f64 v[16:17], v[14:15], v[32:33]
	global_load_dwordx2 v[32:33], v[44:45], off
	v_add_u32_e32 v2, s29, v36
	v_lshl_add_u64 v[46:47], v[2:3], 3, s[8:9]
	v_add_u32_e32 v2, s30, v36
	v_lshl_add_u64 v[48:49], v[2:3], 3, s[8:9]
	;; [unrolled: 2-line block ×3, first 2 shown]
	global_load_dwordx2 v[36:37], v[50:51], off
	s_waitcnt vmcnt(1)
	v_mul_f64 v[38:39], v[14:15], v[32:33]
	global_load_dwordx2 v[32:33], v[46:47], off
	v_mul_f64 v[52:53], v[20:21], v[38:39]
	v_fma_f64 v[52:53], v[8:9], v[22:23], -v[52:53]
	s_waitcnt vmcnt(1)
	v_mul_f64 v[36:37], v[14:15], v[36:37]
	s_waitcnt vmcnt(0)
	v_mul_f64 v[40:41], v[14:15], v[32:33]
	global_load_dwordx2 v[32:33], v[48:49], off
	s_waitcnt vmcnt(0)
	v_mul_f64 v[32:33], v[14:15], v[32:33]
	global_store_dwordx2 v[26:27], v[52:53], off
	v_mul_f64 v[26:27], v[20:21], v[40:41]
	v_fma_f64 v[26:27], v[8:9], v[24:25], -v[26:27]
	global_store_dwordx2 v[28:29], v[26:27], off
	v_mul_f64 v[26:27], v[20:21], v[32:33]
	v_mul_f64 v[20:21], v[20:21], v[36:37]
	v_fma_f64 v[26:27], v[8:9], v[16:17], -v[26:27]
	v_fma_f64 v[8:9], v[8:9], v[18:19], -v[20:21]
	global_store_dwordx2 v[30:31], v[26:27], off
	global_store_dwordx2 v[34:35], v[8:9], off
	v_mul_f64 v[8:9], v[6:7], v[22:23]
	v_fma_f64 v[8:9], v[4:5], v[38:39], -v[8:9]
	global_store_dwordx2 v[44:45], v[8:9], off
	v_mul_f64 v[8:9], v[6:7], v[24:25]
	v_fma_f64 v[8:9], v[4:5], v[40:41], -v[8:9]
	;; [unrolled: 3-line block ×4, first 2 shown]
	global_store_dwordx2 v[50:51], v[8:9], off
	v_mov_b64_e32 v[8:9], 0
	s_and_saveexec_b64 s[20:21], s[2:3]
	s_cbranch_execz .LBB151_16
; %bb.15:                               ;   in Loop: Header=BB151_5 Depth=1
	v_add_u32_e32 v8, v43, v1
	v_add_u32_e32 v2, s28, v8
	v_lshl_add_u64 v[20:21], v[2:3], 3, s[8:9]
	v_add_u32_e32 v2, s29, v8
	global_load_dwordx2 v[26:27], v[20:21], off
	v_lshl_add_u64 v[28:29], v[2:3], 3, s[8:9]
	global_load_dwordx2 v[30:31], v[28:29], off
	v_mul_f64 v[4:5], v[4:5], v[12:13]
	v_mul_f64 v[6:7], v[6:7], v[12:13]
	;; [unrolled: 1-line block ×4, first 2 shown]
	v_fma_f64 v[12:13], v[6:7], v[22:23], -v[12:13]
	v_fma_f64 v[22:23], v[6:7], v[24:25], -v[34:35]
	v_add_u32_e32 v2, s30, v8
	v_ashrrev_i32_e32 v9, 31, v8
	v_lshl_add_u64 v[24:25], v[2:3], 3, s[8:9]
	v_add_u32_e32 v2, s31, v8
	v_lshl_add_u64 v[34:35], v[2:3], 3, s[8:9]
	v_lshl_add_u64 v[8:9], v[8:9], 3, s[14:15]
	global_load_dwordx2 v[8:9], v[8:9], off
	s_waitcnt vmcnt(2)
	v_add_f64 v[12:13], v[12:13], v[26:27]
	global_store_dwordx2 v[20:21], v[12:13], off
	s_waitcnt vmcnt(2)
	v_add_f64 v[12:13], v[22:23], v[30:31]
	global_store_dwordx2 v[28:29], v[12:13], off
	global_load_dwordx2 v[20:21], v[24:25], off
	v_mul_f64 v[22:23], v[4:5], v[32:33]
	global_load_dwordx2 v[12:13], v[34:35], off
	v_mul_f64 v[26:27], v[4:5], v[36:37]
	v_mul_f64 v[4:5], v[10:11], v[4:5]
	v_fma_f64 v[10:11], v[6:7], v[16:17], -v[22:23]
	v_fma_f64 v[6:7], v[6:7], v[18:19], -v[26:27]
	s_waitcnt vmcnt(4)
	v_fma_f64 v[8:9], -v[14:15], v[4:5], v[8:9]
	s_waitcnt vmcnt(1)
	v_add_f64 v[10:11], v[10:11], v[20:21]
	global_store_dwordx2 v[24:25], v[10:11], off
	s_waitcnt vmcnt(1)
	v_add_f64 v[6:7], v[6:7], v[12:13]
	global_store_dwordx2 v[34:35], v[6:7], off
.LBB151_16:                             ;   in Loop: Header=BB151_5 Depth=1
	s_or_b64 exec, exec, s[20:21]
	v_mov_b64_e32 v[4:5], v[8:9]
                                        ; implicit-def: $vgpr6_vgpr7
                                        ; implicit-def: $vgpr8_vgpr9
                                        ; implicit-def: $vgpr14_vgpr15
                                        ; implicit-def: $vgpr26_vgpr27
                                        ; implicit-def: $vgpr16_vgpr17
                                        ; implicit-def: $vgpr28_vgpr29
                                        ; implicit-def: $vgpr18_vgpr19
                                        ; implicit-def: $vgpr30_vgpr31
                                        ; implicit-def: $vgpr32_vgpr33
                                        ; implicit-def: $vgpr34_vgpr35
                                        ; implicit-def: $vgpr36_vgpr37
.LBB151_17:                             ;   in Loop: Header=BB151_5 Depth=1
	s_or_saveexec_b64 s[2:3], s[4:5]
	v_mov_b32_e32 v2, s27
	s_xor_b64 exec, exec, s[2:3]
	s_cbranch_execz .LBB151_4
; %bb.18:                               ;   in Loop: Header=BB151_5 Depth=1
	v_div_scale_f64 v[10:11], s[4:5], v[4:5], v[4:5], 1.0
	v_rcp_f64_e32 v[12:13], v[10:11]
	v_div_scale_f64 v[20:21], vcc, 1.0, v[4:5], 1.0
	v_fma_f64 v[22:23], -v[10:11], v[12:13], 1.0
	v_fmac_f64_e32 v[12:13], v[12:13], v[22:23]
	v_fma_f64 v[22:23], -v[10:11], v[12:13], 1.0
	v_fmac_f64_e32 v[12:13], v[12:13], v[22:23]
	v_mul_f64 v[22:23], v[20:21], v[12:13]
	v_fma_f64 v[10:11], -v[10:11], v[22:23], v[20:21]
	v_div_fmas_f64 v[10:11], v[10:11], v[12:13], v[22:23]
	v_div_fixup_f64 v[4:5], v[10:11], v[4:5], 1.0
	s_waitcnt vmcnt(3)
	v_mul_f64 v[20:21], v[4:5], v[16:17]
	s_waitcnt vmcnt(2)
	v_mul_f64 v[16:17], v[4:5], v[18:19]
	;; [unrolled: 2-line block ×4, first 2 shown]
	global_store_dwordx2 v[26:27], v[20:21], off
	global_store_dwordx2 v[28:29], v[16:17], off
	;; [unrolled: 1-line block ×4, first 2 shown]
	s_and_saveexec_b64 s[4:5], s[0:1]
	s_cbranch_execz .LBB151_3
; %bb.19:                               ;   in Loop: Header=BB151_5 Depth=1
	v_add_u32_e32 v30, v42, v1
	v_add_u32_e32 v2, s28, v30
	v_lshl_add_u64 v[18:19], v[2:3], 3, s[8:9]
	v_add_u32_e32 v2, s29, v30
	v_lshl_add_u64 v[24:25], v[2:3], 3, s[8:9]
	global_load_dwordx2 v[22:23], v[18:19], off
	global_load_dwordx2 v[26:27], v[24:25], off
	v_add_u32_e32 v2, s30, v30
	v_lshl_add_u64 v[28:29], v[2:3], 3, s[8:9]
	v_add_u32_e32 v2, s31, v30
	v_lshl_add_u64 v[30:31], v[2:3], 3, s[8:9]
	s_waitcnt vmcnt(1)
	v_fma_f64 v[20:21], -v[6:7], v[20:21], v[22:23]
	s_waitcnt vmcnt(0)
	v_fma_f64 v[16:17], -v[6:7], v[16:17], v[26:27]
	global_store_dwordx2 v[18:19], v[20:21], off
	global_store_dwordx2 v[24:25], v[16:17], off
	global_load_dwordx2 v[18:19], v[28:29], off
	s_nop 0
	global_load_dwordx2 v[16:17], v[30:31], off
	s_waitcnt vmcnt(1)
	v_fma_f64 v[12:13], -v[6:7], v[12:13], v[18:19]
	global_store_dwordx2 v[28:29], v[12:13], off
	s_waitcnt vmcnt(1)
	v_fma_f64 v[6:7], -v[6:7], v[10:11], v[16:17]
	global_store_dwordx2 v[30:31], v[6:7], off
	s_branch .LBB151_3
.LBB151_20:
	s_or_b64 exec, exec, s[18:19]
	s_branch .LBB151_22
.LBB151_21:
	v_mov_b32_e32 v1, 0
.LBB151_22:
	v_subrev_u32_e32 v1, s22, v1
	v_add_u32_e32 v2, v1, v0
	v_ashrrev_i32_e32 v3, 31, v2
	s_waitcnt lgkmcnt(0)
	v_lshl_add_u64 v[2:3], v[2:3], 2, s[6:7]
	buffer_wbl2 sc1
	s_waitcnt vmcnt(0)
	buffer_inv sc1
	global_load_dword v2, v[2:3], off
	s_waitcnt vmcnt(0)
	v_mul_lo_u32 v2, v2, s22
	v_sub_u32_e32 v1, v1, v2
	v_cmp_lt_i32_e32 vcc, -1, v1
	s_and_b64 exec, exec, vcc
	s_cbranch_execz .LBB151_29
; %bb.23:
	s_lshl_b32 s4, s24, 2
	s_add_i32 s5, s4, s23
	s_add_i32 s12, s5, s23
	;; [unrolled: 1-line block ×3, first 2 shown]
	s_lshl_b32 s14, s22, 1
	s_mov_b64 s[0:1], 0
	v_mov_b32_e32 v3, 0
	s_branch .LBB151_25
.LBB151_24:                             ;   in Loop: Header=BB151_25 Depth=1
	s_or_b64 exec, exec, s[2:3]
	v_sub_u32_e32 v1, v1, v2
	v_cmp_gt_i32_e32 vcc, 0, v1
	s_or_b64 s[0:1], vcc, s[0:1]
	s_andn2_b64 exec, exec, s[0:1]
	s_cbranch_execz .LBB151_29
.LBB151_25:                             ; =>This Inner Loop Header: Depth=1
	v_add_u32_e32 v6, v1, v0
	v_ashrrev_i32_e32 v7, 31, v6
	s_waitcnt vmcnt(0)
	v_lshl_add_u64 v[4:5], v[6:7], 2, s[6:7]
	global_load_dword v2, v[4:5], off
	v_lshl_add_u64 v[4:5], v[6:7], 3, s[10:11]
	global_load_dwordx2 v[4:5], v[4:5], off
	s_waitcnt vmcnt(1)
	v_cmp_ne_u32_e32 vcc, 1, v2
	s_and_saveexec_b64 s[2:3], vcc
	s_xor_b64 s[2:3], exec, s[2:3]
	s_cbranch_execz .LBB151_27
; %bb.26:                               ;   in Loop: Header=BB151_25 Depth=1
	v_add_u32_e32 v7, v42, v1
	v_add_u32_e32 v2, s4, v7
	v_lshl_add_u64 v[8:9], v[2:3], 3, s[8:9]
	v_add_u32_e32 v2, s5, v7
	v_lshl_add_u64 v[10:11], v[2:3], 3, s[8:9]
	;; [unrolled: 2-line block ×5, first 2 shown]
	global_load_dwordx2 v[18:19], v[16:17], off
	global_load_dwordx2 v[20:21], v[8:9], off
	;; [unrolled: 1-line block ×5, first 2 shown]
	v_add_u32_e32 v2, s5, v6
	v_lshl_add_u64 v[8:9], v[2:3], 3, s[8:9]
	v_add_u32_e32 v2, s12, v6
	v_lshl_add_u64 v[12:13], v[2:3], 3, s[8:9]
	;; [unrolled: 2-line block ×3, first 2 shown]
	v_subrev_u32_e32 v2, s22, v1
	s_waitcnt vmcnt(3)
	v_fma_f64 v[10:11], -v[4:5], v[20:21], v[18:19]
	global_store_dwordx2 v[16:17], v[10:11], off
	global_load_dwordx2 v[10:11], v[8:9], off
	s_waitcnt vmcnt(0)
	v_fma_f64 v[10:11], -v[4:5], v[22:23], v[10:11]
	global_store_dwordx2 v[8:9], v[10:11], off
	global_load_dwordx2 v[8:9], v[12:13], off
	v_add_u32_e32 v10, v2, v0
	v_ashrrev_i32_e32 v11, 31, v10
	v_add_u32_e32 v2, s4, v10
	v_lshl_add_u64 v[14:15], v[2:3], 3, s[8:9]
	v_add_u32_e32 v2, s5, v10
	s_waitcnt vmcnt(0)
	v_fma_f64 v[8:9], -v[4:5], v[24:25], v[8:9]
	global_store_dwordx2 v[12:13], v[8:9], off
	global_load_dwordx2 v[8:9], v[6:7], off
	v_lshl_add_u64 v[12:13], v[10:11], 3, s[10:11]
	global_load_dwordx2 v[12:13], v[12:13], off
	s_waitcnt vmcnt(1)
	v_fma_f64 v[4:5], -v[4:5], v[26:27], v[8:9]
	global_store_dwordx2 v[6:7], v[4:5], off
	global_load_dwordx2 v[4:5], v[14:15], off
	v_lshl_add_u64 v[6:7], v[2:3], 3, s[8:9]
	v_add_u32_e32 v2, s12, v10
	v_lshl_add_u64 v[8:9], v[2:3], 3, s[8:9]
	v_add_u32_e32 v2, s13, v10
	s_waitcnt vmcnt(0)
	v_fma_f64 v[4:5], -v[12:13], v[20:21], v[4:5]
	global_store_dwordx2 v[14:15], v[4:5], off
	global_load_dwordx2 v[4:5], v[6:7], off
	s_waitcnt vmcnt(0)
	v_fma_f64 v[4:5], -v[12:13], v[22:23], v[4:5]
	global_store_dwordx2 v[6:7], v[4:5], off
	global_load_dwordx2 v[4:5], v[8:9], off
	s_waitcnt vmcnt(0)
	v_fma_f64 v[4:5], -v[12:13], v[24:25], v[4:5]
	global_store_dwordx2 v[8:9], v[4:5], off
	v_lshl_add_u64 v[4:5], v[2:3], 3, s[8:9]
	global_load_dwordx2 v[6:7], v[4:5], off
	s_waitcnt vmcnt(0)
	v_fma_f64 v[6:7], -v[12:13], v[26:27], v[6:7]
	global_store_dwordx2 v[4:5], v[6:7], off
                                        ; implicit-def: $vgpr6
                                        ; implicit-def: $vgpr4_vgpr5
.LBB151_27:                             ;   in Loop: Header=BB151_25 Depth=1
	s_or_saveexec_b64 s[2:3], s[2:3]
	v_mov_b32_e32 v2, s14
	s_xor_b64 exec, exec, s[2:3]
	s_cbranch_execz .LBB151_24
; %bb.28:                               ;   in Loop: Header=BB151_25 Depth=1
	v_add_u32_e32 v7, v42, v1
	v_add_u32_e32 v2, s4, v7
	v_lshl_add_u64 v[8:9], v[2:3], 3, s[8:9]
	v_add_u32_e32 v2, s4, v6
	v_lshl_add_u64 v[10:11], v[2:3], 3, s[8:9]
	global_load_dwordx2 v[12:13], v[8:9], off
	global_load_dwordx2 v[14:15], v[10:11], off
	v_add_u32_e32 v2, s5, v7
	v_lshl_add_u64 v[8:9], v[2:3], 3, s[8:9]
	v_add_u32_e32 v2, s5, v6
	v_lshl_add_u64 v[16:17], v[2:3], 3, s[8:9]
	v_add_u32_e32 v2, s12, v7
	s_waitcnt vmcnt(0)
	v_fma_f64 v[12:13], -v[4:5], v[12:13], v[14:15]
	global_store_dwordx2 v[10:11], v[12:13], off
	global_load_dwordx2 v[10:11], v[8:9], off
	s_nop 0
	global_load_dwordx2 v[12:13], v[16:17], off
	v_lshl_add_u64 v[8:9], v[2:3], 3, s[8:9]
	v_add_u32_e32 v2, s12, v6
	v_lshl_add_u64 v[14:15], v[2:3], 3, s[8:9]
	v_add_u32_e32 v2, s13, v7
	s_waitcnt vmcnt(0)
	v_fma_f64 v[10:11], -v[4:5], v[10:11], v[12:13]
	global_store_dwordx2 v[16:17], v[10:11], off
	global_load_dwordx2 v[10:11], v[8:9], off
	s_nop 0
	global_load_dwordx2 v[12:13], v[14:15], off
	v_lshl_add_u64 v[8:9], v[2:3], 3, s[8:9]
	v_add_u32_e32 v2, s13, v6
	v_lshl_add_u64 v[6:7], v[2:3], 3, s[8:9]
	v_mov_b32_e32 v2, s22
	s_waitcnt vmcnt(0)
	v_fma_f64 v[10:11], -v[4:5], v[10:11], v[12:13]
	global_store_dwordx2 v[14:15], v[10:11], off
	global_load_dwordx2 v[10:11], v[8:9], off
	s_nop 0
	global_load_dwordx2 v[12:13], v[6:7], off
	s_waitcnt vmcnt(0)
	v_fma_f64 v[4:5], -v[4:5], v[10:11], v[12:13]
	global_store_dwordx2 v[6:7], v[4:5], off
	s_branch .LBB151_24
.LBB151_29:
	s_endpgm
	.section	.rodata,"a",@progbits
	.p2align	6, 0x0
	.amdhsa_kernel _ZN9rocsparseL19gtsv_LBM_rhs_kernelILj256ELj64ELj4EdEEviiiPKT2_S3_S3_PS1_S3_PKi
		.amdhsa_group_segment_fixed_size 0
		.amdhsa_private_segment_fixed_size 0
		.amdhsa_kernarg_size 64
		.amdhsa_user_sgpr_count 2
		.amdhsa_user_sgpr_dispatch_ptr 0
		.amdhsa_user_sgpr_queue_ptr 0
		.amdhsa_user_sgpr_kernarg_segment_ptr 1
		.amdhsa_user_sgpr_dispatch_id 0
		.amdhsa_user_sgpr_kernarg_preload_length 0
		.amdhsa_user_sgpr_kernarg_preload_offset 0
		.amdhsa_user_sgpr_private_segment_size 0
		.amdhsa_uses_dynamic_stack 0
		.amdhsa_enable_private_segment 0
		.amdhsa_system_sgpr_workgroup_id_x 1
		.amdhsa_system_sgpr_workgroup_id_y 1
		.amdhsa_system_sgpr_workgroup_id_z 0
		.amdhsa_system_sgpr_workgroup_info 0
		.amdhsa_system_vgpr_workitem_id 0
		.amdhsa_next_free_vgpr 54
		.amdhsa_next_free_sgpr 32
		.amdhsa_accum_offset 56
		.amdhsa_reserve_vcc 1
		.amdhsa_float_round_mode_32 0
		.amdhsa_float_round_mode_16_64 0
		.amdhsa_float_denorm_mode_32 3
		.amdhsa_float_denorm_mode_16_64 3
		.amdhsa_dx10_clamp 1
		.amdhsa_ieee_mode 1
		.amdhsa_fp16_overflow 0
		.amdhsa_tg_split 0
		.amdhsa_exception_fp_ieee_invalid_op 0
		.amdhsa_exception_fp_denorm_src 0
		.amdhsa_exception_fp_ieee_div_zero 0
		.amdhsa_exception_fp_ieee_overflow 0
		.amdhsa_exception_fp_ieee_underflow 0
		.amdhsa_exception_fp_ieee_inexact 0
		.amdhsa_exception_int_div_zero 0
	.end_amdhsa_kernel
	.section	.text._ZN9rocsparseL19gtsv_LBM_rhs_kernelILj256ELj64ELj4EdEEviiiPKT2_S3_S3_PS1_S3_PKi,"axG",@progbits,_ZN9rocsparseL19gtsv_LBM_rhs_kernelILj256ELj64ELj4EdEEviiiPKT2_S3_S3_PS1_S3_PKi,comdat
.Lfunc_end151:
	.size	_ZN9rocsparseL19gtsv_LBM_rhs_kernelILj256ELj64ELj4EdEEviiiPKT2_S3_S3_PS1_S3_PKi, .Lfunc_end151-_ZN9rocsparseL19gtsv_LBM_rhs_kernelILj256ELj64ELj4EdEEviiiPKT2_S3_S3_PS1_S3_PKi
                                        ; -- End function
	.set _ZN9rocsparseL19gtsv_LBM_rhs_kernelILj256ELj64ELj4EdEEviiiPKT2_S3_S3_PS1_S3_PKi.num_vgpr, 54
	.set _ZN9rocsparseL19gtsv_LBM_rhs_kernelILj256ELj64ELj4EdEEviiiPKT2_S3_S3_PS1_S3_PKi.num_agpr, 0
	.set _ZN9rocsparseL19gtsv_LBM_rhs_kernelILj256ELj64ELj4EdEEviiiPKT2_S3_S3_PS1_S3_PKi.numbered_sgpr, 32
	.set _ZN9rocsparseL19gtsv_LBM_rhs_kernelILj256ELj64ELj4EdEEviiiPKT2_S3_S3_PS1_S3_PKi.num_named_barrier, 0
	.set _ZN9rocsparseL19gtsv_LBM_rhs_kernelILj256ELj64ELj4EdEEviiiPKT2_S3_S3_PS1_S3_PKi.private_seg_size, 0
	.set _ZN9rocsparseL19gtsv_LBM_rhs_kernelILj256ELj64ELj4EdEEviiiPKT2_S3_S3_PS1_S3_PKi.uses_vcc, 1
	.set _ZN9rocsparseL19gtsv_LBM_rhs_kernelILj256ELj64ELj4EdEEviiiPKT2_S3_S3_PS1_S3_PKi.uses_flat_scratch, 0
	.set _ZN9rocsparseL19gtsv_LBM_rhs_kernelILj256ELj64ELj4EdEEviiiPKT2_S3_S3_PS1_S3_PKi.has_dyn_sized_stack, 0
	.set _ZN9rocsparseL19gtsv_LBM_rhs_kernelILj256ELj64ELj4EdEEviiiPKT2_S3_S3_PS1_S3_PKi.has_recursion, 0
	.set _ZN9rocsparseL19gtsv_LBM_rhs_kernelILj256ELj64ELj4EdEEviiiPKT2_S3_S3_PS1_S3_PKi.has_indirect_call, 0
	.section	.AMDGPU.csdata,"",@progbits
; Kernel info:
; codeLenInByte = 2576
; TotalNumSgprs: 38
; NumVgprs: 54
; NumAgprs: 0
; TotalNumVgprs: 54
; ScratchSize: 0
; MemoryBound: 0
; FloatMode: 240
; IeeeMode: 1
; LDSByteSize: 0 bytes/workgroup (compile time only)
; SGPRBlocks: 4
; VGPRBlocks: 6
; NumSGPRsForWavesPerEU: 38
; NumVGPRsForWavesPerEU: 54
; AccumOffset: 56
; Occupancy: 8
; WaveLimiterHint : 0
; COMPUTE_PGM_RSRC2:SCRATCH_EN: 0
; COMPUTE_PGM_RSRC2:USER_SGPR: 2
; COMPUTE_PGM_RSRC2:TRAP_HANDLER: 0
; COMPUTE_PGM_RSRC2:TGID_X_EN: 1
; COMPUTE_PGM_RSRC2:TGID_Y_EN: 1
; COMPUTE_PGM_RSRC2:TGID_Z_EN: 0
; COMPUTE_PGM_RSRC2:TIDIG_COMP_CNT: 0
; COMPUTE_PGM_RSRC3_GFX90A:ACCUM_OFFSET: 13
; COMPUTE_PGM_RSRC3_GFX90A:TG_SPLIT: 0
	.section	.text._ZN9rocsparseL19gtsv_LBM_rhs_kernelILj256ELj64ELj2EdEEviiiPKT2_S3_S3_PS1_S3_PKi,"axG",@progbits,_ZN9rocsparseL19gtsv_LBM_rhs_kernelILj256ELj64ELj2EdEEviiiPKT2_S3_S3_PS1_S3_PKi,comdat
	.globl	_ZN9rocsparseL19gtsv_LBM_rhs_kernelILj256ELj64ELj2EdEEviiiPKT2_S3_S3_PS1_S3_PKi ; -- Begin function _ZN9rocsparseL19gtsv_LBM_rhs_kernelILj256ELj64ELj2EdEEviiiPKT2_S3_S3_PS1_S3_PKi
	.p2align	8
	.type	_ZN9rocsparseL19gtsv_LBM_rhs_kernelILj256ELj64ELj2EdEEviiiPKT2_S3_S3_PS1_S3_PKi,@function
_ZN9rocsparseL19gtsv_LBM_rhs_kernelILj256ELj64ELj2EdEEviiiPKT2_S3_S3_PS1_S3_PKi: ; @_ZN9rocsparseL19gtsv_LBM_rhs_kernelILj256ELj64ELj2EdEEviiiPKT2_S3_S3_PS1_S3_PKi
; %bb.0:
	s_load_dword s23, s[0:1], 0x0
	v_lshl_or_b32 v0, s2, 8, v0
	s_waitcnt lgkmcnt(0)
	s_lshr_b32 s22, s23, 6
	v_cmp_gt_i32_e32 vcc, s22, v0
	s_and_saveexec_b64 s[4:5], vcc
	s_cbranch_execz .LBB152_29
; %bb.1:
	s_load_dwordx4 s[8:11], s[0:1], 0x28
	s_load_dwordx2 s[6:7], s[0:1], 0x38
	s_cmp_lt_i32 s23, 1
	v_add_u32_e32 v30, s22, v0
	s_mul_i32 s24, s3, s23
	s_cbranch_scc1 .LBB152_21
; %bb.2:
	s_load_dwordx4 s[12:15], s[0:1], 0x10
	s_load_dwordx2 s[16:17], s[0:1], 0x20
	v_ashrrev_i32_e32 v1, 31, v0
	s_lshl_b32 s28, s24, 1
	s_mul_i32 s25, s22, 63
	s_waitcnt lgkmcnt(0)
	v_lshl_add_u64 v[2:3], v[0:1], 3, s[14:15]
	global_load_dwordx2 v[4:5], v[2:3], off
	s_mul_i32 s26, s22, 62
	s_lshl_b32 s27, s22, 1
	v_add_u32_e32 v31, s22, v30
	s_add_i32 s29, s28, s23
	v_mov_b32_e32 v3, 0
	s_mov_b64 s[18:19], 0
	v_mov_b32_e32 v1, 0
	s_branch .LBB152_5
.LBB152_3:                              ;   in Loop: Header=BB152_5 Depth=1
	s_or_b64 exec, exec, s[4:5]
	v_fma_f64 v[4:5], -v[4:5], v[20:21], v[8:9]
	v_mov_b32_e32 v2, s22
.LBB152_4:                              ;   in Loop: Header=BB152_5 Depth=1
	s_or_b64 exec, exec, s[2:3]
	v_add_u32_e32 v1, v2, v1
	v_cmp_le_i32_e32 vcc, s23, v1
	s_or_b64 s[18:19], vcc, s[18:19]
	s_andn2_b64 exec, exec, s[18:19]
	s_cbranch_execz .LBB152_20
.LBB152_5:                              ; =>This Inner Loop Header: Depth=1
	v_add_u32_e32 v18, v1, v0
	v_ashrrev_i32_e32 v19, 31, v18
	v_lshl_add_u64 v[6:7], v[18:19], 3, s[16:17]
	global_load_dwordx2 v[12:13], v[6:7], off
	v_cmp_gt_u32_e64 s[0:1], s25, v1
	v_mov_b64_e32 v[8:9], 0
	v_mov_b64_e32 v[6:7], 0
	s_and_saveexec_b64 s[2:3], s[0:1]
	s_cbranch_execz .LBB152_7
; %bb.6:                                ;   in Loop: Header=BB152_5 Depth=1
	v_add_u32_e32 v6, v30, v1
	v_ashrrev_i32_e32 v7, 31, v6
	v_lshl_add_u64 v[6:7], v[6:7], 3, s[12:13]
	global_load_dwordx2 v[6:7], v[6:7], off
.LBB152_7:                              ;   in Loop: Header=BB152_5 Depth=1
	s_or_b64 exec, exec, s[2:3]
	s_and_saveexec_b64 s[2:3], s[0:1]
	s_cbranch_execz .LBB152_9
; %bb.8:                                ;   in Loop: Header=BB152_5 Depth=1
	v_add_u32_e32 v8, v30, v1
	v_ashrrev_i32_e32 v9, 31, v8
	v_lshl_add_u64 v[8:9], v[8:9], 3, s[14:15]
	global_load_dwordx2 v[8:9], v[8:9], off
.LBB152_9:                              ;   in Loop: Header=BB152_5 Depth=1
	s_or_b64 exec, exec, s[2:3]
	v_mov_b64_e32 v[14:15], 0
	v_mov_b64_e32 v[10:11], 0
	s_and_saveexec_b64 s[2:3], s[0:1]
	s_cbranch_execz .LBB152_11
; %bb.10:                               ;   in Loop: Header=BB152_5 Depth=1
	v_add_u32_e32 v10, v30, v1
	v_ashrrev_i32_e32 v11, 31, v10
	v_lshl_add_u64 v[10:11], v[10:11], 3, s[16:17]
	global_load_dwordx2 v[10:11], v[10:11], off
.LBB152_11:                             ;   in Loop: Header=BB152_5 Depth=1
	s_or_b64 exec, exec, s[2:3]
	v_cmp_gt_u32_e64 s[2:3], s26, v1
	s_and_saveexec_b64 s[4:5], s[2:3]
	s_cbranch_execz .LBB152_13
; %bb.12:                               ;   in Loop: Header=BB152_5 Depth=1
	v_add_u32_e32 v14, v31, v1
	v_ashrrev_i32_e32 v15, 31, v14
	v_lshl_add_u64 v[14:15], v[14:15], 3, s[12:13]
	global_load_dwordx2 v[14:15], v[14:15], off
.LBB152_13:                             ;   in Loop: Header=BB152_5 Depth=1
	s_or_b64 exec, exec, s[4:5]
	v_lshl_add_u64 v[16:17], v[18:19], 2, s[6:7]
	global_load_dword v20, v[16:17], off
	v_add_u32_e32 v2, s28, v18
	v_lshl_add_u64 v[16:17], v[2:3], 3, s[8:9]
	v_add_u32_e32 v2, s29, v18
	v_lshl_add_u64 v[18:19], v[2:3], 3, s[8:9]
	global_load_dwordx2 v[22:23], v[16:17], off
	global_load_dwordx2 v[24:25], v[18:19], off
	v_cmp_ne_u32_e32 vcc, s25, v1
	s_waitcnt vmcnt(2)
	v_cmp_ne_u32_e64 s[4:5], 1, v20
	s_and_b64 s[4:5], vcc, s[4:5]
	v_mul_f64 v[20:21], v[12:13], v[6:7]
	s_and_saveexec_b64 s[20:21], s[4:5]
	s_xor_b64 s[4:5], exec, s[20:21]
	s_cbranch_execz .LBB152_17
; %bb.14:                               ;   in Loop: Header=BB152_5 Depth=1
	v_add_u32_e32 v26, v30, v1
	v_add_u32_e32 v2, s28, v26
	v_lshl_add_u64 v[32:33], v[2:3], 3, s[8:9]
	v_add_u32_e32 v2, s29, v26
	v_lshl_add_u64 v[34:35], v[2:3], 3, s[8:9]
	global_load_dwordx2 v[26:27], v[32:33], off
	global_load_dwordx2 v[28:29], v[34:35], off
	v_fma_f64 v[20:21], v[4:5], v[8:9], -v[20:21]
	v_div_scale_f64 v[36:37], s[20:21], v[20:21], v[20:21], 1.0
	v_rcp_f64_e32 v[38:39], v[36:37]
	v_div_scale_f64 v[40:41], vcc, 1.0, v[20:21], 1.0
	v_fma_f64 v[42:43], -v[36:37], v[38:39], 1.0
	v_fmac_f64_e32 v[38:39], v[38:39], v[42:43]
	v_fma_f64 v[42:43], -v[36:37], v[38:39], 1.0
	v_fmac_f64_e32 v[38:39], v[38:39], v[42:43]
	v_mul_f64 v[42:43], v[40:41], v[38:39]
	v_fma_f64 v[36:37], -v[36:37], v[42:43], v[40:41]
	v_div_fmas_f64 v[36:37], v[36:37], v[38:39], v[42:43]
	v_div_fixup_f64 v[20:21], v[36:37], v[20:21], 1.0
	s_waitcnt vmcnt(3)
	v_mul_f64 v[22:23], v[20:21], v[22:23]
	s_waitcnt vmcnt(2)
	v_mul_f64 v[24:25], v[20:21], v[24:25]
	v_mul_f64 v[36:37], v[6:7], v[22:23]
	;; [unrolled: 1-line block ×3, first 2 shown]
	s_waitcnt vmcnt(1)
	v_mul_f64 v[26:27], v[20:21], v[26:27]
	s_waitcnt vmcnt(0)
	v_mul_f64 v[28:29], v[20:21], v[28:29]
	v_mul_f64 v[40:41], v[12:13], v[26:27]
	v_mul_f64 v[12:13], v[12:13], v[28:29]
	v_fma_f64 v[40:41], v[8:9], v[22:23], -v[40:41]
	v_fma_f64 v[8:9], v[8:9], v[24:25], -v[12:13]
	;; [unrolled: 1-line block ×4, first 2 shown]
	global_store_dwordx2 v[16:17], v[40:41], off
	global_store_dwordx2 v[18:19], v[8:9], off
	;; [unrolled: 1-line block ×4, first 2 shown]
	v_mov_b64_e32 v[8:9], 0
	s_and_saveexec_b64 s[20:21], s[2:3]
	s_cbranch_execz .LBB152_16
; %bb.15:                               ;   in Loop: Header=BB152_5 Depth=1
	v_add_u32_e32 v8, v31, v1
	v_add_u32_e32 v2, s28, v8
	v_ashrrev_i32_e32 v9, 31, v8
	v_lshl_add_u64 v[12:13], v[2:3], 3, s[8:9]
	v_add_u32_e32 v2, s29, v8
	v_lshl_add_u64 v[8:9], v[8:9], 3, s[14:15]
	v_lshl_add_u64 v[16:17], v[2:3], 3, s[8:9]
	global_load_dwordx2 v[18:19], v[12:13], off
	global_load_dwordx2 v[32:33], v[16:17], off
	v_mul_f64 v[4:5], v[4:5], v[14:15]
	global_load_dwordx2 v[8:9], v[8:9], off
	v_mul_f64 v[6:7], v[6:7], v[14:15]
	v_mul_f64 v[14:15], v[4:5], v[26:27]
	;; [unrolled: 1-line block ×4, first 2 shown]
	v_fma_f64 v[10:11], v[6:7], v[22:23], -v[14:15]
	v_fma_f64 v[6:7], v[6:7], v[24:25], -v[26:27]
	s_waitcnt vmcnt(2)
	v_add_f64 v[10:11], v[10:11], v[18:19]
	s_waitcnt vmcnt(1)
	v_add_f64 v[6:7], v[6:7], v[32:33]
	global_store_dwordx2 v[12:13], v[10:11], off
	s_waitcnt vmcnt(1)
	v_fma_f64 v[8:9], -v[20:21], v[4:5], v[8:9]
	global_store_dwordx2 v[16:17], v[6:7], off
.LBB152_16:                             ;   in Loop: Header=BB152_5 Depth=1
	s_or_b64 exec, exec, s[20:21]
	v_mov_b64_e32 v[4:5], v[8:9]
                                        ; implicit-def: $vgpr20_vgpr21
                                        ; implicit-def: $vgpr8_vgpr9
                                        ; implicit-def: $vgpr22_vgpr23
                                        ; implicit-def: $vgpr24_vgpr25
                                        ; implicit-def: $vgpr16_vgpr17
                                        ; implicit-def: $vgpr18_vgpr19
                                        ; implicit-def: $vgpr6_vgpr7
.LBB152_17:                             ;   in Loop: Header=BB152_5 Depth=1
	s_or_saveexec_b64 s[2:3], s[4:5]
	v_mov_b32_e32 v2, s27
	s_xor_b64 exec, exec, s[2:3]
	s_cbranch_execz .LBB152_4
; %bb.18:                               ;   in Loop: Header=BB152_5 Depth=1
	v_div_scale_f64 v[10:11], s[4:5], v[4:5], v[4:5], 1.0
	v_rcp_f64_e32 v[12:13], v[10:11]
	v_div_scale_f64 v[14:15], vcc, 1.0, v[4:5], 1.0
	v_fma_f64 v[26:27], -v[10:11], v[12:13], 1.0
	v_fmac_f64_e32 v[12:13], v[12:13], v[26:27]
	v_fma_f64 v[26:27], -v[10:11], v[12:13], 1.0
	v_fmac_f64_e32 v[12:13], v[12:13], v[26:27]
	v_mul_f64 v[26:27], v[14:15], v[12:13]
	v_fma_f64 v[10:11], -v[10:11], v[26:27], v[14:15]
	v_div_fmas_f64 v[10:11], v[10:11], v[12:13], v[26:27]
	v_div_fixup_f64 v[4:5], v[10:11], v[4:5], 1.0
	s_waitcnt vmcnt(1)
	v_mul_f64 v[12:13], v[4:5], v[22:23]
	s_waitcnt vmcnt(0)
	v_mul_f64 v[10:11], v[4:5], v[24:25]
	global_store_dwordx2 v[16:17], v[12:13], off
	global_store_dwordx2 v[18:19], v[10:11], off
	s_and_saveexec_b64 s[4:5], s[0:1]
	s_cbranch_execz .LBB152_3
; %bb.19:                               ;   in Loop: Header=BB152_5 Depth=1
	v_add_u32_e32 v18, v30, v1
	v_add_u32_e32 v2, s28, v18
	v_lshl_add_u64 v[14:15], v[2:3], 3, s[8:9]
	v_add_u32_e32 v2, s29, v18
	v_lshl_add_u64 v[18:19], v[2:3], 3, s[8:9]
	global_load_dwordx2 v[16:17], v[14:15], off
	global_load_dwordx2 v[22:23], v[18:19], off
	s_waitcnt vmcnt(1)
	v_fma_f64 v[12:13], -v[6:7], v[12:13], v[16:17]
	s_waitcnt vmcnt(0)
	v_fma_f64 v[6:7], -v[6:7], v[10:11], v[22:23]
	global_store_dwordx2 v[14:15], v[12:13], off
	global_store_dwordx2 v[18:19], v[6:7], off
	s_branch .LBB152_3
.LBB152_20:
	s_or_b64 exec, exec, s[18:19]
	s_branch .LBB152_22
.LBB152_21:
	v_mov_b32_e32 v1, 0
.LBB152_22:
	v_subrev_u32_e32 v1, s22, v1
	v_add_u32_e32 v2, v1, v0
	v_ashrrev_i32_e32 v3, 31, v2
	s_waitcnt lgkmcnt(0)
	v_lshl_add_u64 v[2:3], v[2:3], 2, s[6:7]
	buffer_wbl2 sc1
	s_waitcnt vmcnt(0)
	buffer_inv sc1
	global_load_dword v2, v[2:3], off
	s_waitcnt vmcnt(0)
	v_mul_lo_u32 v2, v2, s22
	v_sub_u32_e32 v1, v1, v2
	v_cmp_lt_i32_e32 vcc, -1, v1
	s_and_b64 exec, exec, vcc
	s_cbranch_execz .LBB152_29
; %bb.23:
	s_lshl_b32 s4, s24, 1
	s_add_i32 s5, s4, s23
	s_lshl_b32 s12, s22, 1
	s_mov_b64 s[0:1], 0
	v_mov_b32_e32 v3, 0
	s_branch .LBB152_25
.LBB152_24:                             ;   in Loop: Header=BB152_25 Depth=1
	s_or_b64 exec, exec, s[2:3]
	v_sub_u32_e32 v1, v1, v2
	v_cmp_gt_i32_e32 vcc, 0, v1
	s_or_b64 s[0:1], vcc, s[0:1]
	s_andn2_b64 exec, exec, s[0:1]
	s_cbranch_execz .LBB152_29
.LBB152_25:                             ; =>This Inner Loop Header: Depth=1
	v_add_u32_e32 v6, v1, v0
	v_ashrrev_i32_e32 v7, 31, v6
	s_waitcnt vmcnt(0)
	v_lshl_add_u64 v[4:5], v[6:7], 2, s[6:7]
	global_load_dword v2, v[4:5], off
	v_lshl_add_u64 v[4:5], v[6:7], 3, s[10:11]
	global_load_dwordx2 v[4:5], v[4:5], off
	s_waitcnt vmcnt(1)
	v_cmp_ne_u32_e32 vcc, 1, v2
	s_and_saveexec_b64 s[2:3], vcc
	s_xor_b64 s[2:3], exec, s[2:3]
	s_cbranch_execz .LBB152_27
; %bb.26:                               ;   in Loop: Header=BB152_25 Depth=1
	v_add_u32_e32 v7, v30, v1
	v_add_u32_e32 v2, s4, v7
	v_lshl_add_u64 v[8:9], v[2:3], 3, s[8:9]
	v_add_u32_e32 v2, s5, v7
	v_lshl_add_u64 v[10:11], v[2:3], 3, s[8:9]
	v_add_u32_e32 v2, s4, v6
	v_lshl_add_u64 v[12:13], v[2:3], 3, s[8:9]
	global_load_dwordx2 v[14:15], v[8:9], off
	global_load_dwordx2 v[16:17], v[12:13], off
	global_load_dwordx2 v[18:19], v[10:11], off
	v_add_u32_e32 v2, s5, v6
	v_lshl_add_u64 v[6:7], v[2:3], 3, s[8:9]
	v_subrev_u32_e32 v2, s22, v1
	v_add_u32_e32 v10, v2, v0
	v_ashrrev_i32_e32 v11, 31, v10
	v_add_u32_e32 v2, s4, v10
	s_waitcnt vmcnt(1)
	v_fma_f64 v[8:9], -v[4:5], v[14:15], v[16:17]
	global_store_dwordx2 v[12:13], v[8:9], off
	global_load_dwordx2 v[8:9], v[6:7], off
	v_lshl_add_u64 v[12:13], v[10:11], 3, s[10:11]
	v_lshl_add_u64 v[16:17], v[2:3], 3, s[8:9]
	global_load_dwordx2 v[12:13], v[12:13], off
	v_add_u32_e32 v2, s5, v10
	s_waitcnt vmcnt(1)
	v_fma_f64 v[4:5], -v[4:5], v[18:19], v[8:9]
	global_store_dwordx2 v[6:7], v[4:5], off
	global_load_dwordx2 v[4:5], v[16:17], off
	s_waitcnt vmcnt(0)
	v_fma_f64 v[4:5], -v[12:13], v[14:15], v[4:5]
	global_store_dwordx2 v[16:17], v[4:5], off
	v_lshl_add_u64 v[4:5], v[2:3], 3, s[8:9]
	global_load_dwordx2 v[6:7], v[4:5], off
	s_waitcnt vmcnt(0)
	v_fma_f64 v[6:7], -v[12:13], v[18:19], v[6:7]
	global_store_dwordx2 v[4:5], v[6:7], off
                                        ; implicit-def: $vgpr6
                                        ; implicit-def: $vgpr4_vgpr5
.LBB152_27:                             ;   in Loop: Header=BB152_25 Depth=1
	s_or_saveexec_b64 s[2:3], s[2:3]
	v_mov_b32_e32 v2, s12
	s_xor_b64 exec, exec, s[2:3]
	s_cbranch_execz .LBB152_24
; %bb.28:                               ;   in Loop: Header=BB152_25 Depth=1
	v_add_u32_e32 v7, v30, v1
	v_add_u32_e32 v2, s4, v7
	v_lshl_add_u64 v[8:9], v[2:3], 3, s[8:9]
	v_add_u32_e32 v2, s4, v6
	v_lshl_add_u64 v[10:11], v[2:3], 3, s[8:9]
	global_load_dwordx2 v[12:13], v[8:9], off
	global_load_dwordx2 v[14:15], v[10:11], off
	v_add_u32_e32 v2, s5, v7
	v_lshl_add_u64 v[8:9], v[2:3], 3, s[8:9]
	v_add_u32_e32 v2, s5, v6
	v_lshl_add_u64 v[6:7], v[2:3], 3, s[8:9]
	v_mov_b32_e32 v2, s22
	s_waitcnt vmcnt(0)
	v_fma_f64 v[12:13], -v[4:5], v[12:13], v[14:15]
	global_store_dwordx2 v[10:11], v[12:13], off
	global_load_dwordx2 v[10:11], v[8:9], off
	s_nop 0
	global_load_dwordx2 v[12:13], v[6:7], off
	s_waitcnt vmcnt(0)
	v_fma_f64 v[4:5], -v[4:5], v[10:11], v[12:13]
	global_store_dwordx2 v[6:7], v[4:5], off
	s_branch .LBB152_24
.LBB152_29:
	s_endpgm
	.section	.rodata,"a",@progbits
	.p2align	6, 0x0
	.amdhsa_kernel _ZN9rocsparseL19gtsv_LBM_rhs_kernelILj256ELj64ELj2EdEEviiiPKT2_S3_S3_PS1_S3_PKi
		.amdhsa_group_segment_fixed_size 0
		.amdhsa_private_segment_fixed_size 0
		.amdhsa_kernarg_size 64
		.amdhsa_user_sgpr_count 2
		.amdhsa_user_sgpr_dispatch_ptr 0
		.amdhsa_user_sgpr_queue_ptr 0
		.amdhsa_user_sgpr_kernarg_segment_ptr 1
		.amdhsa_user_sgpr_dispatch_id 0
		.amdhsa_user_sgpr_kernarg_preload_length 0
		.amdhsa_user_sgpr_kernarg_preload_offset 0
		.amdhsa_user_sgpr_private_segment_size 0
		.amdhsa_uses_dynamic_stack 0
		.amdhsa_enable_private_segment 0
		.amdhsa_system_sgpr_workgroup_id_x 1
		.amdhsa_system_sgpr_workgroup_id_y 1
		.amdhsa_system_sgpr_workgroup_id_z 0
		.amdhsa_system_sgpr_workgroup_info 0
		.amdhsa_system_vgpr_workitem_id 0
		.amdhsa_next_free_vgpr 44
		.amdhsa_next_free_sgpr 30
		.amdhsa_accum_offset 44
		.amdhsa_reserve_vcc 1
		.amdhsa_float_round_mode_32 0
		.amdhsa_float_round_mode_16_64 0
		.amdhsa_float_denorm_mode_32 3
		.amdhsa_float_denorm_mode_16_64 3
		.amdhsa_dx10_clamp 1
		.amdhsa_ieee_mode 1
		.amdhsa_fp16_overflow 0
		.amdhsa_tg_split 0
		.amdhsa_exception_fp_ieee_invalid_op 0
		.amdhsa_exception_fp_denorm_src 0
		.amdhsa_exception_fp_ieee_div_zero 0
		.amdhsa_exception_fp_ieee_overflow 0
		.amdhsa_exception_fp_ieee_underflow 0
		.amdhsa_exception_fp_ieee_inexact 0
		.amdhsa_exception_int_div_zero 0
	.end_amdhsa_kernel
	.section	.text._ZN9rocsparseL19gtsv_LBM_rhs_kernelILj256ELj64ELj2EdEEviiiPKT2_S3_S3_PS1_S3_PKi,"axG",@progbits,_ZN9rocsparseL19gtsv_LBM_rhs_kernelILj256ELj64ELj2EdEEviiiPKT2_S3_S3_PS1_S3_PKi,comdat
.Lfunc_end152:
	.size	_ZN9rocsparseL19gtsv_LBM_rhs_kernelILj256ELj64ELj2EdEEviiiPKT2_S3_S3_PS1_S3_PKi, .Lfunc_end152-_ZN9rocsparseL19gtsv_LBM_rhs_kernelILj256ELj64ELj2EdEEviiiPKT2_S3_S3_PS1_S3_PKi
                                        ; -- End function
	.set _ZN9rocsparseL19gtsv_LBM_rhs_kernelILj256ELj64ELj2EdEEviiiPKT2_S3_S3_PS1_S3_PKi.num_vgpr, 44
	.set _ZN9rocsparseL19gtsv_LBM_rhs_kernelILj256ELj64ELj2EdEEviiiPKT2_S3_S3_PS1_S3_PKi.num_agpr, 0
	.set _ZN9rocsparseL19gtsv_LBM_rhs_kernelILj256ELj64ELj2EdEEviiiPKT2_S3_S3_PS1_S3_PKi.numbered_sgpr, 30
	.set _ZN9rocsparseL19gtsv_LBM_rhs_kernelILj256ELj64ELj2EdEEviiiPKT2_S3_S3_PS1_S3_PKi.num_named_barrier, 0
	.set _ZN9rocsparseL19gtsv_LBM_rhs_kernelILj256ELj64ELj2EdEEviiiPKT2_S3_S3_PS1_S3_PKi.private_seg_size, 0
	.set _ZN9rocsparseL19gtsv_LBM_rhs_kernelILj256ELj64ELj2EdEEviiiPKT2_S3_S3_PS1_S3_PKi.uses_vcc, 1
	.set _ZN9rocsparseL19gtsv_LBM_rhs_kernelILj256ELj64ELj2EdEEviiiPKT2_S3_S3_PS1_S3_PKi.uses_flat_scratch, 0
	.set _ZN9rocsparseL19gtsv_LBM_rhs_kernelILj256ELj64ELj2EdEEviiiPKT2_S3_S3_PS1_S3_PKi.has_dyn_sized_stack, 0
	.set _ZN9rocsparseL19gtsv_LBM_rhs_kernelILj256ELj64ELj2EdEEviiiPKT2_S3_S3_PS1_S3_PKi.has_recursion, 0
	.set _ZN9rocsparseL19gtsv_LBM_rhs_kernelILj256ELj64ELj2EdEEviiiPKT2_S3_S3_PS1_S3_PKi.has_indirect_call, 0
	.section	.AMDGPU.csdata,"",@progbits
; Kernel info:
; codeLenInByte = 1768
; TotalNumSgprs: 36
; NumVgprs: 44
; NumAgprs: 0
; TotalNumVgprs: 44
; ScratchSize: 0
; MemoryBound: 0
; FloatMode: 240
; IeeeMode: 1
; LDSByteSize: 0 bytes/workgroup (compile time only)
; SGPRBlocks: 4
; VGPRBlocks: 5
; NumSGPRsForWavesPerEU: 36
; NumVGPRsForWavesPerEU: 44
; AccumOffset: 44
; Occupancy: 8
; WaveLimiterHint : 0
; COMPUTE_PGM_RSRC2:SCRATCH_EN: 0
; COMPUTE_PGM_RSRC2:USER_SGPR: 2
; COMPUTE_PGM_RSRC2:TRAP_HANDLER: 0
; COMPUTE_PGM_RSRC2:TGID_X_EN: 1
; COMPUTE_PGM_RSRC2:TGID_Y_EN: 1
; COMPUTE_PGM_RSRC2:TGID_Z_EN: 0
; COMPUTE_PGM_RSRC2:TIDIG_COMP_CNT: 0
; COMPUTE_PGM_RSRC3_GFX90A:ACCUM_OFFSET: 10
; COMPUTE_PGM_RSRC3_GFX90A:TG_SPLIT: 0
	.section	.text._ZN9rocsparseL19gtsv_LBM_rhs_kernelILj256ELj64ELj1EdEEviiiPKT2_S3_S3_PS1_S3_PKi,"axG",@progbits,_ZN9rocsparseL19gtsv_LBM_rhs_kernelILj256ELj64ELj1EdEEviiiPKT2_S3_S3_PS1_S3_PKi,comdat
	.globl	_ZN9rocsparseL19gtsv_LBM_rhs_kernelILj256ELj64ELj1EdEEviiiPKT2_S3_S3_PS1_S3_PKi ; -- Begin function _ZN9rocsparseL19gtsv_LBM_rhs_kernelILj256ELj64ELj1EdEEviiiPKT2_S3_S3_PS1_S3_PKi
	.p2align	8
	.type	_ZN9rocsparseL19gtsv_LBM_rhs_kernelILj256ELj64ELj1EdEEviiiPKT2_S3_S3_PS1_S3_PKi,@function
_ZN9rocsparseL19gtsv_LBM_rhs_kernelILj256ELj64ELj1EdEEviiiPKT2_S3_S3_PS1_S3_PKi: ; @_ZN9rocsparseL19gtsv_LBM_rhs_kernelILj256ELj64ELj1EdEEviiiPKT2_S3_S3_PS1_S3_PKi
; %bb.0:
	s_load_dword s24, s[0:1], 0x0
	v_lshl_or_b32 v0, s2, 8, v0
	s_waitcnt lgkmcnt(0)
	s_lshr_b32 s22, s24, 6
	v_cmp_gt_i32_e32 vcc, s22, v0
	s_and_saveexec_b64 s[4:5], vcc
	s_cbranch_execz .LBB153_29
; %bb.1:
	s_load_dwordx4 s[8:11], s[0:1], 0x28
	s_load_dwordx2 s[6:7], s[0:1], 0x38
	s_cmp_lt_i32 s24, 1
	s_mul_i32 s23, s24, s3
	s_cbranch_scc1 .LBB153_21
; %bb.2:
	s_load_dwordx4 s[12:15], s[0:1], 0x10
	s_load_dwordx2 s[16:17], s[0:1], 0x20
	v_ashrrev_i32_e32 v1, 31, v0
	v_add_u32_e32 v24, s22, v0
	s_mul_i32 s25, s22, 63
	s_waitcnt lgkmcnt(0)
	v_lshl_add_u64 v[2:3], v[0:1], 3, s[14:15]
	global_load_dwordx2 v[4:5], v[2:3], off
	s_mul_i32 s26, s22, 62
	s_lshl_b32 s27, s22, 1
	v_add_u32_e32 v25, s22, v24
	v_add_u32_e32 v26, s23, v24
	v_mov_b32_e32 v3, 0
	s_mov_b64 s[18:19], 0
	v_mov_b32_e32 v1, 0
	s_branch .LBB153_5
.LBB153_3:                              ;   in Loop: Header=BB153_5 Depth=1
	s_or_b64 exec, exec, s[4:5]
	v_fma_f64 v[4:5], -v[4:5], v[18:19], v[8:9]
	v_mov_b32_e32 v2, s22
.LBB153_4:                              ;   in Loop: Header=BB153_5 Depth=1
	s_or_b64 exec, exec, s[2:3]
	v_add_u32_e32 v1, v2, v1
	v_cmp_le_i32_e32 vcc, s24, v1
	s_or_b64 s[18:19], vcc, s[18:19]
	s_andn2_b64 exec, exec, s[18:19]
	s_cbranch_execz .LBB153_20
.LBB153_5:                              ; =>This Inner Loop Header: Depth=1
	v_add_u32_e32 v16, v1, v0
	v_ashrrev_i32_e32 v17, 31, v16
	v_lshl_add_u64 v[6:7], v[16:17], 3, s[16:17]
	global_load_dwordx2 v[10:11], v[6:7], off
	v_cmp_gt_u32_e64 s[0:1], s25, v1
	v_mov_b64_e32 v[8:9], 0
	v_add_u32_e32 v18, v24, v1
	v_mov_b64_e32 v[6:7], 0
	s_and_saveexec_b64 s[2:3], s[0:1]
	s_cbranch_execz .LBB153_7
; %bb.6:                                ;   in Loop: Header=BB153_5 Depth=1
	v_ashrrev_i32_e32 v19, 31, v18
	v_lshl_add_u64 v[6:7], v[18:19], 3, s[12:13]
	global_load_dwordx2 v[6:7], v[6:7], off
.LBB153_7:                              ;   in Loop: Header=BB153_5 Depth=1
	s_or_b64 exec, exec, s[2:3]
	s_and_saveexec_b64 s[2:3], s[0:1]
	s_cbranch_execz .LBB153_9
; %bb.8:                                ;   in Loop: Header=BB153_5 Depth=1
	v_ashrrev_i32_e32 v19, 31, v18
	v_lshl_add_u64 v[8:9], v[18:19], 3, s[14:15]
	global_load_dwordx2 v[8:9], v[8:9], off
.LBB153_9:                              ;   in Loop: Header=BB153_5 Depth=1
	s_or_b64 exec, exec, s[2:3]
	v_mov_b64_e32 v[14:15], 0
	v_mov_b64_e32 v[12:13], 0
	s_and_saveexec_b64 s[2:3], s[0:1]
	s_cbranch_execz .LBB153_11
; %bb.10:                               ;   in Loop: Header=BB153_5 Depth=1
	v_ashrrev_i32_e32 v19, 31, v18
	v_lshl_add_u64 v[12:13], v[18:19], 3, s[16:17]
	global_load_dwordx2 v[12:13], v[12:13], off
.LBB153_11:                             ;   in Loop: Header=BB153_5 Depth=1
	s_or_b64 exec, exec, s[2:3]
	v_cmp_gt_u32_e64 s[2:3], s26, v1
	s_and_saveexec_b64 s[4:5], s[2:3]
	s_cbranch_execz .LBB153_13
; %bb.12:                               ;   in Loop: Header=BB153_5 Depth=1
	v_add_u32_e32 v14, v25, v1
	v_ashrrev_i32_e32 v15, 31, v14
	v_lshl_add_u64 v[14:15], v[14:15], 3, s[12:13]
	global_load_dwordx2 v[14:15], v[14:15], off
.LBB153_13:                             ;   in Loop: Header=BB153_5 Depth=1
	s_or_b64 exec, exec, s[4:5]
	v_lshl_add_u64 v[18:19], v[16:17], 2, s[6:7]
	global_load_dword v18, v[18:19], off
	v_add_u32_e32 v2, s23, v16
	v_lshl_add_u64 v[16:17], v[2:3], 3, s[8:9]
	global_load_dwordx2 v[20:21], v[16:17], off
	v_cmp_ne_u32_e32 vcc, s25, v1
	s_waitcnt vmcnt(1)
	v_cmp_ne_u32_e64 s[4:5], 1, v18
	s_and_b64 s[4:5], vcc, s[4:5]
	v_mul_f64 v[18:19], v[10:11], v[6:7]
	s_and_saveexec_b64 s[20:21], s[4:5]
	s_xor_b64 s[4:5], exec, s[20:21]
	s_cbranch_execz .LBB153_17
; %bb.14:                               ;   in Loop: Header=BB153_5 Depth=1
	v_add_u32_e32 v2, v26, v1
	v_lshl_add_u64 v[28:29], v[2:3], 3, s[8:9]
	global_load_dwordx2 v[22:23], v[28:29], off
	v_fma_f64 v[18:19], v[4:5], v[8:9], -v[18:19]
	v_div_scale_f64 v[30:31], s[20:21], v[18:19], v[18:19], 1.0
	v_rcp_f64_e32 v[32:33], v[30:31]
	v_div_scale_f64 v[34:35], vcc, 1.0, v[18:19], 1.0
	v_fma_f64 v[36:37], -v[30:31], v[32:33], 1.0
	v_fmac_f64_e32 v[32:33], v[32:33], v[36:37]
	v_fma_f64 v[36:37], -v[30:31], v[32:33], 1.0
	v_fmac_f64_e32 v[32:33], v[32:33], v[36:37]
	v_mul_f64 v[36:37], v[34:35], v[32:33]
	v_fma_f64 v[30:31], -v[30:31], v[36:37], v[34:35]
	v_div_fmas_f64 v[30:31], v[30:31], v[32:33], v[36:37]
	v_div_fixup_f64 v[18:19], v[30:31], v[18:19], 1.0
	s_waitcnt vmcnt(1)
	v_mul_f64 v[20:21], v[18:19], v[20:21]
	v_mul_f64 v[30:31], v[6:7], v[20:21]
	s_waitcnt vmcnt(0)
	v_mul_f64 v[22:23], v[18:19], v[22:23]
	v_mul_f64 v[10:11], v[10:11], v[22:23]
	v_fma_f64 v[8:9], v[8:9], v[20:21], -v[10:11]
	v_fma_f64 v[30:31], v[4:5], v[22:23], -v[30:31]
	global_store_dwordx2 v[16:17], v[8:9], off
	global_store_dwordx2 v[28:29], v[30:31], off
	v_mov_b64_e32 v[8:9], 0
	s_and_saveexec_b64 s[20:21], s[2:3]
	s_cbranch_execz .LBB153_16
; %bb.15:                               ;   in Loop: Header=BB153_5 Depth=1
	v_add_u32_e32 v8, v25, v1
	v_add_u32_e32 v2, s23, v8
	v_ashrrev_i32_e32 v9, 31, v8
	v_lshl_add_u64 v[10:11], v[2:3], 3, s[8:9]
	v_lshl_add_u64 v[8:9], v[8:9], 3, s[14:15]
	global_load_dwordx2 v[16:17], v[10:11], off
	v_mul_f64 v[4:5], v[4:5], v[14:15]
	global_load_dwordx2 v[8:9], v[8:9], off
	v_mul_f64 v[6:7], v[6:7], v[14:15]
	v_mul_f64 v[14:15], v[4:5], v[22:23]
	;; [unrolled: 1-line block ×3, first 2 shown]
	v_fma_f64 v[6:7], v[6:7], v[20:21], -v[14:15]
	s_waitcnt vmcnt(1)
	v_add_f64 v[6:7], v[6:7], v[16:17]
	global_store_dwordx2 v[10:11], v[6:7], off
	s_waitcnt vmcnt(1)
	v_fma_f64 v[8:9], -v[18:19], v[4:5], v[8:9]
.LBB153_16:                             ;   in Loop: Header=BB153_5 Depth=1
	s_or_b64 exec, exec, s[20:21]
	v_mov_b64_e32 v[4:5], v[8:9]
                                        ; implicit-def: $vgpr18_vgpr19
                                        ; implicit-def: $vgpr8_vgpr9
                                        ; implicit-def: $vgpr20_vgpr21
                                        ; implicit-def: $vgpr16_vgpr17
                                        ; implicit-def: $vgpr6_vgpr7
.LBB153_17:                             ;   in Loop: Header=BB153_5 Depth=1
	s_or_saveexec_b64 s[2:3], s[4:5]
	v_mov_b32_e32 v2, s27
	s_xor_b64 exec, exec, s[2:3]
	s_cbranch_execz .LBB153_4
; %bb.18:                               ;   in Loop: Header=BB153_5 Depth=1
	v_div_scale_f64 v[10:11], s[4:5], v[4:5], v[4:5], 1.0
	v_rcp_f64_e32 v[12:13], v[10:11]
	v_div_scale_f64 v[14:15], vcc, 1.0, v[4:5], 1.0
	v_fma_f64 v[22:23], -v[10:11], v[12:13], 1.0
	v_fmac_f64_e32 v[12:13], v[12:13], v[22:23]
	v_fma_f64 v[22:23], -v[10:11], v[12:13], 1.0
	v_fmac_f64_e32 v[12:13], v[12:13], v[22:23]
	v_mul_f64 v[22:23], v[14:15], v[12:13]
	v_fma_f64 v[10:11], -v[10:11], v[22:23], v[14:15]
	v_div_fmas_f64 v[10:11], v[10:11], v[12:13], v[22:23]
	v_div_fixup_f64 v[4:5], v[10:11], v[4:5], 1.0
	s_waitcnt vmcnt(0)
	v_mul_f64 v[10:11], v[4:5], v[20:21]
	global_store_dwordx2 v[16:17], v[10:11], off
	s_and_saveexec_b64 s[4:5], s[0:1]
	s_cbranch_execz .LBB153_3
; %bb.19:                               ;   in Loop: Header=BB153_5 Depth=1
	v_add_u32_e32 v2, v26, v1
	v_lshl_add_u64 v[12:13], v[2:3], 3, s[8:9]
	global_load_dwordx2 v[14:15], v[12:13], off
	s_waitcnt vmcnt(0)
	v_fma_f64 v[6:7], -v[6:7], v[10:11], v[14:15]
	global_store_dwordx2 v[12:13], v[6:7], off
	s_branch .LBB153_3
.LBB153_20:
	s_or_b64 exec, exec, s[18:19]
	s_branch .LBB153_22
.LBB153_21:
	v_mov_b32_e32 v1, 0
.LBB153_22:
	v_subrev_u32_e32 v1, s22, v1
	v_add_u32_e32 v2, v1, v0
	v_ashrrev_i32_e32 v3, 31, v2
	s_waitcnt lgkmcnt(0)
	v_lshl_add_u64 v[2:3], v[2:3], 2, s[6:7]
	buffer_wbl2 sc1
	s_waitcnt vmcnt(0)
	buffer_inv sc1
	global_load_dword v2, v[2:3], off
	s_waitcnt vmcnt(0)
	v_mul_lo_u32 v2, v2, s22
	v_sub_u32_e32 v1, v1, v2
	v_cmp_lt_i32_e32 vcc, -1, v1
	s_and_b64 exec, exec, vcc
	s_cbranch_execz .LBB153_29
; %bb.23:
	s_add_i32 s0, s23, s22
	v_add_u32_e32 v8, s0, v0
	s_lshl_b32 s4, s22, 1
	s_mov_b64 s[0:1], 0
	v_mov_b32_e32 v3, 0
	s_branch .LBB153_25
.LBB153_24:                             ;   in Loop: Header=BB153_25 Depth=1
	s_or_b64 exec, exec, s[2:3]
	v_sub_u32_e32 v1, v1, v2
	v_cmp_gt_i32_e32 vcc, 0, v1
	s_or_b64 s[0:1], vcc, s[0:1]
	s_andn2_b64 exec, exec, s[0:1]
	s_cbranch_execz .LBB153_29
.LBB153_25:                             ; =>This Inner Loop Header: Depth=1
	v_add_u32_e32 v6, v1, v0
	v_ashrrev_i32_e32 v7, 31, v6
	s_waitcnt vmcnt(0)
	v_lshl_add_u64 v[4:5], v[6:7], 2, s[6:7]
	global_load_dword v2, v[4:5], off
	v_lshl_add_u64 v[4:5], v[6:7], 3, s[10:11]
	global_load_dwordx2 v[4:5], v[4:5], off
	s_waitcnt vmcnt(1)
	v_cmp_ne_u32_e32 vcc, 1, v2
	s_and_saveexec_b64 s[2:3], vcc
	s_xor_b64 s[2:3], exec, s[2:3]
	s_cbranch_execz .LBB153_27
; %bb.26:                               ;   in Loop: Header=BB153_25 Depth=1
	v_add_u32_e32 v2, v8, v1
	v_lshl_add_u64 v[10:11], v[2:3], 3, s[8:9]
	v_add_u32_e32 v2, s23, v6
	v_lshl_add_u64 v[6:7], v[2:3], 3, s[8:9]
	global_load_dwordx2 v[12:13], v[10:11], off
	global_load_dwordx2 v[14:15], v[6:7], off
	v_subrev_u32_e32 v2, s22, v1
	v_add_u32_e32 v10, v2, v0
	v_ashrrev_i32_e32 v11, 31, v10
	v_add_u32_e32 v2, s23, v10
	v_lshl_add_u64 v[10:11], v[10:11], 3, s[10:11]
	global_load_dwordx2 v[10:11], v[10:11], off
	s_waitcnt vmcnt(1)
	v_fma_f64 v[4:5], -v[4:5], v[12:13], v[14:15]
	global_store_dwordx2 v[6:7], v[4:5], off
	v_lshl_add_u64 v[4:5], v[2:3], 3, s[8:9]
	global_load_dwordx2 v[6:7], v[4:5], off
	s_waitcnt vmcnt(0)
	v_fma_f64 v[6:7], -v[10:11], v[12:13], v[6:7]
	global_store_dwordx2 v[4:5], v[6:7], off
                                        ; implicit-def: $vgpr6
                                        ; implicit-def: $vgpr4_vgpr5
.LBB153_27:                             ;   in Loop: Header=BB153_25 Depth=1
	s_or_saveexec_b64 s[2:3], s[2:3]
	v_mov_b32_e32 v2, s4
	s_xor_b64 exec, exec, s[2:3]
	s_cbranch_execz .LBB153_24
; %bb.28:                               ;   in Loop: Header=BB153_25 Depth=1
	v_add_u32_e32 v2, v8, v1
	v_lshl_add_u64 v[10:11], v[2:3], 3, s[8:9]
	v_add_u32_e32 v2, s23, v6
	v_lshl_add_u64 v[6:7], v[2:3], 3, s[8:9]
	global_load_dwordx2 v[12:13], v[10:11], off
	global_load_dwordx2 v[14:15], v[6:7], off
	v_mov_b32_e32 v2, s22
	s_waitcnt vmcnt(0)
	v_fma_f64 v[4:5], -v[4:5], v[12:13], v[14:15]
	global_store_dwordx2 v[6:7], v[4:5], off
	s_branch .LBB153_24
.LBB153_29:
	s_endpgm
	.section	.rodata,"a",@progbits
	.p2align	6, 0x0
	.amdhsa_kernel _ZN9rocsparseL19gtsv_LBM_rhs_kernelILj256ELj64ELj1EdEEviiiPKT2_S3_S3_PS1_S3_PKi
		.amdhsa_group_segment_fixed_size 0
		.amdhsa_private_segment_fixed_size 0
		.amdhsa_kernarg_size 64
		.amdhsa_user_sgpr_count 2
		.amdhsa_user_sgpr_dispatch_ptr 0
		.amdhsa_user_sgpr_queue_ptr 0
		.amdhsa_user_sgpr_kernarg_segment_ptr 1
		.amdhsa_user_sgpr_dispatch_id 0
		.amdhsa_user_sgpr_kernarg_preload_length 0
		.amdhsa_user_sgpr_kernarg_preload_offset 0
		.amdhsa_user_sgpr_private_segment_size 0
		.amdhsa_uses_dynamic_stack 0
		.amdhsa_enable_private_segment 0
		.amdhsa_system_sgpr_workgroup_id_x 1
		.amdhsa_system_sgpr_workgroup_id_y 1
		.amdhsa_system_sgpr_workgroup_id_z 0
		.amdhsa_system_sgpr_workgroup_info 0
		.amdhsa_system_vgpr_workitem_id 0
		.amdhsa_next_free_vgpr 38
		.amdhsa_next_free_sgpr 28
		.amdhsa_accum_offset 40
		.amdhsa_reserve_vcc 1
		.amdhsa_float_round_mode_32 0
		.amdhsa_float_round_mode_16_64 0
		.amdhsa_float_denorm_mode_32 3
		.amdhsa_float_denorm_mode_16_64 3
		.amdhsa_dx10_clamp 1
		.amdhsa_ieee_mode 1
		.amdhsa_fp16_overflow 0
		.amdhsa_tg_split 0
		.amdhsa_exception_fp_ieee_invalid_op 0
		.amdhsa_exception_fp_denorm_src 0
		.amdhsa_exception_fp_ieee_div_zero 0
		.amdhsa_exception_fp_ieee_overflow 0
		.amdhsa_exception_fp_ieee_underflow 0
		.amdhsa_exception_fp_ieee_inexact 0
		.amdhsa_exception_int_div_zero 0
	.end_amdhsa_kernel
	.section	.text._ZN9rocsparseL19gtsv_LBM_rhs_kernelILj256ELj64ELj1EdEEviiiPKT2_S3_S3_PS1_S3_PKi,"axG",@progbits,_ZN9rocsparseL19gtsv_LBM_rhs_kernelILj256ELj64ELj1EdEEviiiPKT2_S3_S3_PS1_S3_PKi,comdat
.Lfunc_end153:
	.size	_ZN9rocsparseL19gtsv_LBM_rhs_kernelILj256ELj64ELj1EdEEviiiPKT2_S3_S3_PS1_S3_PKi, .Lfunc_end153-_ZN9rocsparseL19gtsv_LBM_rhs_kernelILj256ELj64ELj1EdEEviiiPKT2_S3_S3_PS1_S3_PKi
                                        ; -- End function
	.set _ZN9rocsparseL19gtsv_LBM_rhs_kernelILj256ELj64ELj1EdEEviiiPKT2_S3_S3_PS1_S3_PKi.num_vgpr, 38
	.set _ZN9rocsparseL19gtsv_LBM_rhs_kernelILj256ELj64ELj1EdEEviiiPKT2_S3_S3_PS1_S3_PKi.num_agpr, 0
	.set _ZN9rocsparseL19gtsv_LBM_rhs_kernelILj256ELj64ELj1EdEEviiiPKT2_S3_S3_PS1_S3_PKi.numbered_sgpr, 28
	.set _ZN9rocsparseL19gtsv_LBM_rhs_kernelILj256ELj64ELj1EdEEviiiPKT2_S3_S3_PS1_S3_PKi.num_named_barrier, 0
	.set _ZN9rocsparseL19gtsv_LBM_rhs_kernelILj256ELj64ELj1EdEEviiiPKT2_S3_S3_PS1_S3_PKi.private_seg_size, 0
	.set _ZN9rocsparseL19gtsv_LBM_rhs_kernelILj256ELj64ELj1EdEEviiiPKT2_S3_S3_PS1_S3_PKi.uses_vcc, 1
	.set _ZN9rocsparseL19gtsv_LBM_rhs_kernelILj256ELj64ELj1EdEEviiiPKT2_S3_S3_PS1_S3_PKi.uses_flat_scratch, 0
	.set _ZN9rocsparseL19gtsv_LBM_rhs_kernelILj256ELj64ELj1EdEEviiiPKT2_S3_S3_PS1_S3_PKi.has_dyn_sized_stack, 0
	.set _ZN9rocsparseL19gtsv_LBM_rhs_kernelILj256ELj64ELj1EdEEviiiPKT2_S3_S3_PS1_S3_PKi.has_recursion, 0
	.set _ZN9rocsparseL19gtsv_LBM_rhs_kernelILj256ELj64ELj1EdEEviiiPKT2_S3_S3_PS1_S3_PKi.has_indirect_call, 0
	.section	.AMDGPU.csdata,"",@progbits
; Kernel info:
; codeLenInByte = 1348
; TotalNumSgprs: 34
; NumVgprs: 38
; NumAgprs: 0
; TotalNumVgprs: 38
; ScratchSize: 0
; MemoryBound: 0
; FloatMode: 240
; IeeeMode: 1
; LDSByteSize: 0 bytes/workgroup (compile time only)
; SGPRBlocks: 4
; VGPRBlocks: 4
; NumSGPRsForWavesPerEU: 34
; NumVGPRsForWavesPerEU: 38
; AccumOffset: 40
; Occupancy: 8
; WaveLimiterHint : 0
; COMPUTE_PGM_RSRC2:SCRATCH_EN: 0
; COMPUTE_PGM_RSRC2:USER_SGPR: 2
; COMPUTE_PGM_RSRC2:TRAP_HANDLER: 0
; COMPUTE_PGM_RSRC2:TGID_X_EN: 1
; COMPUTE_PGM_RSRC2:TGID_Y_EN: 1
; COMPUTE_PGM_RSRC2:TGID_Z_EN: 0
; COMPUTE_PGM_RSRC2:TIDIG_COMP_CNT: 0
; COMPUTE_PGM_RSRC3_GFX90A:ACCUM_OFFSET: 9
; COMPUTE_PGM_RSRC3_GFX90A:TG_SPLIT: 0
	.section	.text._ZN9rocsparseL29gtsv_spike_block_level_kernelILj256ELj64EdEEviiiPT1_PKS1_S4_S2_S2_S2_S2_S2_,"axG",@progbits,_ZN9rocsparseL29gtsv_spike_block_level_kernelILj256ELj64EdEEviiiPT1_PKS1_S4_S2_S2_S2_S2_S2_,comdat
	.globl	_ZN9rocsparseL29gtsv_spike_block_level_kernelILj256ELj64EdEEviiiPT1_PKS1_S4_S2_S2_S2_S2_S2_ ; -- Begin function _ZN9rocsparseL29gtsv_spike_block_level_kernelILj256ELj64EdEEviiiPT1_PKS1_S4_S2_S2_S2_S2_S2_
	.p2align	8
	.type	_ZN9rocsparseL29gtsv_spike_block_level_kernelILj256ELj64EdEEviiiPT1_PKS1_S4_S2_S2_S2_S2_S2_,@function
_ZN9rocsparseL29gtsv_spike_block_level_kernelILj256ELj64EdEEviiiPT1_PKS1_S4_S2_S2_S2_S2_S2_: ; @_ZN9rocsparseL29gtsv_spike_block_level_kernelILj256ELj64EdEEviiiPT1_PKS1_S4_S2_S2_S2_S2_S2_
; %bb.0:
	s_load_dword s14, s[0:1], 0x0
	s_load_dwordx2 s[8:9], s[0:1], 0x18
	v_lshl_or_b32 v2, s2, 8, v0
	v_mov_b64_e32 v[4:5], 0
	v_mov_b64_e32 v[8:9], 0
	s_waitcnt lgkmcnt(0)
	s_lshr_b32 s18, s14, 6
	v_cmp_gt_i32_e64 s[4:5], s18, v2
	s_and_saveexec_b64 s[6:7], s[4:5]
	s_cbranch_execz .LBB154_2
; %bb.1:
	v_ashrrev_i32_e32 v3, 31, v2
	v_lshl_add_u64 v[6:7], v[2:3], 3, s[8:9]
	global_load_dwordx2 v[8:9], v[6:7], off
.LBB154_2:
	s_or_b64 exec, exec, s[6:7]
	s_load_dwordx2 s[6:7], s[0:1], 0x20
	v_lshlrev_b32_e32 v1, 3, v0
	v_or_b32_e32 v6, 0x1000, v1
	s_waitcnt vmcnt(0)
	ds_write_b64 v1, v[8:9] offset:4096
	s_and_saveexec_b64 s[10:11], s[4:5]
	s_cbranch_execz .LBB154_4
; %bb.3:
	v_mad_u64_u32 v[4:5], s[12:13], s18, 63, v[2:3]
	v_mov_b32_e32 v5, 0
	v_lshl_add_u64 v[4:5], v[4:5], 3, s[8:9]
	global_load_dwordx2 v[4:5], v[4:5], off
.LBB154_4:
	s_or_b64 exec, exec, s[10:11]
	s_waitcnt vmcnt(0)
	ds_write_b64 v6, v[4:5] offset:2048
	v_mov_b64_e32 v[4:5], 0
	v_mov_b64_e32 v[8:9], 0
	s_and_saveexec_b64 s[8:9], s[4:5]
	s_cbranch_execz .LBB154_6
; %bb.5:
	v_ashrrev_i32_e32 v3, 31, v2
	s_waitcnt lgkmcnt(0)
	v_lshl_add_u64 v[8:9], v[2:3], 3, s[6:7]
	global_load_dwordx2 v[8:9], v[8:9], off
.LBB154_6:
	s_or_b64 exec, exec, s[8:9]
	s_load_dwordx2 s[12:13], s[0:1], 0x10
	s_waitcnt vmcnt(0)
	ds_write_b64 v1, v[8:9]
	s_and_saveexec_b64 s[8:9], s[4:5]
	s_cbranch_execz .LBB154_8
; %bb.7:
	v_mad_u64_u32 v[4:5], s[10:11], s18, 63, v[2:3]
	v_mov_b32_e32 v5, 0
	s_waitcnt lgkmcnt(0)
	v_lshl_add_u64 v[4:5], v[4:5], 3, s[6:7]
	global_load_dwordx2 v[4:5], v[4:5], off
.LBB154_8:
	s_or_b64 exec, exec, s[8:9]
	s_mul_i32 s14, s14, s3
	s_waitcnt vmcnt(0)
	ds_write_b64 v1, v[4:5] offset:2048
	v_mov_b64_e32 v[8:9], 0
	v_add_u32_e32 v4, s14, v2
	v_mov_b64_e32 v[10:11], 0
	s_waitcnt lgkmcnt(0)
	s_and_saveexec_b64 s[6:7], s[4:5]
	s_cbranch_execz .LBB154_10
; %bb.9:
	v_ashrrev_i32_e32 v5, 31, v4
	v_lshl_add_u64 v[10:11], v[4:5], 3, s[12:13]
	global_load_dwordx2 v[10:11], v[10:11], off
.LBB154_10:
	s_or_b64 exec, exec, s[6:7]
	v_or_b32_e32 v5, 0x2000, v1
	s_mul_i32 s19, s18, 63
	s_waitcnt vmcnt(0)
	ds_write_b64 v1, v[10:11] offset:8192
	s_and_saveexec_b64 s[6:7], s[4:5]
	s_cbranch_execz .LBB154_12
; %bb.11:
	s_mul_i32 s8, s18, 63
	s_add_i32 s8, s8, s14
	v_add_u32_e32 v8, s8, v2
	v_mov_b32_e32 v9, 0
	v_lshl_add_u64 v[8:9], v[8:9], 3, s[12:13]
	global_load_dwordx2 v[8:9], v[8:9], off
.LBB154_12:
	s_or_b64 exec, exec, s[6:7]
	s_movk_i32 s6, 0x80
	v_cmp_gt_u32_e32 vcc, s6, v0
	s_waitcnt vmcnt(0)
	ds_write_b64 v5, v[8:9] offset:2048
	s_waitcnt lgkmcnt(0)
	s_barrier
	s_and_saveexec_b64 s[6:7], vcc
	s_cbranch_execz .LBB154_14
; %bb.13:
	v_add_u32_e32 v3, v6, v1
	ds_read_b128 v[8:11], v3
	v_add_u32_e32 v7, v1, v1
	ds_read_b128 v[12:15], v7 offset:2048
	ds_read_b128 v[16:19], v7
	ds_read_b128 v[20:23], v3 offset:2048
	v_add_u32_e32 v42, v5, v1
	s_waitcnt lgkmcnt(2)
	v_fma_f64 v[32:33], -v[10:11], v[12:13], 1.0
	v_div_scale_f64 v[34:35], s[8:9], v[32:33], v[32:33], 1.0
	v_rcp_f64_e32 v[36:37], v[34:35]
	v_div_scale_f64 v[38:39], vcc, 1.0, v[32:33], 1.0
	v_fma_f64 v[24:25], -v[34:35], v[36:37], 1.0
	v_fmac_f64_e32 v[36:37], v[36:37], v[24:25]
	v_fma_f64 v[24:25], -v[34:35], v[36:37], 1.0
	v_fmac_f64_e32 v[36:37], v[36:37], v[24:25]
	ds_read_b128 v[24:27], v42 offset:2048
	ds_read_b128 v[28:31], v42
	v_mul_f64 v[40:41], v[38:39], v[36:37]
	v_fma_f64 v[34:35], -v[34:35], v[40:41], v[38:39]
	v_div_fmas_f64 v[34:35], v[34:35], v[36:37], v[40:41]
	v_div_fixup_f64 v[36:37], v[34:35], v[32:33], 1.0
	s_waitcnt lgkmcnt(0)
	v_fma_f64 v[32:33], -v[12:13], v[30:31], v[24:25]
	v_fma_f64 v[24:25], -v[10:11], v[24:25], v[30:31]
	v_mul_f64 v[12:13], v[12:13], v[18:19]
	v_mul_f64 v[10:11], v[10:11], v[20:21]
	;; [unrolled: 1-line block ×4, first 2 shown]
	v_mul_f64 v[12:13], v[12:13], -v[36:37]
	v_mul_f64 v[18:19], v[36:37], v[18:19]
	v_mul_f64 v[10:11], v[10:11], -v[36:37]
	v_mul_f64 v[20:21], v[36:37], v[20:21]
	v_fma_f64 v[28:29], -v[30:31], v[16:17], v[28:29]
	v_fma_f64 v[34:35], -v[22:23], v[32:33], v[26:27]
	;; [unrolled: 1-line block ×3, first 2 shown]
	v_mul_f64 v[16:17], v[18:19], -v[16:17]
	v_fma_f64 v[14:15], -v[12:13], v[22:23], v[14:15]
	v_mul_f64 v[22:23], v[20:21], -v[22:23]
	ds_write_b128 v42, v[28:31]
	ds_write_b128 v42, v[32:35] offset:2048
	ds_write_b128 v3, v[8:11]
	ds_write_b128 v7, v[16:19]
	ds_write_b128 v7, v[12:15] offset:2048
	ds_write_b128 v3, v[20:23] offset:2048
.LBB154_14:
	s_or_b64 exec, exec, s[6:7]
	v_cmp_gt_u32_e32 vcc, 64, v0
	s_waitcnt lgkmcnt(0)
	s_barrier
	s_and_saveexec_b64 s[6:7], vcc
	s_cbranch_execz .LBB154_16
; %bb.15:
	v_lshlrev_b32_e32 v3, 5, v0
	v_add_u32_e32 v7, 0x1000, v3
	v_add_u32_e32 v36, 0x800, v3
	ds_read2_b64 v[8:11], v7 offset1:2
	ds_read2_b64 v[12:15], v36 offset0:1 offset1:3
	v_mad_u32_u24 v37, v0, 24, v5
	v_add_u32_e32 v38, 0x800, v37
	v_add_u32_e32 v39, 0x1800, v3
	s_waitcnt lgkmcnt(0)
	v_fma_f64 v[24:25], -v[10:11], v[12:13], 1.0
	v_div_scale_f64 v[26:27], s[8:9], v[24:25], v[24:25], 1.0
	v_rcp_f64_e32 v[28:29], v[26:27]
	v_div_scale_f64 v[30:31], vcc, 1.0, v[24:25], 1.0
	v_fma_f64 v[16:17], -v[26:27], v[28:29], 1.0
	v_fmac_f64_e32 v[28:29], v[28:29], v[16:17]
	v_fma_f64 v[16:17], -v[26:27], v[28:29], 1.0
	v_fmac_f64_e32 v[28:29], v[28:29], v[16:17]
	ds_read2_b64 v[16:19], v38 offset0:1 offset1:3
	ds_read2_b64 v[20:23], v37 offset1:2
	v_mul_f64 v[32:33], v[30:31], v[28:29]
	v_fma_f64 v[26:27], -v[26:27], v[32:33], v[30:31]
	v_div_fmas_f64 v[26:27], v[26:27], v[28:29], v[32:33]
	v_div_fixup_f64 v[32:33], v[26:27], v[24:25], 1.0
	s_waitcnt lgkmcnt(0)
	v_fma_f64 v[24:25], -v[12:13], v[22:23], v[16:17]
	v_mul_f64 v[34:35], v[32:33], v[24:25]
	ds_read2_b64 v[24:27], v3 offset1:2
	ds_read2_b64 v[28:31], v39 offset0:1 offset1:3
	v_fma_f64 v[16:17], -v[10:11], v[16:17], v[22:23]
	v_mul_f64 v[16:17], v[16:17], v[32:33]
	s_waitcnt lgkmcnt(1)
	v_fma_f64 v[20:21], -v[16:17], v[24:25], v[20:21]
	s_waitcnt lgkmcnt(0)
	v_mul_f64 v[10:11], v[10:11], v[28:29]
	ds_write2_b64 v37, v[20:21], v[16:17] offset1:2
	v_fma_f64 v[16:17], -v[30:31], v[34:35], v[18:19]
	v_mul_f64 v[10:11], v[10:11], -v[32:33]
	ds_write2_b64 v38, v[34:35], v[16:17] offset0:1 offset1:3
	v_mul_f64 v[12:13], v[12:13], v[26:27]
	v_mul_f64 v[16:17], v[32:33], v[26:27]
	v_fma_f64 v[8:9], -v[10:11], v[24:25], v[8:9]
	v_mul_f64 v[12:13], v[12:13], -v[32:33]
	ds_write2_b64 v7, v[8:9], v[10:11] offset1:2
	v_mul_f64 v[8:9], v[16:17], -v[24:25]
	v_mul_f64 v[18:19], v[32:33], v[28:29]
	ds_write2_b64 v3, v[8:9], v[16:17] offset1:2
	v_fma_f64 v[8:9], -v[12:13], v[30:31], v[14:15]
	ds_write2_b64 v36, v[12:13], v[8:9] offset0:1 offset1:3
	v_mul_f64 v[8:9], v[18:19], -v[30:31]
	ds_write2_b64 v39, v[18:19], v[8:9] offset0:1 offset1:3
.LBB154_16:
	s_or_b64 exec, exec, s[6:7]
	v_cmp_gt_u32_e32 vcc, 32, v0
	s_waitcnt lgkmcnt(0)
	s_barrier
	s_and_saveexec_b64 s[6:7], vcc
	s_cbranch_execz .LBB154_18
; %bb.17:
	v_lshlrev_b32_e32 v3, 6, v0
	v_add_u32_e32 v7, 0x1000, v3
	v_add_u32_e32 v36, 0x800, v3
	ds_read2_b64 v[8:11], v7 offset1:4
	ds_read2_b64 v[12:15], v36 offset0:3 offset1:7
	v_add_u32_e32 v37, 0x2800, v3
	v_add_u32_e32 v38, 0x2000, v3
	ds_read2_b64 v[16:19], v37 offset0:3 offset1:7
	v_add_u32_e32 v39, 0x1800, v3
	s_waitcnt lgkmcnt(1)
	v_fma_f64 v[24:25], -v[10:11], v[12:13], 1.0
	v_div_scale_f64 v[26:27], s[8:9], v[24:25], v[24:25], 1.0
	v_rcp_f64_e32 v[28:29], v[26:27]
	v_div_scale_f64 v[30:31], vcc, 1.0, v[24:25], 1.0
	v_fma_f64 v[20:21], -v[26:27], v[28:29], 1.0
	v_fmac_f64_e32 v[28:29], v[28:29], v[20:21]
	v_fma_f64 v[20:21], -v[26:27], v[28:29], 1.0
	v_fmac_f64_e32 v[28:29], v[28:29], v[20:21]
	ds_read2_b64 v[20:23], v38 offset1:4
	v_mul_f64 v[32:33], v[30:31], v[28:29]
	v_fma_f64 v[26:27], -v[26:27], v[32:33], v[30:31]
	v_div_fmas_f64 v[26:27], v[26:27], v[28:29], v[32:33]
	v_div_fixup_f64 v[32:33], v[26:27], v[24:25], 1.0
	s_waitcnt lgkmcnt(0)
	v_fma_f64 v[24:25], -v[12:13], v[22:23], v[16:17]
	v_mul_f64 v[34:35], v[32:33], v[24:25]
	ds_read2_b64 v[24:27], v3 offset1:4
	ds_read2_b64 v[28:31], v39 offset0:3 offset1:7
	v_fma_f64 v[16:17], -v[10:11], v[16:17], v[22:23]
	v_mul_f64 v[16:17], v[16:17], v[32:33]
	s_waitcnt lgkmcnt(1)
	v_fma_f64 v[20:21], -v[16:17], v[24:25], v[20:21]
	s_waitcnt lgkmcnt(0)
	v_mul_f64 v[10:11], v[10:11], v[28:29]
	ds_write2_b64 v38, v[20:21], v[16:17] offset1:4
	v_fma_f64 v[16:17], -v[30:31], v[34:35], v[18:19]
	v_mul_f64 v[10:11], v[10:11], -v[32:33]
	ds_write2_b64 v37, v[34:35], v[16:17] offset0:3 offset1:7
	v_mul_f64 v[12:13], v[12:13], v[26:27]
	v_mul_f64 v[16:17], v[32:33], v[26:27]
	v_fma_f64 v[8:9], -v[10:11], v[24:25], v[8:9]
	v_mul_f64 v[12:13], v[12:13], -v[32:33]
	ds_write2_b64 v7, v[8:9], v[10:11] offset1:4
	v_mul_f64 v[8:9], v[16:17], -v[24:25]
	v_mul_f64 v[18:19], v[32:33], v[28:29]
	ds_write2_b64 v3, v[8:9], v[16:17] offset1:4
	v_fma_f64 v[8:9], -v[12:13], v[30:31], v[14:15]
	ds_write2_b64 v36, v[12:13], v[8:9] offset0:3 offset1:7
	v_mul_f64 v[8:9], v[18:19], -v[30:31]
	ds_write2_b64 v39, v[18:19], v[8:9] offset0:3 offset1:7
.LBB154_18:
	s_or_b64 exec, exec, s[6:7]
	v_cmp_gt_u32_e32 vcc, 16, v0
	s_waitcnt lgkmcnt(0)
	s_barrier
	s_and_saveexec_b64 s[6:7], vcc
	s_cbranch_execz .LBB154_20
; %bb.19:
	v_lshlrev_b32_e32 v3, 7, v0
	v_add_u32_e32 v7, 0x1000, v3
	v_add_u32_e32 v36, 0x800, v3
	ds_read2_b64 v[8:11], v7 offset1:8
	ds_read2_b64 v[12:15], v36 offset0:7 offset1:15
	v_add_u32_e32 v37, 0x2800, v3
	v_add_u32_e32 v38, 0x2000, v3
	ds_read2_b64 v[16:19], v37 offset0:7 offset1:15
	v_add_u32_e32 v39, 0x1800, v3
	s_waitcnt lgkmcnt(1)
	v_fma_f64 v[24:25], -v[10:11], v[12:13], 1.0
	v_div_scale_f64 v[26:27], s[8:9], v[24:25], v[24:25], 1.0
	v_rcp_f64_e32 v[28:29], v[26:27]
	v_div_scale_f64 v[30:31], vcc, 1.0, v[24:25], 1.0
	v_fma_f64 v[20:21], -v[26:27], v[28:29], 1.0
	v_fmac_f64_e32 v[28:29], v[28:29], v[20:21]
	v_fma_f64 v[20:21], -v[26:27], v[28:29], 1.0
	v_fmac_f64_e32 v[28:29], v[28:29], v[20:21]
	ds_read2_b64 v[20:23], v38 offset1:8
	v_mul_f64 v[32:33], v[30:31], v[28:29]
	v_fma_f64 v[26:27], -v[26:27], v[32:33], v[30:31]
	v_div_fmas_f64 v[26:27], v[26:27], v[28:29], v[32:33]
	v_div_fixup_f64 v[32:33], v[26:27], v[24:25], 1.0
	s_waitcnt lgkmcnt(0)
	v_fma_f64 v[24:25], -v[12:13], v[22:23], v[16:17]
	v_mul_f64 v[34:35], v[32:33], v[24:25]
	ds_read2_b64 v[24:27], v3 offset1:8
	ds_read2_b64 v[28:31], v39 offset0:7 offset1:15
	v_fma_f64 v[16:17], -v[10:11], v[16:17], v[22:23]
	v_mul_f64 v[16:17], v[16:17], v[32:33]
	s_waitcnt lgkmcnt(1)
	v_fma_f64 v[20:21], -v[16:17], v[24:25], v[20:21]
	s_waitcnt lgkmcnt(0)
	v_mul_f64 v[10:11], v[10:11], v[28:29]
	ds_write2_b64 v38, v[20:21], v[16:17] offset1:8
	v_fma_f64 v[16:17], -v[30:31], v[34:35], v[18:19]
	v_mul_f64 v[10:11], v[10:11], -v[32:33]
	ds_write2_b64 v37, v[34:35], v[16:17] offset0:7 offset1:15
	v_mul_f64 v[12:13], v[12:13], v[26:27]
	v_mul_f64 v[16:17], v[32:33], v[26:27]
	v_fma_f64 v[8:9], -v[10:11], v[24:25], v[8:9]
	v_mul_f64 v[12:13], v[12:13], -v[32:33]
	ds_write2_b64 v7, v[8:9], v[10:11] offset1:8
	v_mul_f64 v[8:9], v[16:17], -v[24:25]
	v_mul_f64 v[18:19], v[32:33], v[28:29]
	ds_write2_b64 v3, v[8:9], v[16:17] offset1:8
	v_fma_f64 v[8:9], -v[12:13], v[30:31], v[14:15]
	ds_write2_b64 v36, v[12:13], v[8:9] offset0:7 offset1:15
	v_mul_f64 v[8:9], v[18:19], -v[30:31]
	ds_write2_b64 v39, v[18:19], v[8:9] offset0:7 offset1:15
.LBB154_20:
	;; [unrolled: 58-line block ×4, first 2 shown]
	s_or_b64 exec, exec, s[6:7]
	v_cmp_gt_u32_e32 vcc, 2, v0
	s_waitcnt lgkmcnt(0)
	s_barrier
	s_and_saveexec_b64 s[6:7], vcc
	s_cbranch_execz .LBB154_26
; %bb.25:
	v_lshlrev_b32_e32 v3, 10, v0
	v_add_u32_e32 v7, 0x1f8, v3
	ds_read2st64_b64 v[8:11], v7 offset0:4 offset1:5
	ds_read2st64_b64 v[12:15], v3 offset0:8 offset1:9
	ds_read2st64_b64 v[16:19], v3 offset1:1
	ds_read2st64_b64 v[20:23], v7 offset0:12 offset1:13
	ds_read2st64_b64 v[24:27], v7 offset0:20 offset1:21
	s_waitcnt lgkmcnt(3)
	v_fma_f64 v[32:33], -v[14:15], v[8:9], 1.0
	v_div_scale_f64 v[34:35], s[8:9], v[32:33], v[32:33], 1.0
	v_rcp_f64_e32 v[36:37], v[34:35]
	v_div_scale_f64 v[38:39], vcc, 1.0, v[32:33], 1.0
	v_fma_f64 v[28:29], -v[34:35], v[36:37], 1.0
	v_fmac_f64_e32 v[36:37], v[36:37], v[28:29]
	v_fma_f64 v[28:29], -v[34:35], v[36:37], 1.0
	v_fmac_f64_e32 v[36:37], v[36:37], v[28:29]
	ds_read2st64_b64 v[28:31], v3 offset0:16 offset1:17
	v_mul_f64 v[40:41], v[38:39], v[36:37]
	v_fma_f64 v[34:35], -v[34:35], v[40:41], v[38:39]
	v_div_fmas_f64 v[34:35], v[34:35], v[36:37], v[40:41]
	v_div_fixup_f64 v[32:33], v[34:35], v[32:33], 1.0
	s_waitcnt lgkmcnt(0)
	v_fma_f64 v[34:35], -v[8:9], v[30:31], v[24:25]
	v_fma_f64 v[24:25], -v[14:15], v[24:25], v[30:31]
	v_mul_f64 v[8:9], v[8:9], v[18:19]
	v_mul_f64 v[14:15], v[14:15], v[20:21]
	;; [unrolled: 1-line block ×3, first 2 shown]
	v_mul_f64 v[8:9], v[8:9], -v[32:33]
	v_mul_f64 v[14:15], v[14:15], -v[32:33]
	v_mul_f64 v[34:35], v[32:33], v[34:35]
	v_fma_f64 v[28:29], -v[24:25], v[16:17], v[28:29]
	v_mul_f64 v[18:19], v[32:33], v[18:19]
	v_mul_f64 v[20:21], v[32:33], v[20:21]
	v_fma_f64 v[12:13], -v[14:15], v[16:17], v[12:13]
	v_fma_f64 v[10:11], -v[8:9], v[22:23], v[10:11]
	ds_write2st64_b64 v3, v[28:29], v[24:25] offset0:16 offset1:17
	v_fma_f64 v[24:25], -v[22:23], v[34:35], v[26:27]
	ds_write2st64_b64 v3, v[12:13], v[14:15] offset0:8 offset1:9
	v_mul_f64 v[12:13], v[18:19], -v[16:17]
	ds_write2st64_b64 v7, v[8:9], v[10:11] offset0:4 offset1:5
	v_mul_f64 v[8:9], v[20:21], -v[22:23]
	ds_write2st64_b64 v7, v[34:35], v[24:25] offset0:20 offset1:21
	ds_write2st64_b64 v3, v[12:13], v[18:19] offset1:1
	ds_write2st64_b64 v7, v[20:21], v[8:9] offset0:12 offset1:13
.LBB154_26:
	s_or_b64 exec, exec, s[6:7]
	v_cmp_eq_u32_e64 s[6:7], 0, v0
	s_waitcnt lgkmcnt(0)
	s_barrier
	s_and_saveexec_b64 s[8:9], s[6:7]
	s_cbranch_execz .LBB154_28
; %bb.27:
	s_movk_i32 s10, 0x1400
	v_add_u32_e64 v3, s10, 0
	v_mov_b32_e32 v0, 0
	ds_read2_b64 v[8:11], v3 offset1:255
	ds_read_b64 v[24:25], v0 offset:3064
	ds_read_b64 v[26:27], v0 offset:12280
	v_mov_b32_e32 v34, 0x1ff8
	s_waitcnt lgkmcnt(1)
	v_fma_f64 v[16:17], -v[8:9], v[24:25], 1.0
	v_div_scale_f64 v[18:19], s[10:11], v[16:17], v[16:17], 1.0
	v_rcp_f64_e32 v[20:21], v[18:19]
	s_movk_i32 s10, 0x2400
	v_add_u32_e64 v7, s10, 0
	v_div_scale_f64 v[22:23], vcc, 1.0, v[16:17], 1.0
	v_fma_f64 v[12:13], -v[18:19], v[20:21], 1.0
	v_fmac_f64_e32 v[20:21], v[20:21], v[12:13]
	v_fma_f64 v[12:13], -v[18:19], v[20:21], 1.0
	v_fmac_f64_e32 v[20:21], v[20:21], v[12:13]
	ds_read2_b64 v[12:15], v7 offset1:255
	v_mul_f64 v[28:29], v[22:23], v[20:21]
	v_fma_f64 v[18:19], -v[18:19], v[28:29], v[22:23]
	v_div_fmas_f64 v[18:19], v[18:19], v[20:21], v[28:29]
	v_div_fixup_f64 v[28:29], v[18:19], v[16:17], 1.0
	s_waitcnt lgkmcnt(0)
	v_fma_f64 v[16:17], -v[24:25], v[12:13], v[14:15]
	v_fma_f64 v[20:21], -v[8:9], v[14:15], v[12:13]
	v_mul_f64 v[30:31], v[28:29], v[16:17]
	v_mul_f64 v[32:33], v[20:21], v[28:29]
	ds_read2_b64 v[12:15], v34 offset1:1
	ds_read2st64_b64 v[16:19], v0 offset1:2
	ds_write2_b64 v7, v[32:33], v[30:31] offset1:255
	v_mov_b32_e32 v7, 0xff8
	ds_read2_b64 v[20:23], v7 offset1:1
	v_mul_f64 v[8:9], v[8:9], v[10:11]
	s_waitcnt lgkmcnt(2)
	v_mul_f64 v[24:25], v[24:25], v[18:19]
	v_mul_f64 v[18:19], v[28:29], v[18:19]
	v_mul_f64 v[8:9], v[8:9], -v[28:29]
	v_mul_f64 v[10:11], v[28:29], v[10:11]
	v_fma_f64 v[14:15], -v[32:33], v[16:17], v[14:15]
	v_mul_f64 v[24:25], v[24:25], -v[28:29]
	ds_write2_b64 v3, v[8:9], v[10:11] offset1:255
	s_waitcnt lgkmcnt(1)
	v_fma_f64 v[8:9], -v[8:9], v[16:17], v[22:23]
	v_mul_f64 v[16:17], v[18:19], -v[16:17]
	ds_write2st64_b64 v0, v[16:17], v[18:19] offset1:2
	v_fma_f64 v[16:17], -v[24:25], v[12:13], v[20:21]
	v_fma_f64 v[26:27], -v[12:13], v[30:31], v[26:27]
	ds_write2_b64 v7, v[16:17], v[8:9] offset1:1
	v_mul_f64 v[8:9], v[10:11], -v[12:13]
	ds_write_b64 v0, v[26:27] offset:12280
	ds_write_b64 v0, v[24:25] offset:3064
	ds_write2_b64 v34, v[8:9], v[14:15] offset1:1
.LBB154_28:
	s_or_b64 exec, exec, s[8:9]
	s_load_dwordx2 s[14:15], s[0:1], 0x48
	s_load_dwordx4 s[8:11], s[0:1], 0x38
	s_waitcnt lgkmcnt(0)
	s_barrier
	s_and_saveexec_b64 s[16:17], s[4:5]
	s_cbranch_execnz .LBB154_31
; %bb.29:
	s_or_b64 exec, exec, s[16:17]
	s_and_saveexec_b64 s[4:5], s[6:7]
	s_cbranch_execnz .LBB154_35
.LBB154_30:
	s_endpgm
.LBB154_31:
	s_cmp_eq_u32 s3, 0
	s_cbranch_scc1 .LBB154_39
; %bb.32:
	s_mul_i32 s18, s18, 63
	s_cbranch_execnz .LBB154_34
.LBB154_33:
	s_load_dwordx4 s[20:23], s[0:1], 0x28
	ds_read2st64_b64 v[6:9], v6 offset1:4
	v_ashrrev_i32_e32 v3, 31, v2
	v_lshlrev_b64 v[12:13], 3, v[2:3]
	v_add_u32_e32 v10, s19, v2
	s_waitcnt lgkmcnt(0)
	v_lshl_add_u64 v[2:3], s[20:21], 0, v[12:13]
	global_store_dwordx2 v[2:3], v[6:7], off
	ds_read2st64_b64 v[0:3], v1 offset1:4
	v_mov_b32_e32 v11, 0
	v_lshlrev_b64 v[6:7], 3, v[10:11]
	v_lshl_add_u64 v[10:11], s[20:21], 0, v[6:7]
	global_store_dwordx2 v[10:11], v[8:9], off
	v_lshl_add_u64 v[8:9], s[22:23], 0, v[12:13]
	s_waitcnt lgkmcnt(0)
	global_store_dwordx2 v[8:9], v[0:1], off
	v_lshl_add_u64 v[0:1], s[22:23], 0, v[6:7]
	s_mov_b32 s18, s19
	global_store_dwordx2 v[0:1], v[2:3], off
.LBB154_34:
	ds_read2st64_b64 v[0:3], v5 offset1:4
	v_ashrrev_i32_e32 v5, 31, v4
	v_add_u32_e32 v6, s18, v4
	v_mov_b32_e32 v7, 0
	v_lshl_add_u64 v[4:5], v[4:5], 3, s[12:13]
	s_waitcnt lgkmcnt(0)
	global_store_dwordx2 v[4:5], v[0:1], off
	v_lshl_add_u64 v[0:1], v[6:7], 3, s[12:13]
	global_store_dwordx2 v[0:1], v[2:3], off
	s_or_b64 exec, exec, s[16:17]
	s_and_saveexec_b64 s[4:5], s[6:7]
	s_cbranch_execz .LBB154_30
.LBB154_35:
	s_cmp_eq_u32 s3, 0
	s_cbranch_scc1 .LBB154_40
; %bb.36:
	s_load_dword s6, s[0:1], 0x50
	s_cbranch_execnz .LBB154_38
.LBB154_37:
	s_waitcnt lgkmcnt(0)
	s_load_dword s6, s[0:1], 0x50
	v_mov_b32_e32 v0, 0xff8
	ds_read2_b64 v[6:9], v0 offset1:1
	s_mov_b32 s4, s3
	s_ashr_i32 s3, s2, 31
	s_lshl_b64 s[12:13], s[2:3], 3
	v_mov_b32_e32 v4, 0
	s_mov_b32 s3, s4
	s_add_u32 s4, s10, s12
	ds_read_b64 v[2:3], v4 offset:8184
	s_addc_u32 s5, s11, s13
	s_waitcnt lgkmcnt(0)
	s_add_i32 s0, s6, s2
	s_mov_b32 s1, 0
	s_lshl_b64 s[0:1], s[0:1], 3
	global_store_dwordx2 v4, v[8:9], s[4:5]
	s_add_u32 s4, s10, s0
	ds_read_b64 v[0:1], v4
	s_addc_u32 s5, s11, s1
	global_store_dwordx2 v4, v[2:3], s[4:5]
	s_add_u32 s4, s14, s12
	s_addc_u32 s5, s15, s13
	s_add_u32 s0, s14, s0
	s_addc_u32 s1, s15, s1
	s_waitcnt lgkmcnt(0)
	global_store_dwordx2 v4, v[0:1], s[4:5]
	global_store_dwordx2 v4, v[6:7], s[0:1]
.LBB154_38:
	s_waitcnt lgkmcnt(0)
	s_mul_i32 s0, s6, s3
	s_lshl_b32 s0, s0, 1
	s_add_i32 s0, s0, s2
	s_mov_b32 s1, 0
	v_mov_b32_e32 v4, 0
	s_lshl_b64 s[2:3], s[0:1], 3
	ds_read_b64 v[0:1], v4 offset:8192
	ds_read_b64 v[2:3], v4 offset:12280
	s_add_u32 s2, s8, s2
	s_addc_u32 s3, s9, s3
	s_add_i32 s0, s0, s6
	s_lshl_b64 s[0:1], s[0:1], 3
	s_add_u32 s0, s8, s0
	s_addc_u32 s1, s9, s1
	s_waitcnt lgkmcnt(1)
	global_store_dwordx2 v4, v[0:1], s[2:3]
	s_waitcnt lgkmcnt(0)
	global_store_dwordx2 v4, v[2:3], s[0:1]
	s_endpgm
.LBB154_39:
                                        ; implicit-def: $sgpr18
	s_branch .LBB154_33
.LBB154_40:
                                        ; implicit-def: $sgpr6
	s_branch .LBB154_37
	.section	.rodata,"a",@progbits
	.p2align	6, 0x0
	.amdhsa_kernel _ZN9rocsparseL29gtsv_spike_block_level_kernelILj256ELj64EdEEviiiPT1_PKS1_S4_S2_S2_S2_S2_S2_
		.amdhsa_group_segment_fixed_size 12288
		.amdhsa_private_segment_fixed_size 0
		.amdhsa_kernarg_size 336
		.amdhsa_user_sgpr_count 2
		.amdhsa_user_sgpr_dispatch_ptr 0
		.amdhsa_user_sgpr_queue_ptr 0
		.amdhsa_user_sgpr_kernarg_segment_ptr 1
		.amdhsa_user_sgpr_dispatch_id 0
		.amdhsa_user_sgpr_kernarg_preload_length 0
		.amdhsa_user_sgpr_kernarg_preload_offset 0
		.amdhsa_user_sgpr_private_segment_size 0
		.amdhsa_uses_dynamic_stack 0
		.amdhsa_enable_private_segment 0
		.amdhsa_system_sgpr_workgroup_id_x 1
		.amdhsa_system_sgpr_workgroup_id_y 1
		.amdhsa_system_sgpr_workgroup_id_z 0
		.amdhsa_system_sgpr_workgroup_info 0
		.amdhsa_system_vgpr_workitem_id 0
		.amdhsa_next_free_vgpr 43
		.amdhsa_next_free_sgpr 24
		.amdhsa_accum_offset 44
		.amdhsa_reserve_vcc 1
		.amdhsa_float_round_mode_32 0
		.amdhsa_float_round_mode_16_64 0
		.amdhsa_float_denorm_mode_32 3
		.amdhsa_float_denorm_mode_16_64 3
		.amdhsa_dx10_clamp 1
		.amdhsa_ieee_mode 1
		.amdhsa_fp16_overflow 0
		.amdhsa_tg_split 0
		.amdhsa_exception_fp_ieee_invalid_op 0
		.amdhsa_exception_fp_denorm_src 0
		.amdhsa_exception_fp_ieee_div_zero 0
		.amdhsa_exception_fp_ieee_overflow 0
		.amdhsa_exception_fp_ieee_underflow 0
		.amdhsa_exception_fp_ieee_inexact 0
		.amdhsa_exception_int_div_zero 0
	.end_amdhsa_kernel
	.section	.text._ZN9rocsparseL29gtsv_spike_block_level_kernelILj256ELj64EdEEviiiPT1_PKS1_S4_S2_S2_S2_S2_S2_,"axG",@progbits,_ZN9rocsparseL29gtsv_spike_block_level_kernelILj256ELj64EdEEviiiPT1_PKS1_S4_S2_S2_S2_S2_S2_,comdat
.Lfunc_end154:
	.size	_ZN9rocsparseL29gtsv_spike_block_level_kernelILj256ELj64EdEEviiiPT1_PKS1_S4_S2_S2_S2_S2_S2_, .Lfunc_end154-_ZN9rocsparseL29gtsv_spike_block_level_kernelILj256ELj64EdEEviiiPT1_PKS1_S4_S2_S2_S2_S2_S2_
                                        ; -- End function
	.set _ZN9rocsparseL29gtsv_spike_block_level_kernelILj256ELj64EdEEviiiPT1_PKS1_S4_S2_S2_S2_S2_S2_.num_vgpr, 43
	.set _ZN9rocsparseL29gtsv_spike_block_level_kernelILj256ELj64EdEEviiiPT1_PKS1_S4_S2_S2_S2_S2_S2_.num_agpr, 0
	.set _ZN9rocsparseL29gtsv_spike_block_level_kernelILj256ELj64EdEEviiiPT1_PKS1_S4_S2_S2_S2_S2_S2_.numbered_sgpr, 24
	.set _ZN9rocsparseL29gtsv_spike_block_level_kernelILj256ELj64EdEEviiiPT1_PKS1_S4_S2_S2_S2_S2_S2_.num_named_barrier, 0
	.set _ZN9rocsparseL29gtsv_spike_block_level_kernelILj256ELj64EdEEviiiPT1_PKS1_S4_S2_S2_S2_S2_S2_.private_seg_size, 0
	.set _ZN9rocsparseL29gtsv_spike_block_level_kernelILj256ELj64EdEEviiiPT1_PKS1_S4_S2_S2_S2_S2_S2_.uses_vcc, 1
	.set _ZN9rocsparseL29gtsv_spike_block_level_kernelILj256ELj64EdEEviiiPT1_PKS1_S4_S2_S2_S2_S2_S2_.uses_flat_scratch, 0
	.set _ZN9rocsparseL29gtsv_spike_block_level_kernelILj256ELj64EdEEviiiPT1_PKS1_S4_S2_S2_S2_S2_S2_.has_dyn_sized_stack, 0
	.set _ZN9rocsparseL29gtsv_spike_block_level_kernelILj256ELj64EdEEviiiPT1_PKS1_S4_S2_S2_S2_S2_S2_.has_recursion, 0
	.set _ZN9rocsparseL29gtsv_spike_block_level_kernelILj256ELj64EdEEviiiPT1_PKS1_S4_S2_S2_S2_S2_S2_.has_indirect_call, 0
	.section	.AMDGPU.csdata,"",@progbits
; Kernel info:
; codeLenInByte = 4028
; TotalNumSgprs: 30
; NumVgprs: 43
; NumAgprs: 0
; TotalNumVgprs: 43
; ScratchSize: 0
; MemoryBound: 0
; FloatMode: 240
; IeeeMode: 1
; LDSByteSize: 12288 bytes/workgroup (compile time only)
; SGPRBlocks: 3
; VGPRBlocks: 5
; NumSGPRsForWavesPerEU: 30
; NumVGPRsForWavesPerEU: 43
; AccumOffset: 44
; Occupancy: 8
; WaveLimiterHint : 0
; COMPUTE_PGM_RSRC2:SCRATCH_EN: 0
; COMPUTE_PGM_RSRC2:USER_SGPR: 2
; COMPUTE_PGM_RSRC2:TRAP_HANDLER: 0
; COMPUTE_PGM_RSRC2:TGID_X_EN: 1
; COMPUTE_PGM_RSRC2:TGID_Y_EN: 1
; COMPUTE_PGM_RSRC2:TGID_Z_EN: 0
; COMPUTE_PGM_RSRC2:TIDIG_COMP_CNT: 0
; COMPUTE_PGM_RSRC3_GFX90A:ACCUM_OFFSET: 10
; COMPUTE_PGM_RSRC3_GFX90A:TG_SPLIT: 0
	.section	.text._ZN9rocsparseL33gtsv_solve_spike_propagate_kernelILj256ELj64EdEEviiiPT1_PKS1_S4_S4_,"axG",@progbits,_ZN9rocsparseL33gtsv_solve_spike_propagate_kernelILj256ELj64EdEEviiiPT1_PKS1_S4_S4_,comdat
	.globl	_ZN9rocsparseL33gtsv_solve_spike_propagate_kernelILj256ELj64EdEEviiiPT1_PKS1_S4_S4_ ; -- Begin function _ZN9rocsparseL33gtsv_solve_spike_propagate_kernelILj256ELj64EdEEviiiPT1_PKS1_S4_S4_
	.p2align	8
	.type	_ZN9rocsparseL33gtsv_solve_spike_propagate_kernelILj256ELj64EdEEviiiPT1_PKS1_S4_S4_,@function
_ZN9rocsparseL33gtsv_solve_spike_propagate_kernelILj256ELj64EdEEviiiPT1_PKS1_S4_S4_: ; @_ZN9rocsparseL33gtsv_solve_spike_propagate_kernelILj256ELj64EdEEviiiPT1_PKS1_S4_S4_
; %bb.0:
	s_load_dword s8, s[0:1], 0x0
	v_lshl_or_b32 v2, s2, 8, v0
	v_mov_b64_e32 v[4:5], 0
	v_ashrrev_i32_e32 v3, 31, v2
	v_mov_b64_e32 v[6:7], 0
	s_waitcnt lgkmcnt(0)
	s_lshr_b32 s14, s8, 6
	v_cmp_le_i32_e64 s[4:5], s14, v2
	v_cmp_gt_i32_e32 vcc, s14, v2
	s_and_saveexec_b64 s[6:7], vcc
	s_cbranch_execz .LBB155_2
; %bb.1:
	s_load_dwordx2 s[10:11], s[0:1], 0x18
	v_mad_u64_u32 v[4:5], s[12:13], s14, 63, v[2:3]
	v_mov_b32_e32 v5, 0
	s_waitcnt lgkmcnt(0)
	v_lshl_add_u64 v[8:9], v[2:3], 3, s[10:11]
	v_lshl_add_u64 v[10:11], v[4:5], 3, s[10:11]
	global_load_dwordx2 v[4:5], v[8:9], off
	global_load_dwordx2 v[6:7], v[10:11], off
.LBB155_2:
	s_or_b64 exec, exec, s[6:7]
	s_load_dwordx2 s[6:7], s[0:1], 0x10
	v_lshlrev_b32_e32 v1, 3, v0
	v_add_u32_e32 v8, 16, v1
	s_waitcnt vmcnt(0)
	ds_write2st64_b64 v8, v[4:5], v[6:7] offset0:16 offset1:20
	s_and_saveexec_b64 s[10:11], s[4:5]
	s_xor_b64 s[4:5], exec, s[10:11]
; %bb.3:
	s_mov_b32 s10, 0
	s_mov_b32 s11, s10
	v_mov_b64_e32 v[4:5], s[10:11]
	ds_write2st64_b64 v8, v[4:5], v[4:5] offset0:8 offset1:12
; %bb.4:
	s_or_saveexec_b64 s[4:5], s[4:5]
	v_mov_b64_e32 v[4:5], 0
	s_mul_i32 s8, s8, s3
	v_mov_b64_e32 v[6:7], 0
	s_xor_b64 exec, exec, s[4:5]
	s_cbranch_execz .LBB155_6
; %bb.5:
	s_load_dwordx2 s[10:11], s[0:1], 0x20
	v_mad_u64_u32 v[6:7], s[12:13], s14, 63, v[2:3]
	v_mov_b32_e32 v7, 0
	s_waitcnt lgkmcnt(0)
	v_lshl_add_u64 v[10:11], v[6:7], 3, s[10:11]
	v_add_u32_e32 v6, s8, v6
	v_lshl_add_u64 v[8:9], v[2:3], 3, s[10:11]
	v_lshl_add_u64 v[6:7], v[6:7], 3, s[6:7]
	global_load_dwordx2 v[12:13], v[8:9], off
	global_load_dwordx2 v[14:15], v[10:11], off
	v_add_u32_e32 v3, 16, v1
	global_load_dwordx2 v[6:7], v[6:7], off
	s_waitcnt vmcnt(1)
	ds_write2st64_b64 v3, v[12:13], v[14:15] offset0:8 offset1:12
.LBB155_6:
	s_or_b64 exec, exec, s[4:5]
	v_add_u32_e32 v2, s8, v2
	s_waitcnt vmcnt(0)
	ds_write_b64 v1, v[6:7] offset:8
	s_and_saveexec_b64 s[4:5], vcc
	s_cbranch_execz .LBB155_8
; %bb.7:
	v_ashrrev_i32_e32 v3, 31, v2
	s_waitcnt lgkmcnt(0)
	v_lshl_add_u64 v[4:5], v[2:3], 3, s[6:7]
	global_load_dwordx2 v[4:5], v[4:5], off
.LBB155_8:
	s_or_b64 exec, exec, s[4:5]
	v_cmp_eq_u32_e64 s[4:5], 0, v0
	s_waitcnt vmcnt(0)
	ds_write_b64 v1, v[4:5] offset:2056
	s_waitcnt lgkmcnt(0)
	s_barrier
	s_and_saveexec_b64 s[8:9], s[4:5]
	s_cbranch_execz .LBB155_14
; %bb.9:
	s_load_dword s15, s[0:1], 0x30
	s_load_dwordx2 s[10:11], s[0:1], 0x28
	s_cmp_lt_i32 s2, 1
	s_mov_b64 s[0:1], 0
	s_mov_b64 s[12:13], 0
	s_waitcnt lgkmcnt(0)
	s_mul_i32 s3, s3, s15
	s_cbranch_scc1 .LBB155_11
; %bb.10:
	s_lshl_b32 s12, s3, 1
	s_add_i32 s13, s2, s15
	s_add_i32 s12, s13, s12
	s_add_i32 s12, s12, -1
	s_mov_b32 s13, 0
	s_lshl_b64 s[12:13], s[12:13], 3
	s_add_u32 s12, s10, s12
	s_addc_u32 s13, s11, s13
	s_load_dwordx2 s[12:13], s[12:13], 0x0
.LBB155_11:
	s_waitcnt lgkmcnt(0)
	v_mov_b64_e32 v[4:5], s[12:13]
	s_add_i32 s12, s15, -1
	v_mov_b32_e32 v3, 0
	s_cmp_ge_u32 s2, s12
	ds_write_b64 v3, v[4:5]
	s_cbranch_scc1 .LBB155_13
; %bb.12:
	s_lshl_b32 s0, s3, 1
	s_add_i32 s0, s2, s0
	s_add_i32 s0, s0, 1
	s_mov_b32 s1, 0
	s_lshl_b64 s[0:1], s[0:1], 3
	s_add_u32 s0, s10, s0
	s_addc_u32 s1, s11, s1
	s_load_dwordx2 s[0:1], s[0:1], 0x0
.LBB155_13:
	s_lshl_b32 s3, s3, 1
	s_add_i32 s2, s3, s2
	s_mov_b32 s3, 0
	s_lshl_b64 s[12:13], s[2:3], 3
	s_add_u32 s12, s10, s12
	s_addc_u32 s13, s11, s13
	s_add_i32 s2, s2, s15
	s_lshl_b64 s[2:3], s[2:3], 3
	s_add_u32 s2, s10, s2
	s_addc_u32 s3, s11, s3
	s_load_dwordx2 s[10:11], s[2:3], 0x0
	s_load_dwordx2 s[16:17], s[12:13], 0x0
	s_waitcnt lgkmcnt(0)
	v_mov_b64_e32 v[4:5], s[0:1]
	ds_write_b64 v3, v[4:5] offset:4104
	v_mov_b32_e32 v4, s10
	v_mov_b32_e32 v5, s11
	;; [unrolled: 1-line block ×4, first 2 shown]
	ds_write_b128 v3, v[4:7] offset:2048
.LBB155_14:
	s_or_b64 exec, exec, s[8:9]
	s_waitcnt lgkmcnt(0)
	s_barrier
	s_and_saveexec_b64 s[0:1], s[4:5]
	s_cbranch_execz .LBB155_16
; %bb.15:
	s_movk_i32 s2, 0x1410
	v_mov_b32_e32 v3, 0
	v_add_u32_e64 v8, s2, 0
	v_add_u32_e64 v12, 8, 0
	s_movk_i32 s2, 0x2410
	ds_read2st64_b64 v[4:7], v3 offset1:2
	ds_read2_b64 v[8:11], v8 offset1:255
	ds_read2st64_b64 v[12:15], v12 offset0:6 offset1:8
	v_add_u32_e64 v16, s2, 0
	ds_read2_b64 v[16:19], v16 offset1:255
	s_waitcnt lgkmcnt(1)
	v_fma_f64 v[6:7], -v[10:11], v[14:15], v[6:7]
	s_waitcnt lgkmcnt(0)
	v_fma_f64 v[6:7], -v[18:19], v[4:5], v[6:7]
	ds_write_b64 v3, v[6:7] offset:1024
	v_fma_f64 v[6:7], -v[8:9], v[14:15], v[12:13]
	v_fma_f64 v[4:5], -v[16:17], v[4:5], v[6:7]
	ds_write_b64 v3, v[4:5] offset:3080
.LBB155_16:
	s_or_b64 exec, exec, s[0:1]
	v_cmp_gt_u32_e64 s[0:1], 2, v0
	s_waitcnt lgkmcnt(0)
	s_barrier
	s_and_saveexec_b64 s[2:3], s[0:1]
	s_cbranch_execz .LBB155_18
; %bb.17:
	s_movk_i32 s0, 0x3f8
	v_mad_u32_u24 v3, v0, s0, v1
	v_lshlrev_b32_e32 v16, 10, v0
	v_add_u32_e32 v8, 0x1210, v16
	v_add_u32_e32 v12, 8, v3
	ds_read2st64_b64 v[4:7], v3 offset1:1
	ds_read2_b64 v[8:11], v8 offset1:255
	ds_read2st64_b64 v[12:15], v12 offset0:5 offset1:6
	v_add_u32_e32 v16, 0x2210, v16
	ds_read2_b64 v[16:19], v16 offset1:255
	s_waitcnt lgkmcnt(1)
	v_fma_f64 v[6:7], -v[10:11], v[14:15], v[6:7]
	s_waitcnt lgkmcnt(0)
	v_fma_f64 v[6:7], -v[18:19], v[4:5], v[6:7]
	ds_write_b64 v3, v[6:7] offset:512
	v_fma_f64 v[6:7], -v[8:9], v[14:15], v[12:13]
	v_fma_f64 v[4:5], -v[16:17], v[4:5], v[6:7]
	ds_write_b64 v3, v[4:5] offset:2568
.LBB155_18:
	s_or_b64 exec, exec, s[2:3]
	v_cmp_gt_u32_e64 s[0:1], 4, v0
	s_waitcnt lgkmcnt(0)
	s_barrier
	s_and_saveexec_b64 s[2:3], s[0:1]
	s_cbranch_execz .LBB155_20
; %bb.19:
	v_lshlrev_b32_e32 v3, 9, v0
	v_add_u32_e32 v8, 0x1110, v3
	v_add_u32_e32 v12, 0x800, v3
	ds_read2_b64 v[4:7], v3 offset1:32
	ds_read2_b64 v[8:11], v8 offset1:255
	ds_read2_b64 v[12:15], v12 offset0:33 offset1:65
	v_add_u32_e32 v16, 0x2110, v3
	ds_read2_b64 v[16:19], v16 offset1:255
	s_waitcnt lgkmcnt(1)
	v_fma_f64 v[6:7], -v[10:11], v[14:15], v[6:7]
	s_waitcnt lgkmcnt(0)
	v_fma_f64 v[6:7], -v[18:19], v[4:5], v[6:7]
	ds_write_b64 v3, v[6:7] offset:256
	v_fma_f64 v[6:7], -v[8:9], v[14:15], v[12:13]
	v_fma_f64 v[4:5], -v[16:17], v[4:5], v[6:7]
	ds_write_b64 v3, v[4:5] offset:2312
.LBB155_20:
	s_or_b64 exec, exec, s[2:3]
	v_cmp_gt_u32_e64 s[0:1], 8, v0
	s_waitcnt lgkmcnt(0)
	s_barrier
	s_and_saveexec_b64 s[2:3], s[0:1]
	s_cbranch_execz .LBB155_22
; %bb.21:
	v_lshlrev_b32_e32 v3, 8, v0
	v_add_u32_e32 v8, 0x1090, v3
	v_add_u32_e32 v12, 0x800, v3
	ds_read2_b64 v[4:7], v3 offset1:16
	ds_read2_b64 v[8:11], v8 offset1:255
	ds_read2_b64 v[12:15], v12 offset0:17 offset1:33
	v_add_u32_e32 v16, 0x2090, v3
	ds_read2_b64 v[16:19], v16 offset1:255
	s_waitcnt lgkmcnt(1)
	v_fma_f64 v[6:7], -v[10:11], v[14:15], v[6:7]
	s_waitcnt lgkmcnt(0)
	v_fma_f64 v[6:7], -v[18:19], v[4:5], v[6:7]
	ds_write_b64 v3, v[6:7] offset:128
	v_fma_f64 v[6:7], -v[8:9], v[14:15], v[12:13]
	v_fma_f64 v[4:5], -v[16:17], v[4:5], v[6:7]
	ds_write_b64 v3, v[4:5] offset:2184
.LBB155_22:
	;; [unrolled: 24-line block ×5, first 2 shown]
	s_or_b64 exec, exec, s[2:3]
	s_movk_i32 s0, 0x80
	v_cmp_gt_u32_e64 s[0:1], s0, v0
	s_waitcnt lgkmcnt(0)
	s_barrier
	s_and_saveexec_b64 s[2:3], s[0:1]
	s_cbranch_execz .LBB155_30
; %bb.29:
	v_lshlrev_b32_e32 v0, 4, v0
	v_add_u32_e32 v3, 0x1018, v0
	ds_read2_b64 v[4:7], v3 offset1:255
	ds_read_b128 v[8:11], v0
	ds_read_b128 v[12:15], v0 offset:2064
	v_add_u32_e32 v3, 0x2018, v0
	ds_read2_b64 v[16:19], v3 offset1:255
	s_waitcnt lgkmcnt(1)
	v_fma_f64 v[6:7], -v[6:7], v[14:15], v[10:11]
	v_fma_f64 v[4:5], -v[4:5], v[14:15], v[12:13]
	s_waitcnt lgkmcnt(0)
	v_fma_f64 v[6:7], -v[18:19], v[8:9], v[6:7]
	v_fma_f64 v[4:5], -v[16:17], v[8:9], v[4:5]
	ds_write_b64 v0, v[6:7] offset:8
	ds_write_b64 v0, v[4:5] offset:2064
.LBB155_30:
	s_or_b64 exec, exec, s[2:3]
	s_waitcnt lgkmcnt(0)
	s_barrier
	s_and_saveexec_b64 s[0:1], vcc
	s_cbranch_execz .LBB155_32
; %bb.31:
	v_add_u32_e32 v0, 8, v1
	ds_read2st64_b64 v[4:7], v0 offset1:4
	v_ashrrev_i32_e32 v3, 31, v2
	v_lshl_add_u64 v[0:1], v[2:3], 3, s[6:7]
	v_mad_u64_u32 v[2:3], s[0:1], s14, 63, v[2:3]
	v_mov_b32_e32 v3, 0
	s_waitcnt lgkmcnt(0)
	global_store_dwordx2 v[0:1], v[6:7], off
	v_lshl_add_u64 v[0:1], v[2:3], 3, s[6:7]
	global_store_dwordx2 v[0:1], v[4:5], off
.LBB155_32:
	s_endpgm
	.section	.rodata,"a",@progbits
	.p2align	6, 0x0
	.amdhsa_kernel _ZN9rocsparseL33gtsv_solve_spike_propagate_kernelILj256ELj64EdEEviiiPT1_PKS1_S4_S4_
		.amdhsa_group_segment_fixed_size 12304
		.amdhsa_private_segment_fixed_size 0
		.amdhsa_kernarg_size 304
		.amdhsa_user_sgpr_count 2
		.amdhsa_user_sgpr_dispatch_ptr 0
		.amdhsa_user_sgpr_queue_ptr 0
		.amdhsa_user_sgpr_kernarg_segment_ptr 1
		.amdhsa_user_sgpr_dispatch_id 0
		.amdhsa_user_sgpr_kernarg_preload_length 0
		.amdhsa_user_sgpr_kernarg_preload_offset 0
		.amdhsa_user_sgpr_private_segment_size 0
		.amdhsa_uses_dynamic_stack 0
		.amdhsa_enable_private_segment 0
		.amdhsa_system_sgpr_workgroup_id_x 1
		.amdhsa_system_sgpr_workgroup_id_y 1
		.amdhsa_system_sgpr_workgroup_id_z 0
		.amdhsa_system_sgpr_workgroup_info 0
		.amdhsa_system_vgpr_workitem_id 0
		.amdhsa_next_free_vgpr 20
		.amdhsa_next_free_sgpr 18
		.amdhsa_accum_offset 20
		.amdhsa_reserve_vcc 1
		.amdhsa_float_round_mode_32 0
		.amdhsa_float_round_mode_16_64 0
		.amdhsa_float_denorm_mode_32 3
		.amdhsa_float_denorm_mode_16_64 3
		.amdhsa_dx10_clamp 1
		.amdhsa_ieee_mode 1
		.amdhsa_fp16_overflow 0
		.amdhsa_tg_split 0
		.amdhsa_exception_fp_ieee_invalid_op 0
		.amdhsa_exception_fp_denorm_src 0
		.amdhsa_exception_fp_ieee_div_zero 0
		.amdhsa_exception_fp_ieee_overflow 0
		.amdhsa_exception_fp_ieee_underflow 0
		.amdhsa_exception_fp_ieee_inexact 0
		.amdhsa_exception_int_div_zero 0
	.end_amdhsa_kernel
	.section	.text._ZN9rocsparseL33gtsv_solve_spike_propagate_kernelILj256ELj64EdEEviiiPT1_PKS1_S4_S4_,"axG",@progbits,_ZN9rocsparseL33gtsv_solve_spike_propagate_kernelILj256ELj64EdEEviiiPT1_PKS1_S4_S4_,comdat
.Lfunc_end155:
	.size	_ZN9rocsparseL33gtsv_solve_spike_propagate_kernelILj256ELj64EdEEviiiPT1_PKS1_S4_S4_, .Lfunc_end155-_ZN9rocsparseL33gtsv_solve_spike_propagate_kernelILj256ELj64EdEEviiiPT1_PKS1_S4_S4_
                                        ; -- End function
	.set _ZN9rocsparseL33gtsv_solve_spike_propagate_kernelILj256ELj64EdEEviiiPT1_PKS1_S4_S4_.num_vgpr, 20
	.set _ZN9rocsparseL33gtsv_solve_spike_propagate_kernelILj256ELj64EdEEviiiPT1_PKS1_S4_S4_.num_agpr, 0
	.set _ZN9rocsparseL33gtsv_solve_spike_propagate_kernelILj256ELj64EdEEviiiPT1_PKS1_S4_S4_.numbered_sgpr, 18
	.set _ZN9rocsparseL33gtsv_solve_spike_propagate_kernelILj256ELj64EdEEviiiPT1_PKS1_S4_S4_.num_named_barrier, 0
	.set _ZN9rocsparseL33gtsv_solve_spike_propagate_kernelILj256ELj64EdEEviiiPT1_PKS1_S4_S4_.private_seg_size, 0
	.set _ZN9rocsparseL33gtsv_solve_spike_propagate_kernelILj256ELj64EdEEviiiPT1_PKS1_S4_S4_.uses_vcc, 1
	.set _ZN9rocsparseL33gtsv_solve_spike_propagate_kernelILj256ELj64EdEEviiiPT1_PKS1_S4_S4_.uses_flat_scratch, 0
	.set _ZN9rocsparseL33gtsv_solve_spike_propagate_kernelILj256ELj64EdEEviiiPT1_PKS1_S4_S4_.has_dyn_sized_stack, 0
	.set _ZN9rocsparseL33gtsv_solve_spike_propagate_kernelILj256ELj64EdEEviiiPT1_PKS1_S4_S4_.has_recursion, 0
	.set _ZN9rocsparseL33gtsv_solve_spike_propagate_kernelILj256ELj64EdEEviiiPT1_PKS1_S4_S4_.has_indirect_call, 0
	.section	.AMDGPU.csdata,"",@progbits
; Kernel info:
; codeLenInByte = 1868
; TotalNumSgprs: 24
; NumVgprs: 20
; NumAgprs: 0
; TotalNumVgprs: 20
; ScratchSize: 0
; MemoryBound: 0
; FloatMode: 240
; IeeeMode: 1
; LDSByteSize: 12304 bytes/workgroup (compile time only)
; SGPRBlocks: 2
; VGPRBlocks: 2
; NumSGPRsForWavesPerEU: 24
; NumVGPRsForWavesPerEU: 20
; AccumOffset: 20
; Occupancy: 8
; WaveLimiterHint : 0
; COMPUTE_PGM_RSRC2:SCRATCH_EN: 0
; COMPUTE_PGM_RSRC2:USER_SGPR: 2
; COMPUTE_PGM_RSRC2:TRAP_HANDLER: 0
; COMPUTE_PGM_RSRC2:TGID_X_EN: 1
; COMPUTE_PGM_RSRC2:TGID_Y_EN: 1
; COMPUTE_PGM_RSRC2:TGID_Z_EN: 0
; COMPUTE_PGM_RSRC2:TIDIG_COMP_CNT: 0
; COMPUTE_PGM_RSRC3_GFX90A:ACCUM_OFFSET: 4
; COMPUTE_PGM_RSRC3_GFX90A:TG_SPLIT: 0
	.section	.text._ZN9rocsparseL39gtsv_spike_backward_substitution_kernelILj256ELj64EdEEviiiPT1_PKS1_S4_,"axG",@progbits,_ZN9rocsparseL39gtsv_spike_backward_substitution_kernelILj256ELj64EdEEviiiPT1_PKS1_S4_,comdat
	.globl	_ZN9rocsparseL39gtsv_spike_backward_substitution_kernelILj256ELj64EdEEviiiPT1_PKS1_S4_ ; -- Begin function _ZN9rocsparseL39gtsv_spike_backward_substitution_kernelILj256ELj64EdEEviiiPT1_PKS1_S4_
	.p2align	8
	.type	_ZN9rocsparseL39gtsv_spike_backward_substitution_kernelILj256ELj64EdEEviiiPT1_PKS1_S4_,@function
_ZN9rocsparseL39gtsv_spike_backward_substitution_kernelILj256ELj64EdEEviiiPT1_PKS1_S4_: ; @_ZN9rocsparseL39gtsv_spike_backward_substitution_kernelILj256ELj64EdEEviiiPT1_PKS1_S4_
; %bb.0:
	s_load_dword s6, s[0:1], 0x0
	s_lshl_b32 s10, s2, 8
	v_or_b32_e32 v6, s10, v0
	s_waitcnt lgkmcnt(0)
	s_lshr_b32 s11, s6, 6
	v_cmp_gt_i32_e32 vcc, s11, v6
	s_and_saveexec_b64 s[4:5], vcc
	s_cbranch_execz .LBB156_7
; %bb.1:
	s_load_dwordx2 s[8:9], s[0:1], 0x10
	v_cmp_lt_i32_e32 vcc, 0, v6
	v_mov_b64_e32 v[2:3], 0
	s_mul_i32 s2, s6, s3
	s_and_saveexec_b64 s[4:5], vcc
	s_cbranch_execz .LBB156_3
; %bb.2:
	s_mul_i32 s7, s11, 63
	s_mul_i32 s3, s6, s3
	s_add_i32 s7, s7, s3
	v_add3_u32 v2, v6, s7, -1
	v_mov_b32_e32 v3, 0
	s_waitcnt lgkmcnt(0)
	v_lshl_add_u64 v[2:3], v[2:3], 3, s[8:9]
	global_load_dwordx2 v[2:3], v[2:3], off
.LBB156_3:
	s_or_b64 exec, exec, s[4:5]
	v_add_u32_e32 v1, 64, v6
	v_cmp_le_u32_e32 vcc, s6, v1
	s_and_saveexec_b64 s[4:5], vcc
	s_xor_b64 s[4:5], exec, s[4:5]
	s_or_saveexec_b64 s[4:5], s[4:5]
	v_mov_b64_e32 v[4:5], 0
	v_mov_b32_e32 v8, s2
	s_xor_b64 exec, exec, s[4:5]
	s_cbranch_execz .LBB156_5
; %bb.4:
	s_ashr_i32 s3, s2, 31
	v_ashrrev_i32_e32 v7, 31, v6
	v_lshl_add_u64 v[4:5], v[6:7], 0, s[2:3]
	s_waitcnt lgkmcnt(0)
	v_lshl_add_u64 v[4:5], v[4:5], 3, s[8:9]
	global_load_dwordx2 v[4:5], v[4:5], off offset:8
	v_mov_b32_e32 v8, s2
.LBB156_5:
	s_or_b64 exec, exec, s[4:5]
	s_load_dwordx4 s[4:7], s[0:1], 0x18
	s_lshl_b32 s0, s11, 1
	s_add_i32 s10, s10, s11
	v_add_u32_e32 v6, s0, v6
	v_add_u32_e32 v0, s10, v0
	s_mov_b32 s1, 62
.LBB156_6:                              ; =>This Inner Loop Header: Depth=1
	v_add_u32_e32 v10, v8, v0
	v_ashrrev_i32_e32 v1, 31, v0
	v_ashrrev_i32_e32 v11, 31, v10
	v_lshlrev_b64 v[12:13], 3, v[0:1]
	s_waitcnt lgkmcnt(0)
	v_lshl_add_u64 v[10:11], v[10:11], 3, s[8:9]
	v_lshl_add_u64 v[14:15], s[4:5], 0, v[12:13]
	;; [unrolled: 1-line block ×3, first 2 shown]
	global_load_dwordx2 v[16:17], v[10:11], off
	global_load_dwordx2 v[18:19], v[14:15], off
	;; [unrolled: 1-line block ×3, first 2 shown]
	v_ashrrev_i32_e32 v7, 31, v6
	v_add_u32_e32 v12, v8, v6
	v_lshlrev_b64 v[14:15], 3, v[6:7]
	v_ashrrev_i32_e32 v13, 31, v12
	v_lshl_add_u64 v[22:23], s[4:5], 0, v[14:15]
	v_lshl_add_u64 v[12:13], v[12:13], 3, s[8:9]
	global_load_dwordx2 v[22:23], v[22:23], off
	v_lshl_add_u64 v[14:15], s[6:7], 0, v[14:15]
	s_add_i32 s1, s1, -2
	v_add_u32_e32 v6, s0, v6
	v_add_u32_e32 v0, s0, v0
	s_cmp_lg_u32 s1, 0
	s_waitcnt vmcnt(2)
	v_fma_f64 v[16:17], -v[2:3], v[18:19], v[16:17]
	s_waitcnt vmcnt(1)
	v_fma_f64 v[16:17], -v[4:5], v[20:21], v[16:17]
	global_store_dwordx2 v[10:11], v[16:17], off
	global_load_dwordx2 v[10:11], v[12:13], off
	s_nop 0
	global_load_dwordx2 v[16:17], v[14:15], off
	s_waitcnt vmcnt(1)
	v_fma_f64 v[10:11], -v[2:3], v[22:23], v[10:11]
	s_waitcnt vmcnt(0)
	v_fma_f64 v[10:11], -v[4:5], v[16:17], v[10:11]
	global_store_dwordx2 v[12:13], v[10:11], off
	s_cbranch_scc1 .LBB156_6
.LBB156_7:
	s_endpgm
	.section	.rodata,"a",@progbits
	.p2align	6, 0x0
	.amdhsa_kernel _ZN9rocsparseL39gtsv_spike_backward_substitution_kernelILj256ELj64EdEEviiiPT1_PKS1_S4_
		.amdhsa_group_segment_fixed_size 0
		.amdhsa_private_segment_fixed_size 0
		.amdhsa_kernarg_size 40
		.amdhsa_user_sgpr_count 2
		.amdhsa_user_sgpr_dispatch_ptr 0
		.amdhsa_user_sgpr_queue_ptr 0
		.amdhsa_user_sgpr_kernarg_segment_ptr 1
		.amdhsa_user_sgpr_dispatch_id 0
		.amdhsa_user_sgpr_kernarg_preload_length 0
		.amdhsa_user_sgpr_kernarg_preload_offset 0
		.amdhsa_user_sgpr_private_segment_size 0
		.amdhsa_uses_dynamic_stack 0
		.amdhsa_enable_private_segment 0
		.amdhsa_system_sgpr_workgroup_id_x 1
		.amdhsa_system_sgpr_workgroup_id_y 1
		.amdhsa_system_sgpr_workgroup_id_z 0
		.amdhsa_system_sgpr_workgroup_info 0
		.amdhsa_system_vgpr_workitem_id 0
		.amdhsa_next_free_vgpr 24
		.amdhsa_next_free_sgpr 12
		.amdhsa_accum_offset 24
		.amdhsa_reserve_vcc 1
		.amdhsa_float_round_mode_32 0
		.amdhsa_float_round_mode_16_64 0
		.amdhsa_float_denorm_mode_32 3
		.amdhsa_float_denorm_mode_16_64 3
		.amdhsa_dx10_clamp 1
		.amdhsa_ieee_mode 1
		.amdhsa_fp16_overflow 0
		.amdhsa_tg_split 0
		.amdhsa_exception_fp_ieee_invalid_op 0
		.amdhsa_exception_fp_denorm_src 0
		.amdhsa_exception_fp_ieee_div_zero 0
		.amdhsa_exception_fp_ieee_overflow 0
		.amdhsa_exception_fp_ieee_underflow 0
		.amdhsa_exception_fp_ieee_inexact 0
		.amdhsa_exception_int_div_zero 0
	.end_amdhsa_kernel
	.section	.text._ZN9rocsparseL39gtsv_spike_backward_substitution_kernelILj256ELj64EdEEviiiPT1_PKS1_S4_,"axG",@progbits,_ZN9rocsparseL39gtsv_spike_backward_substitution_kernelILj256ELj64EdEEviiiPT1_PKS1_S4_,comdat
.Lfunc_end156:
	.size	_ZN9rocsparseL39gtsv_spike_backward_substitution_kernelILj256ELj64EdEEviiiPT1_PKS1_S4_, .Lfunc_end156-_ZN9rocsparseL39gtsv_spike_backward_substitution_kernelILj256ELj64EdEEviiiPT1_PKS1_S4_
                                        ; -- End function
	.set _ZN9rocsparseL39gtsv_spike_backward_substitution_kernelILj256ELj64EdEEviiiPT1_PKS1_S4_.num_vgpr, 24
	.set _ZN9rocsparseL39gtsv_spike_backward_substitution_kernelILj256ELj64EdEEviiiPT1_PKS1_S4_.num_agpr, 0
	.set _ZN9rocsparseL39gtsv_spike_backward_substitution_kernelILj256ELj64EdEEviiiPT1_PKS1_S4_.numbered_sgpr, 12
	.set _ZN9rocsparseL39gtsv_spike_backward_substitution_kernelILj256ELj64EdEEviiiPT1_PKS1_S4_.num_named_barrier, 0
	.set _ZN9rocsparseL39gtsv_spike_backward_substitution_kernelILj256ELj64EdEEviiiPT1_PKS1_S4_.private_seg_size, 0
	.set _ZN9rocsparseL39gtsv_spike_backward_substitution_kernelILj256ELj64EdEEviiiPT1_PKS1_S4_.uses_vcc, 1
	.set _ZN9rocsparseL39gtsv_spike_backward_substitution_kernelILj256ELj64EdEEviiiPT1_PKS1_S4_.uses_flat_scratch, 0
	.set _ZN9rocsparseL39gtsv_spike_backward_substitution_kernelILj256ELj64EdEEviiiPT1_PKS1_S4_.has_dyn_sized_stack, 0
	.set _ZN9rocsparseL39gtsv_spike_backward_substitution_kernelILj256ELj64EdEEviiiPT1_PKS1_S4_.has_recursion, 0
	.set _ZN9rocsparseL39gtsv_spike_backward_substitution_kernelILj256ELj64EdEEviiiPT1_PKS1_S4_.has_indirect_call, 0
	.section	.AMDGPU.csdata,"",@progbits
; Kernel info:
; codeLenInByte = 452
; TotalNumSgprs: 18
; NumVgprs: 24
; NumAgprs: 0
; TotalNumVgprs: 24
; ScratchSize: 0
; MemoryBound: 0
; FloatMode: 240
; IeeeMode: 1
; LDSByteSize: 0 bytes/workgroup (compile time only)
; SGPRBlocks: 2
; VGPRBlocks: 2
; NumSGPRsForWavesPerEU: 18
; NumVGPRsForWavesPerEU: 24
; AccumOffset: 24
; Occupancy: 8
; WaveLimiterHint : 0
; COMPUTE_PGM_RSRC2:SCRATCH_EN: 0
; COMPUTE_PGM_RSRC2:USER_SGPR: 2
; COMPUTE_PGM_RSRC2:TRAP_HANDLER: 0
; COMPUTE_PGM_RSRC2:TGID_X_EN: 1
; COMPUTE_PGM_RSRC2:TGID_Y_EN: 1
; COMPUTE_PGM_RSRC2:TGID_Z_EN: 0
; COMPUTE_PGM_RSRC2:TIDIG_COMP_CNT: 0
; COMPUTE_PGM_RSRC3_GFX90A:ACCUM_OFFSET: 5
; COMPUTE_PGM_RSRC3_GFX90A:TG_SPLIT: 0
	.section	.text._ZN9rocsparseL32gtsv_transpose_back_array_kernelILj256ELj64EdEEviiiPKT1_PS1_,"axG",@progbits,_ZN9rocsparseL32gtsv_transpose_back_array_kernelILj256ELj64EdEEviiiPKT1_PS1_,comdat
	.globl	_ZN9rocsparseL32gtsv_transpose_back_array_kernelILj256ELj64EdEEviiiPKT1_PS1_ ; -- Begin function _ZN9rocsparseL32gtsv_transpose_back_array_kernelILj256ELj64EdEEviiiPKT1_PS1_
	.p2align	8
	.type	_ZN9rocsparseL32gtsv_transpose_back_array_kernelILj256ELj64EdEEviiiPKT1_PS1_,@function
_ZN9rocsparseL32gtsv_transpose_back_array_kernelILj256ELj64EdEEviiiPKT1_PS1_: ; @_ZN9rocsparseL32gtsv_transpose_back_array_kernelILj256ELj64EdEEviiiPKT1_PS1_
; %bb.0:
	s_load_dwordx4 s[4:7], s[0:1], 0x0
	v_lshl_or_b32 v0, s2, 8, v0
	v_lshlrev_b32_e32 v2, 6, v0
	s_waitcnt lgkmcnt(0)
	v_cvt_f32_u32_e32 v1, s5
	s_sub_i32 s2, 0, s5
	v_rcp_iflag_f32_e32 v1, v1
	s_nop 0
	v_mul_f32_e32 v1, 0x4f7ffffe, v1
	v_cvt_u32_f32_e32 v1, v1
	v_mul_lo_u32 v3, s2, v1
	v_mul_hi_u32 v3, v1, v3
	v_add_u32_e32 v1, v1, v3
	v_mul_hi_u32 v1, v2, v1
	v_mul_lo_u32 v3, v1, s5
	v_sub_u32_e32 v3, v2, v3
	v_add_u32_e32 v4, 1, v1
	v_cmp_le_u32_e32 vcc, s5, v3
	s_nop 1
	v_cndmask_b32_e32 v1, v1, v4, vcc
	v_subrev_u32_e32 v4, s5, v3
	v_cndmask_b32_e32 v3, v3, v4, vcc
	v_add_u32_e32 v4, 1, v1
	v_cmp_le_u32_e32 vcc, s5, v3
	s_nop 1
	v_cndmask_b32_e32 v1, v1, v4, vcc
	v_mul_lo_u32 v3, v1, s5
	v_sub_u32_e32 v2, v2, v3
	v_add_u32_e32 v1, v1, v2
	v_cmp_gt_i32_e32 vcc, s4, v1
	s_and_saveexec_b64 s[8:9], vcc
	s_cbranch_execz .LBB157_2
; %bb.1:
	s_load_dwordx4 s[8:11], s[0:1], 0x10
	s_mul_i32 s0, s5, s3
	v_add_u32_e32 v2, s0, v0
	v_ashrrev_i32_e32 v3, 31, v2
	s_mul_i32 s0, s6, s3
	s_waitcnt lgkmcnt(0)
	v_lshl_add_u64 v[2:3], v[2:3], 3, s[8:9]
	global_load_dwordx2 v[2:3], v[2:3], off
	v_add_u32_e32 v0, s0, v1
	v_ashrrev_i32_e32 v1, 31, v0
	v_lshl_add_u64 v[0:1], v[0:1], 3, s[10:11]
	s_waitcnt vmcnt(0)
	global_store_dwordx2 v[0:1], v[2:3], off
.LBB157_2:
	s_endpgm
	.section	.rodata,"a",@progbits
	.p2align	6, 0x0
	.amdhsa_kernel _ZN9rocsparseL32gtsv_transpose_back_array_kernelILj256ELj64EdEEviiiPKT1_PS1_
		.amdhsa_group_segment_fixed_size 0
		.amdhsa_private_segment_fixed_size 0
		.amdhsa_kernarg_size 32
		.amdhsa_user_sgpr_count 2
		.amdhsa_user_sgpr_dispatch_ptr 0
		.amdhsa_user_sgpr_queue_ptr 0
		.amdhsa_user_sgpr_kernarg_segment_ptr 1
		.amdhsa_user_sgpr_dispatch_id 0
		.amdhsa_user_sgpr_kernarg_preload_length 0
		.amdhsa_user_sgpr_kernarg_preload_offset 0
		.amdhsa_user_sgpr_private_segment_size 0
		.amdhsa_uses_dynamic_stack 0
		.amdhsa_enable_private_segment 0
		.amdhsa_system_sgpr_workgroup_id_x 1
		.amdhsa_system_sgpr_workgroup_id_y 1
		.amdhsa_system_sgpr_workgroup_id_z 0
		.amdhsa_system_sgpr_workgroup_info 0
		.amdhsa_system_vgpr_workitem_id 0
		.amdhsa_next_free_vgpr 5
		.amdhsa_next_free_sgpr 12
		.amdhsa_accum_offset 8
		.amdhsa_reserve_vcc 1
		.amdhsa_float_round_mode_32 0
		.amdhsa_float_round_mode_16_64 0
		.amdhsa_float_denorm_mode_32 3
		.amdhsa_float_denorm_mode_16_64 3
		.amdhsa_dx10_clamp 1
		.amdhsa_ieee_mode 1
		.amdhsa_fp16_overflow 0
		.amdhsa_tg_split 0
		.amdhsa_exception_fp_ieee_invalid_op 0
		.amdhsa_exception_fp_denorm_src 0
		.amdhsa_exception_fp_ieee_div_zero 0
		.amdhsa_exception_fp_ieee_overflow 0
		.amdhsa_exception_fp_ieee_underflow 0
		.amdhsa_exception_fp_ieee_inexact 0
		.amdhsa_exception_int_div_zero 0
	.end_amdhsa_kernel
	.section	.text._ZN9rocsparseL32gtsv_transpose_back_array_kernelILj256ELj64EdEEviiiPKT1_PS1_,"axG",@progbits,_ZN9rocsparseL32gtsv_transpose_back_array_kernelILj256ELj64EdEEviiiPKT1_PS1_,comdat
.Lfunc_end157:
	.size	_ZN9rocsparseL32gtsv_transpose_back_array_kernelILj256ELj64EdEEviiiPKT1_PS1_, .Lfunc_end157-_ZN9rocsparseL32gtsv_transpose_back_array_kernelILj256ELj64EdEEviiiPKT1_PS1_
                                        ; -- End function
	.set _ZN9rocsparseL32gtsv_transpose_back_array_kernelILj256ELj64EdEEviiiPKT1_PS1_.num_vgpr, 5
	.set _ZN9rocsparseL32gtsv_transpose_back_array_kernelILj256ELj64EdEEviiiPKT1_PS1_.num_agpr, 0
	.set _ZN9rocsparseL32gtsv_transpose_back_array_kernelILj256ELj64EdEEviiiPKT1_PS1_.numbered_sgpr, 12
	.set _ZN9rocsparseL32gtsv_transpose_back_array_kernelILj256ELj64EdEEviiiPKT1_PS1_.num_named_barrier, 0
	.set _ZN9rocsparseL32gtsv_transpose_back_array_kernelILj256ELj64EdEEviiiPKT1_PS1_.private_seg_size, 0
	.set _ZN9rocsparseL32gtsv_transpose_back_array_kernelILj256ELj64EdEEviiiPKT1_PS1_.uses_vcc, 1
	.set _ZN9rocsparseL32gtsv_transpose_back_array_kernelILj256ELj64EdEEviiiPKT1_PS1_.uses_flat_scratch, 0
	.set _ZN9rocsparseL32gtsv_transpose_back_array_kernelILj256ELj64EdEEviiiPKT1_PS1_.has_dyn_sized_stack, 0
	.set _ZN9rocsparseL32gtsv_transpose_back_array_kernelILj256ELj64EdEEviiiPKT1_PS1_.has_recursion, 0
	.set _ZN9rocsparseL32gtsv_transpose_back_array_kernelILj256ELj64EdEEviiiPKT1_PS1_.has_indirect_call, 0
	.section	.AMDGPU.csdata,"",@progbits
; Kernel info:
; codeLenInByte = 236
; TotalNumSgprs: 18
; NumVgprs: 5
; NumAgprs: 0
; TotalNumVgprs: 5
; ScratchSize: 0
; MemoryBound: 0
; FloatMode: 240
; IeeeMode: 1
; LDSByteSize: 0 bytes/workgroup (compile time only)
; SGPRBlocks: 2
; VGPRBlocks: 0
; NumSGPRsForWavesPerEU: 18
; NumVGPRsForWavesPerEU: 5
; AccumOffset: 8
; Occupancy: 8
; WaveLimiterHint : 0
; COMPUTE_PGM_RSRC2:SCRATCH_EN: 0
; COMPUTE_PGM_RSRC2:USER_SGPR: 2
; COMPUTE_PGM_RSRC2:TRAP_HANDLER: 0
; COMPUTE_PGM_RSRC2:TGID_X_EN: 1
; COMPUTE_PGM_RSRC2:TGID_Y_EN: 1
; COMPUTE_PGM_RSRC2:TGID_Z_EN: 0
; COMPUTE_PGM_RSRC2:TIDIG_COMP_CNT: 0
; COMPUTE_PGM_RSRC3_GFX90A:ACCUM_OFFSET: 1
; COMPUTE_PGM_RSRC3_GFX90A:TG_SPLIT: 0
	.section	.text._ZN9rocsparseL42gtsv_transpose_and_pad_array_shared_kernelILj256ELj128EdEEviiiPKT1_PS1_S1_,"axG",@progbits,_ZN9rocsparseL42gtsv_transpose_and_pad_array_shared_kernelILj256ELj128EdEEviiiPKT1_PS1_S1_,comdat
	.globl	_ZN9rocsparseL42gtsv_transpose_and_pad_array_shared_kernelILj256ELj128EdEEviiiPKT1_PS1_S1_ ; -- Begin function _ZN9rocsparseL42gtsv_transpose_and_pad_array_shared_kernelILj256ELj128EdEEviiiPKT1_PS1_S1_
	.p2align	8
	.type	_ZN9rocsparseL42gtsv_transpose_and_pad_array_shared_kernelILj256ELj128EdEEviiiPKT1_PS1_S1_,@function
_ZN9rocsparseL42gtsv_transpose_and_pad_array_shared_kernelILj256ELj128EdEEviiiPKT1_PS1_S1_: ; @_ZN9rocsparseL42gtsv_transpose_and_pad_array_shared_kernelILj256ELj128EdEEviiiPKT1_PS1_S1_
; %bb.0:
	s_load_dwordx4 s[4:7], s[0:1], 0x0
	s_load_dwordx2 s[8:9], s[0:1], 0x20
	v_lshl_or_b32 v1, s2, 8, v0
	s_waitcnt lgkmcnt(0)
	v_cmp_gt_i32_e32 vcc, s4, v1
	v_mov_b64_e32 v[4:5], s[8:9]
	s_and_saveexec_b64 s[8:9], vcc
	s_cbranch_execz .LBB158_2
; %bb.1:
	s_load_dwordx2 s[10:11], s[0:1], 0x10
	s_mul_i32 s4, s6, s3
	v_add_u32_e32 v2, s4, v1
	v_ashrrev_i32_e32 v3, 31, v2
	s_waitcnt lgkmcnt(0)
	v_lshl_add_u64 v[2:3], v[2:3], 3, s[10:11]
	global_load_dwordx2 v[4:5], v[2:3], off
.LBB158_2:
	s_or_b64 exec, exec, s[8:9]
	v_lshrrev_b32_e32 v2, 1, v0
	v_and_b32_e32 v3, 1, v0
	v_lshlrev_b32_e32 v0, 3, v0
	s_waitcnt vmcnt(0)
	ds_write_b64 v0, v[4:5]
	s_lshr_b32 s4, s5, 7
	v_lshl_or_b32 v0, s2, 1, v3
	v_mad_u64_u32 v[0:1], s[6:7], s4, v2, v[0:1]
	v_cmp_gt_i32_e32 vcc, s5, v0
	s_waitcnt lgkmcnt(0)
	s_barrier
	s_and_saveexec_b64 s[6:7], vcc
	s_cbranch_execz .LBB158_4
; %bb.3:
	v_lshlrev_b32_e32 v1, 3, v2
	s_load_dwordx2 s[0:1], s[0:1], 0x18
	v_lshl_or_b32 v1, v3, 10, v1
	ds_read_b64 v[2:3], v1
	s_mul_i32 s2, s5, s3
	v_add_u32_e32 v0, s2, v0
	v_ashrrev_i32_e32 v1, 31, v0
	s_waitcnt lgkmcnt(0)
	v_lshl_add_u64 v[0:1], v[0:1], 3, s[0:1]
	global_store_dwordx2 v[0:1], v[2:3], off
.LBB158_4:
	s_endpgm
	.section	.rodata,"a",@progbits
	.p2align	6, 0x0
	.amdhsa_kernel _ZN9rocsparseL42gtsv_transpose_and_pad_array_shared_kernelILj256ELj128EdEEviiiPKT1_PS1_S1_
		.amdhsa_group_segment_fixed_size 2048
		.amdhsa_private_segment_fixed_size 0
		.amdhsa_kernarg_size 40
		.amdhsa_user_sgpr_count 2
		.amdhsa_user_sgpr_dispatch_ptr 0
		.amdhsa_user_sgpr_queue_ptr 0
		.amdhsa_user_sgpr_kernarg_segment_ptr 1
		.amdhsa_user_sgpr_dispatch_id 0
		.amdhsa_user_sgpr_kernarg_preload_length 0
		.amdhsa_user_sgpr_kernarg_preload_offset 0
		.amdhsa_user_sgpr_private_segment_size 0
		.amdhsa_uses_dynamic_stack 0
		.amdhsa_enable_private_segment 0
		.amdhsa_system_sgpr_workgroup_id_x 1
		.amdhsa_system_sgpr_workgroup_id_y 1
		.amdhsa_system_sgpr_workgroup_id_z 0
		.amdhsa_system_sgpr_workgroup_info 0
		.amdhsa_system_vgpr_workitem_id 0
		.amdhsa_next_free_vgpr 6
		.amdhsa_next_free_sgpr 12
		.amdhsa_accum_offset 8
		.amdhsa_reserve_vcc 1
		.amdhsa_float_round_mode_32 0
		.amdhsa_float_round_mode_16_64 0
		.amdhsa_float_denorm_mode_32 3
		.amdhsa_float_denorm_mode_16_64 3
		.amdhsa_dx10_clamp 1
		.amdhsa_ieee_mode 1
		.amdhsa_fp16_overflow 0
		.amdhsa_tg_split 0
		.amdhsa_exception_fp_ieee_invalid_op 0
		.amdhsa_exception_fp_denorm_src 0
		.amdhsa_exception_fp_ieee_div_zero 0
		.amdhsa_exception_fp_ieee_overflow 0
		.amdhsa_exception_fp_ieee_underflow 0
		.amdhsa_exception_fp_ieee_inexact 0
		.amdhsa_exception_int_div_zero 0
	.end_amdhsa_kernel
	.section	.text._ZN9rocsparseL42gtsv_transpose_and_pad_array_shared_kernelILj256ELj128EdEEviiiPKT1_PS1_S1_,"axG",@progbits,_ZN9rocsparseL42gtsv_transpose_and_pad_array_shared_kernelILj256ELj128EdEEviiiPKT1_PS1_S1_,comdat
.Lfunc_end158:
	.size	_ZN9rocsparseL42gtsv_transpose_and_pad_array_shared_kernelILj256ELj128EdEEviiiPKT1_PS1_S1_, .Lfunc_end158-_ZN9rocsparseL42gtsv_transpose_and_pad_array_shared_kernelILj256ELj128EdEEviiiPKT1_PS1_S1_
                                        ; -- End function
	.set _ZN9rocsparseL42gtsv_transpose_and_pad_array_shared_kernelILj256ELj128EdEEviiiPKT1_PS1_S1_.num_vgpr, 6
	.set _ZN9rocsparseL42gtsv_transpose_and_pad_array_shared_kernelILj256ELj128EdEEviiiPKT1_PS1_S1_.num_agpr, 0
	.set _ZN9rocsparseL42gtsv_transpose_and_pad_array_shared_kernelILj256ELj128EdEEviiiPKT1_PS1_S1_.numbered_sgpr, 12
	.set _ZN9rocsparseL42gtsv_transpose_and_pad_array_shared_kernelILj256ELj128EdEEviiiPKT1_PS1_S1_.num_named_barrier, 0
	.set _ZN9rocsparseL42gtsv_transpose_and_pad_array_shared_kernelILj256ELj128EdEEviiiPKT1_PS1_S1_.private_seg_size, 0
	.set _ZN9rocsparseL42gtsv_transpose_and_pad_array_shared_kernelILj256ELj128EdEEviiiPKT1_PS1_S1_.uses_vcc, 1
	.set _ZN9rocsparseL42gtsv_transpose_and_pad_array_shared_kernelILj256ELj128EdEEviiiPKT1_PS1_S1_.uses_flat_scratch, 0
	.set _ZN9rocsparseL42gtsv_transpose_and_pad_array_shared_kernelILj256ELj128EdEEviiiPKT1_PS1_S1_.has_dyn_sized_stack, 0
	.set _ZN9rocsparseL42gtsv_transpose_and_pad_array_shared_kernelILj256ELj128EdEEviiiPKT1_PS1_S1_.has_recursion, 0
	.set _ZN9rocsparseL42gtsv_transpose_and_pad_array_shared_kernelILj256ELj128EdEEviiiPKT1_PS1_S1_.has_indirect_call, 0
	.section	.AMDGPU.csdata,"",@progbits
; Kernel info:
; codeLenInByte = 216
; TotalNumSgprs: 18
; NumVgprs: 6
; NumAgprs: 0
; TotalNumVgprs: 6
; ScratchSize: 0
; MemoryBound: 0
; FloatMode: 240
; IeeeMode: 1
; LDSByteSize: 2048 bytes/workgroup (compile time only)
; SGPRBlocks: 2
; VGPRBlocks: 0
; NumSGPRsForWavesPerEU: 18
; NumVGPRsForWavesPerEU: 6
; AccumOffset: 8
; Occupancy: 8
; WaveLimiterHint : 0
; COMPUTE_PGM_RSRC2:SCRATCH_EN: 0
; COMPUTE_PGM_RSRC2:USER_SGPR: 2
; COMPUTE_PGM_RSRC2:TRAP_HANDLER: 0
; COMPUTE_PGM_RSRC2:TGID_X_EN: 1
; COMPUTE_PGM_RSRC2:TGID_Y_EN: 1
; COMPUTE_PGM_RSRC2:TGID_Z_EN: 0
; COMPUTE_PGM_RSRC2:TIDIG_COMP_CNT: 0
; COMPUTE_PGM_RSRC3_GFX90A:ACCUM_OFFSET: 1
; COMPUTE_PGM_RSRC3_GFX90A:TG_SPLIT: 0
	.section	.text._ZN9rocsparseL18gtsv_LBM_wv_kernelILj256ELj128EdEEviiiPKT1_S3_S3_PS1_S4_S4_Pi,"axG",@progbits,_ZN9rocsparseL18gtsv_LBM_wv_kernelILj256ELj128EdEEviiiPKT1_S3_S3_PS1_S4_S4_Pi,comdat
	.globl	_ZN9rocsparseL18gtsv_LBM_wv_kernelILj256ELj128EdEEviiiPKT1_S3_S3_PS1_S4_S4_Pi ; -- Begin function _ZN9rocsparseL18gtsv_LBM_wv_kernelILj256ELj128EdEEviiiPKT1_S3_S3_PS1_S4_S4_Pi
	.p2align	8
	.type	_ZN9rocsparseL18gtsv_LBM_wv_kernelILj256ELj128EdEEviiiPKT1_S3_S3_PS1_S4_S4_Pi,@function
_ZN9rocsparseL18gtsv_LBM_wv_kernelILj256ELj128EdEEviiiPKT1_S3_S3_PS1_S4_S4_Pi: ; @_ZN9rocsparseL18gtsv_LBM_wv_kernelILj256ELj128EdEEviiiPKT1_S3_S3_PS1_S4_S4_Pi
; %bb.0:
	s_load_dword s27, s[0:1], 0x0
	v_lshl_or_b32 v0, s2, 8, v0
	s_waitcnt lgkmcnt(0)
	s_lshr_b32 s26, s27, 7
	v_cmp_gt_i32_e32 vcc, s26, v0
	s_and_saveexec_b64 s[2:3], vcc
	s_cbranch_execz .LBB159_30
; %bb.1:
	s_load_dwordx2 s[16:17], s[0:1], 0x10
	s_load_dwordx8 s[8:15], s[0:1], 0x20
	v_ashrrev_i32_e32 v1, 31, v0
	s_mul_i32 s28, s26, 0x7f
	v_lshlrev_b64 v[2:3], 3, v[0:1]
	v_add_u32_e32 v6, s28, v0
	v_mov_b32_e32 v7, 0
	s_waitcnt lgkmcnt(0)
	v_lshl_add_u64 v[4:5], s[16:17], 0, v[2:3]
	v_lshlrev_b64 v[8:9], 3, v[6:7]
	global_load_dwordx2 v[4:5], v[4:5], off
	v_lshl_add_u64 v[10:11], s[8:9], 0, v[8:9]
	global_load_dwordx2 v[10:11], v[10:11], off
	s_load_dwordx2 s[6:7], s[0:1], 0x40
	v_lshl_add_u64 v[2:3], s[10:11], 0, v[2:3]
	s_cmp_lt_i32 s27, 1
	v_add_u32_e32 v36, s26, v0
	v_lshl_add_u64 v[8:9], s[12:13], 0, v[8:9]
	s_waitcnt vmcnt(1)
	global_store_dwordx2 v[2:3], v[4:5], off
	s_waitcnt vmcnt(1)
	global_store_dwordx2 v[8:9], v[10:11], off
	v_mov_b32_e32 v4, v7
	s_cbranch_scc1 .LBB159_23
; %bb.2:
	s_load_dwordx2 s[18:19], s[0:1], 0x18
	s_mov_b32 s22, 0x372fe950
	s_mul_i32 s29, s26, 0x7e
	s_lshl_b32 s30, s26, 1
	s_mov_b64 s[20:21], 0
	s_waitcnt lgkmcnt(0)
	v_lshl_add_u64 v[4:5], v[0:1], 3, s[18:19]
	global_load_dwordx2 v[6:7], v[4:5], off
	v_add_u32_e32 v1, s26, v36
	v_mov_b32_e32 v4, 0
	s_mov_b32 s23, 0x3fe3c6ef
	v_mov_b32_e32 v37, 2
	v_mov_b32_e32 v38, 1
	s_branch .LBB159_5
.LBB159_3:                              ;   in Loop: Header=BB159_5 Depth=1
	s_or_b64 exec, exec, s[4:5]
	v_fma_f64 v[6:7], -v[6:7], v[20:21], v[10:11]
	v_mov_b32_e32 v5, s26
.LBB159_4:                              ;   in Loop: Header=BB159_5 Depth=1
	s_or_b64 exec, exec, s[2:3]
	v_add_u32_e32 v4, v5, v4
	v_cmp_le_i32_e32 vcc, s27, v4
	s_or_b64 s[20:21], vcc, s[20:21]
	s_andn2_b64 exec, exec, s[20:21]
	s_cbranch_execz .LBB159_22
.LBB159_5:                              ; =>This Inner Loop Header: Depth=1
	v_add_u32_e32 v14, v4, v0
	v_ashrrev_i32_e32 v15, 31, v14
	v_lshl_add_u64 v[8:9], v[14:15], 3, s[8:9]
	global_load_dwordx2 v[12:13], v[8:9], off
	v_cmp_gt_u32_e64 s[0:1], s28, v4
	v_mov_b64_e32 v[10:11], 0
	v_mov_b64_e32 v[8:9], 0
	s_and_saveexec_b64 s[2:3], s[0:1]
	s_cbranch_execz .LBB159_7
; %bb.6:                                ;   in Loop: Header=BB159_5 Depth=1
	v_add_u32_e32 v8, v36, v4
	v_ashrrev_i32_e32 v9, 31, v8
	v_lshl_add_u64 v[8:9], v[8:9], 3, s[16:17]
	global_load_dwordx2 v[8:9], v[8:9], off
.LBB159_7:                              ;   in Loop: Header=BB159_5 Depth=1
	s_or_b64 exec, exec, s[2:3]
	s_and_saveexec_b64 s[2:3], s[0:1]
	s_cbranch_execz .LBB159_9
; %bb.8:                                ;   in Loop: Header=BB159_5 Depth=1
	v_add_u32_e32 v10, v36, v4
	v_ashrrev_i32_e32 v11, 31, v10
	v_lshl_add_u64 v[10:11], v[10:11], 3, s[18:19]
	global_load_dwordx2 v[10:11], v[10:11], off
.LBB159_9:                              ;   in Loop: Header=BB159_5 Depth=1
	s_or_b64 exec, exec, s[2:3]
	v_mov_b64_e32 v[18:19], 0
	v_mov_b64_e32 v[16:17], 0
	s_and_saveexec_b64 s[2:3], s[0:1]
	s_cbranch_execz .LBB159_11
; %bb.10:                               ;   in Loop: Header=BB159_5 Depth=1
	v_add_u32_e32 v16, v36, v4
	v_ashrrev_i32_e32 v17, 31, v16
	v_lshl_add_u64 v[16:17], v[16:17], 3, s[8:9]
	global_load_dwordx2 v[16:17], v[16:17], off
.LBB159_11:                             ;   in Loop: Header=BB159_5 Depth=1
	s_or_b64 exec, exec, s[2:3]
	v_cmp_gt_u32_e64 s[2:3], s29, v4
	s_and_saveexec_b64 s[4:5], s[2:3]
	s_cbranch_execz .LBB159_13
; %bb.12:                               ;   in Loop: Header=BB159_5 Depth=1
	v_add_u32_e32 v18, v1, v4
	v_ashrrev_i32_e32 v19, 31, v18
	v_lshl_add_u64 v[18:19], v[18:19], 3, s[16:17]
	global_load_dwordx2 v[18:19], v[18:19], off
.LBB159_13:                             ;   in Loop: Header=BB159_5 Depth=1
	s_or_b64 exec, exec, s[4:5]
	s_waitcnt vmcnt(0)
	v_xor_b32_e32 v5, 0x80000000, v9
	v_cmp_gt_f64_e32 vcc, 0, v[8:9]
	v_mov_b32_e32 v20, v8
	v_mov_b32_e32 v22, v18
	v_cndmask_b32_e32 v21, v9, v5, vcc
	v_xor_b32_e32 v5, 0x80000000, v19
	v_cmp_gt_f64_e32 vcc, 0, v[18:19]
	v_cmp_ne_u32_e64 s[4:5], s28, v4
	s_nop 0
	v_cndmask_b32_e32 v23, v19, v5, vcc
	v_cmp_lt_f64_e32 vcc, v[20:21], v[22:23]
	v_xor_b32_e32 v5, 0x80000000, v11
	v_mov_b32_e32 v22, v10
	v_cndmask_b32_e32 v21, v21, v23, vcc
	v_cndmask_b32_e32 v20, v8, v18, vcc
	v_cmp_gt_f64_e32 vcc, 0, v[10:11]
	s_nop 1
	v_cndmask_b32_e32 v23, v11, v5, vcc
	v_cmp_lt_f64_e32 vcc, v[22:23], v[20:21]
	v_xor_b32_e32 v5, 0x80000000, v13
	v_mov_b32_e32 v22, v12
	v_cndmask_b32_e32 v21, v23, v21, vcc
	v_cndmask_b32_e32 v20, v10, v20, vcc
	v_cmp_gt_f64_e32 vcc, 0, v[12:13]
	;; [unrolled: 8-line block ×4, first 2 shown]
	s_nop 1
	v_cndmask_b32_e32 v23, v7, v5, vcc
	v_mul_f64 v[22:23], v[22:23], v[20:21]
	v_mul_f64 v[20:21], v[12:13], v[8:9]
	v_xor_b32_e32 v5, 0x80000000, v21
	v_cmp_gt_f64_e32 vcc, 0, v[20:21]
	v_mov_b32_e32 v24, v20
	s_nop 0
	v_cndmask_b32_e32 v25, v21, v5, vcc
	v_mul_f64 v[24:25], v[24:25], s[22:23]
	v_cmp_nge_f64_e32 vcc, v[22:23], v[24:25]
	s_and_b64 s[4:5], s[4:5], vcc
	s_and_saveexec_b64 s[24:25], s[4:5]
	s_xor_b64 s[4:5], exec, s[24:25]
	s_cbranch_execz .LBB159_19
; %bb.14:                               ;   in Loop: Header=BB159_5 Depth=1
	v_add_u32_e32 v26, v36, v4
	v_ashrrev_i32_e32 v27, 31, v26
	v_lshlrev_b64 v[30:31], 3, v[26:27]
	v_ashrrev_i32_e32 v5, 31, v4
	v_lshl_add_u64 v[28:29], s[10:11], 0, v[30:31]
	v_lshl_add_u64 v[40:41], v[4:5], 3, v[2:3]
	global_load_dwordx2 v[24:25], v[28:29], off
	v_lshlrev_b64 v[42:43], 3, v[14:15]
	v_lshl_add_u64 v[30:31], s[12:13], 0, v[30:31]
	global_load_dwordx2 v[22:23], v[40:41], off
	global_load_dwordx2 v[32:33], v[30:31], off
	v_lshl_add_u64 v[44:45], s[12:13], 0, v[42:43]
	global_load_dwordx2 v[34:35], v[44:45], off
	v_fma_f64 v[20:21], v[6:7], v[10:11], -v[20:21]
	v_lshl_add_u64 v[48:49], v[14:15], 2, s[6:7]
	v_div_scale_f64 v[14:15], s[24:25], v[20:21], v[20:21], 1.0
	v_rcp_f64_e32 v[50:51], v[14:15]
	v_div_scale_f64 v[52:53], vcc, 1.0, v[20:21], 1.0
	v_mul_f64 v[46:47], v[16:17], -v[12:13]
	v_fma_f64 v[54:55], -v[14:15], v[50:51], 1.0
	v_fmac_f64_e32 v[50:51], v[50:51], v[54:55]
	v_fma_f64 v[54:55], -v[14:15], v[50:51], 1.0
	v_fmac_f64_e32 v[50:51], v[50:51], v[54:55]
	v_mul_f64 v[54:55], v[52:53], v[50:51]
	v_fma_f64 v[14:15], -v[14:15], v[54:55], v[52:53]
	v_div_fmas_f64 v[14:15], v[14:15], v[50:51], v[54:55]
	v_div_fixup_f64 v[14:15], v[14:15], v[20:21], 1.0
	v_lshl_add_u64 v[42:43], s[14:15], 0, v[42:43]
	v_mul_f64 v[20:21], v[14:15], v[46:47]
	global_store_dwordx2 v[42:43], v[20:21], off
	s_waitcnt vmcnt(4)
	v_mul_f64 v[20:21], v[12:13], v[24:25]
	s_waitcnt vmcnt(3)
	v_fma_f64 v[20:21], v[10:11], v[22:23], -v[20:21]
	s_waitcnt vmcnt(2)
	v_mul_f64 v[12:13], v[12:13], v[32:33]
	s_waitcnt vmcnt(1)
	v_fma_f64 v[10:11], v[10:11], v[34:35], -v[12:13]
	v_mul_f64 v[12:13], v[14:15], v[20:21]
	v_mul_f64 v[10:11], v[14:15], v[10:11]
	global_store_dwordx2 v[40:41], v[12:13], off
	global_store_dwordx2 v[44:45], v[10:11], off
	global_store_dword v[48:49], v37, off
	s_and_saveexec_b64 s[24:25], s[0:1]
	s_cbranch_execz .LBB159_16
; %bb.15:                               ;   in Loop: Header=BB159_5 Depth=1
	v_mul_f64 v[10:11], v[8:9], v[22:23]
	v_fma_f64 v[10:11], v[6:7], v[24:25], -v[10:11]
	v_mul_f64 v[10:11], v[14:15], v[10:11]
	global_store_dwordx2 v[28:29], v[10:11], off
	v_mul_f64 v[10:11], v[8:9], v[34:35]
	v_fma_f64 v[10:11], v[6:7], v[32:33], -v[10:11]
	v_mul_f64 v[10:11], v[14:15], v[10:11]
	global_store_dwordx2 v[30:31], v[10:11], off
	v_mul_f64 v[10:11], v[6:7], v[16:17]
	v_mul_f64 v[10:11], v[14:15], v[10:11]
	v_lshl_add_u64 v[12:13], v[26:27], 3, s[14:15]
	global_store_dwordx2 v[12:13], v[10:11], off
	v_lshl_add_u64 v[10:11], v[26:27], 2, s[6:7]
	global_store_dword v[10:11], v37, off
.LBB159_16:                             ;   in Loop: Header=BB159_5 Depth=1
	s_or_b64 exec, exec, s[24:25]
	v_mov_b64_e32 v[10:11], 0
	s_and_saveexec_b64 s[24:25], s[2:3]
	s_cbranch_execz .LBB159_18
; %bb.17:                               ;   in Loop: Header=BB159_5 Depth=1
	v_add_u32_e32 v10, v1, v4
	v_ashrrev_i32_e32 v11, 31, v10
	v_lshlrev_b64 v[10:11], 3, v[10:11]
	v_lshl_add_u64 v[12:13], s[10:11], 0, v[10:11]
	v_lshl_add_u64 v[10:11], s[18:19], 0, v[10:11]
	global_load_dwordx2 v[20:21], v[12:13], off
	v_mul_f64 v[6:7], v[6:7], v[18:19]
	global_load_dwordx2 v[10:11], v[10:11], off
	v_mul_f64 v[8:9], v[18:19], v[8:9]
	v_mul_f64 v[18:19], v[14:15], v[6:7]
	;; [unrolled: 1-line block ×5, first 2 shown]
	v_fma_f64 v[8:9], v[8:9], v[22:23], -v[16:17]
	s_waitcnt vmcnt(1)
	v_add_f64 v[8:9], v[8:9], v[20:21]
	global_store_dwordx2 v[12:13], v[8:9], off
	s_waitcnt vmcnt(1)
	v_fma_f64 v[10:11], -v[14:15], v[6:7], v[10:11]
.LBB159_18:                             ;   in Loop: Header=BB159_5 Depth=1
	s_or_b64 exec, exec, s[24:25]
	v_mov_b64_e32 v[6:7], v[10:11]
                                        ; implicit-def: $vgpr20_vgpr21
                                        ; implicit-def: $vgpr10_vgpr11
                                        ; implicit-def: $vgpr12_vgpr13
                                        ; implicit-def: $vgpr14_vgpr15
                                        ; implicit-def: $vgpr8_vgpr9
.LBB159_19:                             ;   in Loop: Header=BB159_5 Depth=1
	s_or_saveexec_b64 s[2:3], s[4:5]
	v_mov_b32_e32 v5, s30
	s_xor_b64 exec, exec, s[2:3]
	s_cbranch_execz .LBB159_4
; %bb.20:                               ;   in Loop: Header=BB159_5 Depth=1
	v_ashrrev_i32_e32 v5, 31, v4
	v_lshl_add_u64 v[18:19], v[4:5], 3, v[2:3]
	v_lshlrev_b64 v[22:23], 3, v[14:15]
	global_load_dwordx2 v[16:17], v[18:19], off
	v_lshl_add_u64 v[24:25], s[12:13], 0, v[22:23]
	global_load_dwordx2 v[26:27], v[24:25], off
	v_div_scale_f64 v[28:29], s[4:5], v[6:7], v[6:7], 1.0
	v_rcp_f64_e32 v[30:31], v[28:29]
	v_div_scale_f64 v[32:33], vcc, 1.0, v[6:7], 1.0
	v_lshl_add_u64 v[22:23], s[14:15], 0, v[22:23]
	v_fma_f64 v[34:35], -v[28:29], v[30:31], 1.0
	v_fmac_f64_e32 v[30:31], v[30:31], v[34:35]
	v_fma_f64 v[34:35], -v[28:29], v[30:31], 1.0
	v_fmac_f64_e32 v[30:31], v[30:31], v[34:35]
	v_mul_f64 v[34:35], v[32:33], v[30:31]
	v_fma_f64 v[28:29], -v[28:29], v[34:35], v[32:33]
	v_div_fmas_f64 v[28:29], v[28:29], v[30:31], v[34:35]
	v_div_fixup_f64 v[6:7], v[28:29], v[6:7], 1.0
	v_mul_f64 v[12:13], v[6:7], v[12:13]
	global_store_dwordx2 v[22:23], v[12:13], off
	v_lshl_add_u64 v[14:15], v[14:15], 2, s[6:7]
	s_waitcnt vmcnt(2)
	v_mul_f64 v[12:13], v[6:7], v[16:17]
	s_waitcnt vmcnt(1)
	v_mul_f64 v[22:23], v[6:7], v[26:27]
	global_store_dwordx2 v[18:19], v[12:13], off
	global_store_dwordx2 v[24:25], v[22:23], off
	global_store_dword v[14:15], v38, off
	s_and_saveexec_b64 s[4:5], s[0:1]
	s_cbranch_execz .LBB159_3
; %bb.21:                               ;   in Loop: Header=BB159_5 Depth=1
	v_add_u32_e32 v12, v36, v4
	v_ashrrev_i32_e32 v13, 31, v12
	v_lshl_add_u64 v[12:13], v[12:13], 3, s[10:11]
	global_load_dwordx2 v[14:15], v[12:13], off
	v_mul_f64 v[8:9], v[8:9], v[6:7]
	s_waitcnt vmcnt(0)
	v_fma_f64 v[8:9], -v[8:9], v[16:17], v[14:15]
	global_store_dwordx2 v[12:13], v[8:9], off
	s_branch .LBB159_3
.LBB159_22:
	s_or_b64 exec, exec, s[20:21]
.LBB159_23:
	v_subrev_u32_e32 v1, s26, v4
	v_add_u32_e32 v4, v1, v0
	v_ashrrev_i32_e32 v5, 31, v4
	s_waitcnt lgkmcnt(0)
	v_lshl_add_u64 v[4:5], v[4:5], 2, s[6:7]
	buffer_wbl2 sc1
	s_waitcnt vmcnt(0)
	buffer_inv sc1
	global_load_dword v4, v[4:5], off
	s_waitcnt vmcnt(0)
	v_mul_lo_u32 v4, v4, s26
	v_sub_u32_e32 v4, v1, v4
	v_cmp_lt_i32_e32 vcc, -1, v4
	s_and_b64 exec, exec, vcc
	s_cbranch_execz .LBB159_30
; %bb.24:
	v_subrev_u32_e32 v1, s26, v0
	s_lshl_b32 s4, s26, 1
	s_mov_b64 s[0:1], 0
	s_branch .LBB159_26
.LBB159_25:                             ;   in Loop: Header=BB159_26 Depth=1
	s_or_b64 exec, exec, s[2:3]
	v_sub_u32_e32 v4, v4, v5
	v_cmp_gt_i32_e32 vcc, 0, v4
	s_or_b64 s[0:1], vcc, s[0:1]
	s_andn2_b64 exec, exec, s[0:1]
	s_cbranch_execz .LBB159_30
.LBB159_26:                             ; =>This Inner Loop Header: Depth=1
	v_add_u32_e32 v8, v4, v0
	v_ashrrev_i32_e32 v9, 31, v8
	s_waitcnt vmcnt(0)
	v_lshl_add_u64 v[6:7], v[8:9], 2, s[6:7]
	global_load_dword v5, v[6:7], off
	v_lshl_add_u64 v[6:7], v[8:9], 3, s[14:15]
	global_load_dwordx2 v[6:7], v[6:7], off
	s_waitcnt vmcnt(1)
	v_cmp_ne_u32_e32 vcc, 1, v5
	s_and_saveexec_b64 s[2:3], vcc
	s_xor_b64 s[2:3], exec, s[2:3]
	s_cbranch_execz .LBB159_28
; %bb.27:                               ;   in Loop: Header=BB159_26 Depth=1
	v_add_u32_e32 v10, v36, v4
	v_ashrrev_i32_e32 v11, 31, v10
	v_lshlrev_b64 v[10:11], 3, v[10:11]
	v_lshl_add_u64 v[12:13], s[10:11], 0, v[10:11]
	v_ashrrev_i32_e32 v5, 31, v4
	v_lshl_add_u64 v[14:15], v[4:5], 3, v[2:3]
	global_load_dwordx2 v[16:17], v[12:13], off
	global_load_dwordx2 v[18:19], v[14:15], off
	v_lshl_add_u64 v[10:11], s[12:13], 0, v[10:11]
	v_lshl_add_u64 v[8:9], v[8:9], 3, s[12:13]
	global_load_dwordx2 v[20:21], v[10:11], off
	global_load_dwordx2 v[22:23], v[8:9], off
	v_add_u32_e32 v24, v1, v4
	v_ashrrev_i32_e32 v25, 31, v24
	v_lshlrev_b64 v[24:25], 3, v[24:25]
	v_lshl_add_u64 v[26:27], s[14:15], 0, v[24:25]
	global_load_dwordx2 v[26:27], v[26:27], off
	v_lshl_add_u64 v[28:29], s[10:11], 0, v[24:25]
	v_lshl_add_u64 v[24:25], s[12:13], 0, v[24:25]
	s_waitcnt vmcnt(3)
	v_fma_f64 v[16:17], -v[6:7], v[16:17], v[18:19]
	s_waitcnt vmcnt(1)
	v_fma_f64 v[6:7], -v[6:7], v[20:21], v[22:23]
	global_store_dwordx2 v[14:15], v[16:17], off
	global_store_dwordx2 v[8:9], v[6:7], off
	global_load_dwordx2 v[6:7], v[12:13], off
	s_nop 0
	global_load_dwordx2 v[8:9], v[28:29], off
	global_load_dwordx2 v[14:15], v[10:11], off
	;; [unrolled: 1-line block ×3, first 2 shown]
	s_waitcnt vmcnt(2)
	v_fma_f64 v[6:7], -v[26:27], v[6:7], v[8:9]
	s_waitcnt vmcnt(0)
	v_fma_f64 v[8:9], -v[26:27], v[14:15], v[16:17]
	global_store_dwordx2 v[28:29], v[6:7], off
	global_store_dwordx2 v[24:25], v[8:9], off
                                        ; implicit-def: $vgpr6_vgpr7
                                        ; implicit-def: $vgpr8_vgpr9
.LBB159_28:                             ;   in Loop: Header=BB159_26 Depth=1
	s_or_saveexec_b64 s[2:3], s[2:3]
	v_mov_b32_e32 v5, s4
	s_xor_b64 exec, exec, s[2:3]
	s_cbranch_execz .LBB159_25
; %bb.29:                               ;   in Loop: Header=BB159_26 Depth=1
	v_add_u32_e32 v10, v36, v4
	v_ashrrev_i32_e32 v11, 31, v10
	v_lshlrev_b64 v[10:11], 3, v[10:11]
	v_lshl_add_u64 v[12:13], s[10:11], 0, v[10:11]
	v_ashrrev_i32_e32 v5, 31, v4
	v_lshl_add_u64 v[14:15], v[4:5], 3, v[2:3]
	global_load_dwordx2 v[16:17], v[12:13], off
	global_load_dwordx2 v[18:19], v[14:15], off
	v_lshl_add_u64 v[10:11], s[12:13], 0, v[10:11]
	v_lshl_add_u64 v[8:9], v[8:9], 3, s[12:13]
	global_load_dwordx2 v[12:13], v[10:11], off
	global_load_dwordx2 v[20:21], v[8:9], off
	v_mov_b32_e32 v5, s26
	s_waitcnt vmcnt(2)
	v_fma_f64 v[10:11], -v[6:7], v[16:17], v[18:19]
	s_waitcnt vmcnt(0)
	v_fma_f64 v[6:7], -v[6:7], v[12:13], v[20:21]
	global_store_dwordx2 v[14:15], v[10:11], off
	global_store_dwordx2 v[8:9], v[6:7], off
	s_branch .LBB159_25
.LBB159_30:
	s_endpgm
	.section	.rodata,"a",@progbits
	.p2align	6, 0x0
	.amdhsa_kernel _ZN9rocsparseL18gtsv_LBM_wv_kernelILj256ELj128EdEEviiiPKT1_S3_S3_PS1_S4_S4_Pi
		.amdhsa_group_segment_fixed_size 0
		.amdhsa_private_segment_fixed_size 0
		.amdhsa_kernarg_size 72
		.amdhsa_user_sgpr_count 2
		.amdhsa_user_sgpr_dispatch_ptr 0
		.amdhsa_user_sgpr_queue_ptr 0
		.amdhsa_user_sgpr_kernarg_segment_ptr 1
		.amdhsa_user_sgpr_dispatch_id 0
		.amdhsa_user_sgpr_kernarg_preload_length 0
		.amdhsa_user_sgpr_kernarg_preload_offset 0
		.amdhsa_user_sgpr_private_segment_size 0
		.amdhsa_uses_dynamic_stack 0
		.amdhsa_enable_private_segment 0
		.amdhsa_system_sgpr_workgroup_id_x 1
		.amdhsa_system_sgpr_workgroup_id_y 0
		.amdhsa_system_sgpr_workgroup_id_z 0
		.amdhsa_system_sgpr_workgroup_info 0
		.amdhsa_system_vgpr_workitem_id 0
		.amdhsa_next_free_vgpr 56
		.amdhsa_next_free_sgpr 31
		.amdhsa_accum_offset 56
		.amdhsa_reserve_vcc 1
		.amdhsa_float_round_mode_32 0
		.amdhsa_float_round_mode_16_64 0
		.amdhsa_float_denorm_mode_32 3
		.amdhsa_float_denorm_mode_16_64 3
		.amdhsa_dx10_clamp 1
		.amdhsa_ieee_mode 1
		.amdhsa_fp16_overflow 0
		.amdhsa_tg_split 0
		.amdhsa_exception_fp_ieee_invalid_op 0
		.amdhsa_exception_fp_denorm_src 0
		.amdhsa_exception_fp_ieee_div_zero 0
		.amdhsa_exception_fp_ieee_overflow 0
		.amdhsa_exception_fp_ieee_underflow 0
		.amdhsa_exception_fp_ieee_inexact 0
		.amdhsa_exception_int_div_zero 0
	.end_amdhsa_kernel
	.section	.text._ZN9rocsparseL18gtsv_LBM_wv_kernelILj256ELj128EdEEviiiPKT1_S3_S3_PS1_S4_S4_Pi,"axG",@progbits,_ZN9rocsparseL18gtsv_LBM_wv_kernelILj256ELj128EdEEviiiPKT1_S3_S3_PS1_S4_S4_Pi,comdat
.Lfunc_end159:
	.size	_ZN9rocsparseL18gtsv_LBM_wv_kernelILj256ELj128EdEEviiiPKT1_S3_S3_PS1_S4_S4_Pi, .Lfunc_end159-_ZN9rocsparseL18gtsv_LBM_wv_kernelILj256ELj128EdEEviiiPKT1_S3_S3_PS1_S4_S4_Pi
                                        ; -- End function
	.set _ZN9rocsparseL18gtsv_LBM_wv_kernelILj256ELj128EdEEviiiPKT1_S3_S3_PS1_S4_S4_Pi.num_vgpr, 56
	.set _ZN9rocsparseL18gtsv_LBM_wv_kernelILj256ELj128EdEEviiiPKT1_S3_S3_PS1_S4_S4_Pi.num_agpr, 0
	.set _ZN9rocsparseL18gtsv_LBM_wv_kernelILj256ELj128EdEEviiiPKT1_S3_S3_PS1_S4_S4_Pi.numbered_sgpr, 31
	.set _ZN9rocsparseL18gtsv_LBM_wv_kernelILj256ELj128EdEEviiiPKT1_S3_S3_PS1_S4_S4_Pi.num_named_barrier, 0
	.set _ZN9rocsparseL18gtsv_LBM_wv_kernelILj256ELj128EdEEviiiPKT1_S3_S3_PS1_S4_S4_Pi.private_seg_size, 0
	.set _ZN9rocsparseL18gtsv_LBM_wv_kernelILj256ELj128EdEEviiiPKT1_S3_S3_PS1_S4_S4_Pi.uses_vcc, 1
	.set _ZN9rocsparseL18gtsv_LBM_wv_kernelILj256ELj128EdEEviiiPKT1_S3_S3_PS1_S4_S4_Pi.uses_flat_scratch, 0
	.set _ZN9rocsparseL18gtsv_LBM_wv_kernelILj256ELj128EdEEviiiPKT1_S3_S3_PS1_S4_S4_Pi.has_dyn_sized_stack, 0
	.set _ZN9rocsparseL18gtsv_LBM_wv_kernelILj256ELj128EdEEviiiPKT1_S3_S3_PS1_S4_S4_Pi.has_recursion, 0
	.set _ZN9rocsparseL18gtsv_LBM_wv_kernelILj256ELj128EdEEviiiPKT1_S3_S3_PS1_S4_S4_Pi.has_indirect_call, 0
	.section	.AMDGPU.csdata,"",@progbits
; Kernel info:
; codeLenInByte = 2228
; TotalNumSgprs: 37
; NumVgprs: 56
; NumAgprs: 0
; TotalNumVgprs: 56
; ScratchSize: 0
; MemoryBound: 1
; FloatMode: 240
; IeeeMode: 1
; LDSByteSize: 0 bytes/workgroup (compile time only)
; SGPRBlocks: 4
; VGPRBlocks: 6
; NumSGPRsForWavesPerEU: 37
; NumVGPRsForWavesPerEU: 56
; AccumOffset: 56
; Occupancy: 8
; WaveLimiterHint : 0
; COMPUTE_PGM_RSRC2:SCRATCH_EN: 0
; COMPUTE_PGM_RSRC2:USER_SGPR: 2
; COMPUTE_PGM_RSRC2:TRAP_HANDLER: 0
; COMPUTE_PGM_RSRC2:TGID_X_EN: 1
; COMPUTE_PGM_RSRC2:TGID_Y_EN: 0
; COMPUTE_PGM_RSRC2:TGID_Z_EN: 0
; COMPUTE_PGM_RSRC2:TIDIG_COMP_CNT: 0
; COMPUTE_PGM_RSRC3_GFX90A:ACCUM_OFFSET: 13
; COMPUTE_PGM_RSRC3_GFX90A:TG_SPLIT: 0
	.section	.text._ZN9rocsparseL19gtsv_LBM_rhs_kernelILj256ELj128ELj8EdEEviiiPKT2_S3_S3_PS1_S3_PKi,"axG",@progbits,_ZN9rocsparseL19gtsv_LBM_rhs_kernelILj256ELj128ELj8EdEEviiiPKT2_S3_S3_PS1_S3_PKi,comdat
	.globl	_ZN9rocsparseL19gtsv_LBM_rhs_kernelILj256ELj128ELj8EdEEviiiPKT2_S3_S3_PS1_S3_PKi ; -- Begin function _ZN9rocsparseL19gtsv_LBM_rhs_kernelILj256ELj128ELj8EdEEviiiPKT2_S3_S3_PS1_S3_PKi
	.p2align	8
	.type	_ZN9rocsparseL19gtsv_LBM_rhs_kernelILj256ELj128ELj8EdEEviiiPKT2_S3_S3_PS1_S3_PKi,@function
_ZN9rocsparseL19gtsv_LBM_rhs_kernelILj256ELj128ELj8EdEEviiiPKT2_S3_S3_PS1_S3_PKi: ; @_ZN9rocsparseL19gtsv_LBM_rhs_kernelILj256ELj128ELj8EdEEviiiPKT2_S3_S3_PS1_S3_PKi
; %bb.0:
	s_load_dword s23, s[0:1], 0x0
	v_lshl_or_b32 v0, s2, 8, v0
	s_waitcnt lgkmcnt(0)
	s_lshr_b32 s22, s23, 7
	v_cmp_gt_i32_e32 vcc, s22, v0
	s_and_saveexec_b64 s[4:5], vcc
	s_cbranch_execz .LBB160_29
; %bb.1:
	s_load_dwordx4 s[8:11], s[0:1], 0x28
	s_load_dwordx2 s[6:7], s[0:1], 0x38
	s_cmp_lt_i32 s23, 1
	v_add_u32_e32 v60, s22, v0
	s_mul_i32 s24, s3, s23
	s_cbranch_scc1 .LBB160_21
; %bb.2:
	s_load_dwordx4 s[12:15], s[0:1], 0x10
	s_load_dwordx2 s[16:17], s[0:1], 0x20
	v_ashrrev_i32_e32 v1, 31, v0
	s_lshl_b32 s28, s24, 3
	s_add_i32 s29, s28, s23
	s_waitcnt lgkmcnt(0)
	v_lshl_add_u64 v[2:3], v[0:1], 3, s[14:15]
	global_load_dwordx2 v[6:7], v[2:3], off
	s_add_i32 s30, s29, s23
	s_add_i32 s31, s30, s23
	;; [unrolled: 1-line block ×5, first 2 shown]
	s_mul_i32 s25, s22, 0x7f
	s_mul_i32 s26, s22, 0x7e
	s_lshl_b32 s27, s22, 1
	v_add_u32_e32 v1, s22, v60
	s_add_i32 s36, s35, s23
	v_mov_b32_e32 v3, 0
	s_mov_b64 s[18:19], 0
	v_mov_b32_e32 v61, 0
	s_branch .LBB160_5
.LBB160_3:                              ;   in Loop: Header=BB160_5 Depth=1
	s_or_b64 exec, exec, s[4:5]
	v_fma_f64 v[6:7], -v[6:7], v[22:23], v[8:9]
	v_mov_b32_e32 v2, s22
.LBB160_4:                              ;   in Loop: Header=BB160_5 Depth=1
	s_or_b64 exec, exec, s[2:3]
	v_add_u32_e32 v61, v2, v61
	v_cmp_le_i32_e32 vcc, s23, v61
	s_or_b64 s[18:19], vcc, s[18:19]
	s_andn2_b64 exec, exec, s[18:19]
	s_cbranch_execz .LBB160_20
.LBB160_5:                              ; =>This Inner Loop Header: Depth=1
	v_add_u32_e32 v16, v61, v0
	v_ashrrev_i32_e32 v17, 31, v16
	v_lshl_add_u64 v[4:5], v[16:17], 3, s[16:17]
	global_load_dwordx2 v[14:15], v[4:5], off
	v_cmp_gt_u32_e64 s[0:1], s25, v61
	v_mov_b64_e32 v[8:9], 0
	v_mov_b64_e32 v[4:5], 0
	s_and_saveexec_b64 s[2:3], s[0:1]
	s_cbranch_execz .LBB160_7
; %bb.6:                                ;   in Loop: Header=BB160_5 Depth=1
	v_add_u32_e32 v4, v60, v61
	v_ashrrev_i32_e32 v5, 31, v4
	v_lshl_add_u64 v[4:5], v[4:5], 3, s[12:13]
	global_load_dwordx2 v[4:5], v[4:5], off
.LBB160_7:                              ;   in Loop: Header=BB160_5 Depth=1
	s_or_b64 exec, exec, s[2:3]
	s_and_saveexec_b64 s[2:3], s[0:1]
	s_cbranch_execz .LBB160_9
; %bb.8:                                ;   in Loop: Header=BB160_5 Depth=1
	v_add_u32_e32 v8, v60, v61
	v_ashrrev_i32_e32 v9, 31, v8
	v_lshl_add_u64 v[8:9], v[8:9], 3, s[14:15]
	global_load_dwordx2 v[8:9], v[8:9], off
.LBB160_9:                              ;   in Loop: Header=BB160_5 Depth=1
	s_or_b64 exec, exec, s[2:3]
	v_mov_b64_e32 v[12:13], 0
	v_mov_b64_e32 v[10:11], 0
	s_and_saveexec_b64 s[2:3], s[0:1]
	s_cbranch_execz .LBB160_11
; %bb.10:                               ;   in Loop: Header=BB160_5 Depth=1
	v_add_u32_e32 v10, v60, v61
	v_ashrrev_i32_e32 v11, 31, v10
	v_lshl_add_u64 v[10:11], v[10:11], 3, s[16:17]
	global_load_dwordx2 v[10:11], v[10:11], off
.LBB160_11:                             ;   in Loop: Header=BB160_5 Depth=1
	s_or_b64 exec, exec, s[2:3]
	v_cmp_gt_u32_e64 s[2:3], s26, v61
	s_and_saveexec_b64 s[4:5], s[2:3]
	s_cbranch_execz .LBB160_13
; %bb.12:                               ;   in Loop: Header=BB160_5 Depth=1
	v_add_u32_e32 v12, v1, v61
	v_ashrrev_i32_e32 v13, 31, v12
	v_lshl_add_u64 v[12:13], v[12:13], 3, s[12:13]
	global_load_dwordx2 v[12:13], v[12:13], off
.LBB160_13:                             ;   in Loop: Header=BB160_5 Depth=1
	s_or_b64 exec, exec, s[4:5]
	v_add_u32_e32 v2, s28, v16
	v_lshl_add_u64 v[38:39], v[2:3], 3, s[8:9]
	v_add_u32_e32 v2, s29, v16
	v_lshl_add_u64 v[30:31], v[2:3], 3, s[8:9]
	;; [unrolled: 2-line block ×6, first 2 shown]
	v_lshl_add_u64 v[20:21], v[2:3], 3, s[8:9]
	v_add_u32_e32 v2, s35, v16
	global_load_dword v22, v[18:19], off
	v_lshl_add_u64 v[18:19], v[2:3], 3, s[8:9]
	v_add_u32_e32 v2, s36, v16
	global_load_dwordx2 v[50:51], v[38:39], off
	global_load_dwordx2 v[46:47], v[30:31], off
	;; [unrolled: 1-line block ×4, first 2 shown]
	v_lshl_add_u64 v[16:17], v[2:3], 3, s[8:9]
	global_load_dwordx2 v[44:45], v[26:27], off
	global_load_dwordx2 v[40:41], v[20:21], off
	;; [unrolled: 1-line block ×4, first 2 shown]
	v_cmp_ne_u32_e64 s[4:5], s25, v61
	s_waitcnt vmcnt(8)
	v_cmp_ne_u32_e32 vcc, 1, v22
	s_and_b64 s[4:5], s[4:5], vcc
	v_mul_f64 v[22:23], v[14:15], v[4:5]
	s_and_saveexec_b64 s[20:21], s[4:5]
	s_xor_b64 s[4:5], exec, s[20:21]
	s_cbranch_execz .LBB160_17
; %bb.14:                               ;   in Loop: Header=BB160_5 Depth=1
	v_add_u32_e32 v78, v60, v61
	v_add_u32_e32 v2, s28, v78
	v_fma_f64 v[22:23], v[6:7], v[8:9], -v[22:23]
	v_lshl_add_u64 v[48:49], v[2:3], 3, s[8:9]
	v_div_scale_f64 v[54:55], s[20:21], v[22:23], v[22:23], 1.0
	global_load_dwordx2 v[52:53], v[48:49], off
	v_rcp_f64_e32 v[58:59], v[54:55]
	v_add_u32_e32 v2, s29, v78
	v_lshl_add_u64 v[62:63], v[2:3], 3, s[8:9]
	v_add_u32_e32 v2, s30, v78
	global_load_dwordx2 v[66:67], v[62:63], off
	v_lshl_add_u64 v[64:65], v[2:3], 3, s[8:9]
	v_fma_f64 v[72:73], -v[54:55], v[58:59], 1.0
	global_load_dwordx2 v[70:71], v[64:65], off
	v_fmac_f64_e32 v[58:59], v[58:59], v[72:73]
	v_fma_f64 v[72:73], -v[54:55], v[58:59], 1.0
	v_div_scale_f64 v[56:57], vcc, 1.0, v[22:23], 1.0
	v_add_u32_e32 v2, s31, v78
	v_fmac_f64_e32 v[58:59], v[58:59], v[72:73]
	v_lshl_add_u64 v[68:69], v[2:3], 3, s[8:9]
	v_add_u32_e32 v2, s33, v78
	v_mul_f64 v[72:73], v[56:57], v[58:59]
	v_fma_f64 v[54:55], -v[54:55], v[72:73], v[56:57]
	v_lshl_add_u64 v[74:75], v[2:3], 3, s[8:9]
	v_add_u32_e32 v2, s34, v78
	v_div_fmas_f64 v[54:55], v[54:55], v[58:59], v[72:73]
	v_lshl_add_u64 v[72:73], v[2:3], 3, s[8:9]
	v_add_u32_e32 v2, s35, v78
	v_lshl_add_u64 v[76:77], v[2:3], 3, s[8:9]
	v_add_u32_e32 v2, s36, v78
	global_load_dwordx2 v[78:79], v[68:69], off
	global_load_dwordx2 v[80:81], v[74:75], off
	;; [unrolled: 1-line block ×4, first 2 shown]
	v_lshl_add_u64 v[86:87], v[2:3], 3, s[8:9]
	global_load_dwordx2 v[88:89], v[86:87], off
	v_div_fixup_f64 v[22:23], v[54:55], v[22:23], 1.0
	s_waitcnt vmcnt(15)
	v_mul_f64 v[50:51], v[22:23], v[50:51]
	s_waitcnt vmcnt(14)
	v_mul_f64 v[46:47], v[22:23], v[46:47]
	;; [unrolled: 2-line block ×4, first 2 shown]
	v_mul_f64 v[54:55], v[14:15], v[52:53]
	v_fma_f64 v[54:55], v[8:9], v[50:51], -v[54:55]
	global_store_dwordx2 v[38:39], v[54:55], off
	s_waitcnt vmcnt(7)
	v_mul_f64 v[54:55], v[22:23], v[66:67]
	v_mul_f64 v[38:39], v[14:15], v[54:55]
	v_fma_f64 v[38:39], v[8:9], v[46:47], -v[38:39]
	s_waitcnt vmcnt(6)
	v_mul_f64 v[58:59], v[22:23], v[70:71]
	global_store_dwordx2 v[30:31], v[38:39], off
	v_mul_f64 v[30:31], v[14:15], v[58:59]
	v_fma_f64 v[30:31], v[8:9], v[56:57], -v[30:31]
	global_store_dwordx2 v[28:29], v[30:31], off
	v_mul_f64 v[28:29], v[22:23], v[36:37]
	v_mul_f64 v[38:39], v[22:23], v[44:45]
	s_waitcnt vmcnt(7)
	v_mul_f64 v[30:31], v[22:23], v[78:79]
	v_mul_f64 v[36:37], v[14:15], v[30:31]
	v_fma_f64 v[36:37], v[8:9], v[28:29], -v[36:37]
	s_waitcnt vmcnt(6)
	v_mul_f64 v[42:43], v[22:23], v[80:81]
	global_store_dwordx2 v[24:25], v[36:37], off
	v_mul_f64 v[24:25], v[14:15], v[42:43]
	v_fma_f64 v[24:25], v[8:9], v[38:39], -v[24:25]
	s_waitcnt vmcnt(6)
	v_mul_f64 v[36:37], v[22:23], v[82:83]
	global_store_dwordx2 v[26:27], v[24:25], off
	v_mul_f64 v[26:27], v[22:23], v[40:41]
	v_mul_f64 v[24:25], v[14:15], v[36:37]
	v_fma_f64 v[24:25], v[8:9], v[26:27], -v[24:25]
	global_store_dwordx2 v[20:21], v[24:25], off
	v_mul_f64 v[20:21], v[22:23], v[32:33]
	s_waitcnt vmcnt(7)
	v_mul_f64 v[32:33], v[22:23], v[84:85]
	v_mul_f64 v[24:25], v[22:23], v[34:35]
	;; [unrolled: 1-line block ×3, first 2 shown]
	v_fma_f64 v[34:35], v[8:9], v[24:25], -v[34:35]
	global_store_dwordx2 v[18:19], v[34:35], off
	s_waitcnt vmcnt(7)
	v_mul_f64 v[18:19], v[22:23], v[88:89]
	v_mul_f64 v[14:15], v[14:15], v[18:19]
	v_fma_f64 v[8:9], v[8:9], v[20:21], -v[14:15]
	v_mul_f64 v[34:35], v[4:5], v[50:51]
	global_store_dwordx2 v[16:17], v[8:9], off
	v_mul_f64 v[8:9], v[4:5], v[28:29]
	v_mul_f64 v[40:41], v[4:5], v[46:47]
	;; [unrolled: 1-line block ×4, first 2 shown]
	v_fma_f64 v[34:35], v[6:7], v[52:53], -v[34:35]
	v_fma_f64 v[8:9], v[6:7], v[30:31], -v[8:9]
	v_fma_f64 v[40:41], v[6:7], v[54:55], -v[40:41]
	v_fma_f64 v[14:15], v[6:7], v[58:59], -v[14:15]
	v_fma_f64 v[16:17], v[6:7], v[42:43], -v[16:17]
	global_store_dwordx2 v[48:49], v[34:35], off
	global_store_dwordx2 v[62:63], v[40:41], off
	;; [unrolled: 1-line block ×5, first 2 shown]
	v_mul_f64 v[8:9], v[4:5], v[26:27]
	v_fma_f64 v[8:9], v[6:7], v[36:37], -v[8:9]
	global_store_dwordx2 v[72:73], v[8:9], off
	v_mul_f64 v[8:9], v[4:5], v[24:25]
	v_fma_f64 v[8:9], v[6:7], v[32:33], -v[8:9]
	global_store_dwordx2 v[76:77], v[8:9], off
	;; [unrolled: 3-line block ×3, first 2 shown]
	v_mov_b64_e32 v[8:9], 0
	s_and_saveexec_b64 s[20:21], s[2:3]
	s_cbranch_execz .LBB160_16
; %bb.15:                               ;   in Loop: Header=BB160_5 Depth=1
	v_add_u32_e32 v8, v1, v61
	v_add_u32_e32 v2, s28, v8
	v_lshl_add_u64 v[14:15], v[2:3], 3, s[8:9]
	global_load_dwordx2 v[16:17], v[14:15], off
	v_mul_f64 v[6:7], v[6:7], v[12:13]
	v_mul_f64 v[4:5], v[4:5], v[12:13]
	;; [unrolled: 1-line block ×3, first 2 shown]
	v_add_u32_e32 v2, s29, v8
	v_fma_f64 v[12:13], v[4:5], v[50:51], -v[12:13]
	v_lshl_add_u64 v[34:35], v[2:3], 3, s[8:9]
	v_add_u32_e32 v2, s30, v8
	global_load_dwordx2 v[40:41], v[34:35], off
	v_lshl_add_u64 v[44:45], v[2:3], 3, s[8:9]
	v_add_u32_e32 v2, s31, v8
	v_ashrrev_i32_e32 v9, 31, v8
	s_waitcnt vmcnt(1)
	v_add_f64 v[12:13], v[12:13], v[16:17]
	global_store_dwordx2 v[14:15], v[12:13], off
	global_load_dwordx2 v[12:13], v[44:45], off
	v_mul_f64 v[14:15], v[6:7], v[54:55]
	v_fma_f64 v[14:15], v[4:5], v[46:47], -v[14:15]
	v_mul_f64 v[16:17], v[6:7], v[58:59]
	v_fma_f64 v[16:17], v[4:5], v[56:57], -v[16:17]
	v_lshl_add_u64 v[46:47], v[2:3], 3, s[8:9]
	s_waitcnt vmcnt(2)
	v_add_f64 v[14:15], v[14:15], v[40:41]
	global_store_dwordx2 v[34:35], v[14:15], off
	v_add_u32_e32 v2, s33, v8
	global_load_dwordx2 v[14:15], v[46:47], off
	v_lshl_add_u64 v[48:49], v[2:3], 3, s[8:9]
	v_add_u32_e32 v2, s34, v8
	s_waitcnt vmcnt(2)
	v_add_f64 v[12:13], v[16:17], v[12:13]
	global_store_dwordx2 v[44:45], v[12:13], off
	global_load_dwordx2 v[12:13], v[48:49], off
	v_mul_f64 v[16:17], v[6:7], v[30:31]
	v_mul_f64 v[30:31], v[6:7], v[42:43]
	v_fma_f64 v[16:17], v[4:5], v[28:29], -v[16:17]
	v_fma_f64 v[28:29], v[4:5], v[38:39], -v[30:31]
	v_lshl_add_u64 v[30:31], v[2:3], 3, s[8:9]
	v_add_u32_e32 v2, s35, v8
	s_waitcnt vmcnt(2)
	v_add_f64 v[14:15], v[16:17], v[14:15]
	global_store_dwordx2 v[46:47], v[14:15], off
	v_mul_f64 v[14:15], v[6:7], v[36:37]
	v_fma_f64 v[14:15], v[4:5], v[26:27], -v[14:15]
	v_lshl_add_u64 v[16:17], v[2:3], 3, s[8:9]
	v_add_u32_e32 v2, s36, v8
	v_lshl_add_u64 v[8:9], v[8:9], 3, s[14:15]
	global_load_dwordx2 v[8:9], v[8:9], off
	s_waitcnt vmcnt(2)
	v_add_f64 v[12:13], v[28:29], v[12:13]
	global_store_dwordx2 v[48:49], v[12:13], off
	global_load_dwordx2 v[12:13], v[30:31], off
	s_waitcnt vmcnt(0)
	v_add_f64 v[12:13], v[14:15], v[12:13]
	global_store_dwordx2 v[30:31], v[12:13], off
	global_load_dwordx2 v[12:13], v[16:17], off
	v_mul_f64 v[14:15], v[6:7], v[32:33]
	v_fma_f64 v[14:15], v[4:5], v[24:25], -v[14:15]
	v_lshl_add_u64 v[24:25], v[2:3], 3, s[8:9]
	s_waitcnt vmcnt(0)
	v_add_f64 v[12:13], v[14:15], v[12:13]
	global_store_dwordx2 v[16:17], v[12:13], off
	global_load_dwordx2 v[12:13], v[24:25], off
	v_mul_f64 v[14:15], v[6:7], v[18:19]
	v_mul_f64 v[6:7], v[10:11], v[6:7]
	v_fma_f64 v[4:5], v[4:5], v[20:21], -v[14:15]
	v_fma_f64 v[8:9], -v[22:23], v[6:7], v[8:9]
	s_waitcnt vmcnt(0)
	v_add_f64 v[4:5], v[4:5], v[12:13]
	global_store_dwordx2 v[24:25], v[4:5], off
.LBB160_16:                             ;   in Loop: Header=BB160_5 Depth=1
	s_or_b64 exec, exec, s[20:21]
	v_mov_b64_e32 v[6:7], v[8:9]
                                        ; implicit-def: $vgpr4_vgpr5
                                        ; implicit-def: $vgpr8_vgpr9
                                        ; implicit-def: $vgpr22_vgpr23
                                        ; implicit-def: $vgpr38_vgpr39
                                        ; implicit-def: $vgpr50_vgpr51
                                        ; implicit-def: $vgpr30_vgpr31
                                        ; implicit-def: $vgpr46_vgpr47
                                        ; implicit-def: $vgpr28_vgpr29
                                        ; implicit-def: $vgpr42_vgpr43
                                        ; implicit-def: $vgpr24_vgpr25
                                        ; implicit-def: $vgpr36_vgpr37
                                        ; implicit-def: $vgpr26_vgpr27
                                        ; implicit-def: $vgpr44_vgpr45
                                        ; implicit-def: $vgpr20_vgpr21
                                        ; implicit-def: $vgpr40_vgpr41
                                        ; implicit-def: $vgpr18_vgpr19
                                        ; implicit-def: $vgpr34_vgpr35
                                        ; implicit-def: $vgpr16_vgpr17
                                        ; implicit-def: $vgpr32_vgpr33
.LBB160_17:                             ;   in Loop: Header=BB160_5 Depth=1
	s_or_saveexec_b64 s[2:3], s[4:5]
	v_mov_b32_e32 v2, s27
	s_xor_b64 exec, exec, s[2:3]
	s_cbranch_execz .LBB160_4
; %bb.18:                               ;   in Loop: Header=BB160_5 Depth=1
	v_div_scale_f64 v[10:11], s[4:5], v[6:7], v[6:7], 1.0
	v_rcp_f64_e32 v[12:13], v[10:11]
	v_div_scale_f64 v[14:15], vcc, 1.0, v[6:7], 1.0
	v_fma_f64 v[48:49], -v[10:11], v[12:13], 1.0
	v_fmac_f64_e32 v[12:13], v[12:13], v[48:49]
	v_fma_f64 v[48:49], -v[10:11], v[12:13], 1.0
	v_fmac_f64_e32 v[12:13], v[12:13], v[48:49]
	v_mul_f64 v[48:49], v[14:15], v[12:13]
	v_fma_f64 v[10:11], -v[10:11], v[48:49], v[14:15]
	v_div_fmas_f64 v[10:11], v[10:11], v[12:13], v[48:49]
	v_div_fixup_f64 v[6:7], v[10:11], v[6:7], 1.0
	s_waitcnt vmcnt(7)
	v_mul_f64 v[50:51], v[6:7], v[50:51]
	s_waitcnt vmcnt(6)
	v_mul_f64 v[48:49], v[6:7], v[46:47]
	;; [unrolled: 2-line block ×8, first 2 shown]
	global_store_dwordx2 v[38:39], v[50:51], off
	global_store_dwordx2 v[30:31], v[48:49], off
	global_store_dwordx2 v[28:29], v[46:47], off
	global_store_dwordx2 v[24:25], v[42:43], off
	global_store_dwordx2 v[26:27], v[36:37], off
	global_store_dwordx2 v[20:21], v[14:15], off
	global_store_dwordx2 v[18:19], v[12:13], off
	global_store_dwordx2 v[16:17], v[10:11], off
	s_and_saveexec_b64 s[4:5], s[0:1]
	s_cbranch_execz .LBB160_3
; %bb.19:                               ;   in Loop: Header=BB160_5 Depth=1
	v_add_u32_e32 v30, v60, v61
	v_add_u32_e32 v2, s28, v30
	v_lshl_add_u64 v[16:17], v[2:3], 3, s[8:9]
	global_load_dwordx2 v[18:19], v[16:17], off
	v_add_u32_e32 v2, s29, v30
	v_lshl_add_u64 v[20:21], v[2:3], 3, s[8:9]
	v_add_u32_e32 v2, s30, v30
	global_load_dwordx2 v[24:25], v[20:21], off
	v_lshl_add_u64 v[26:27], v[2:3], 3, s[8:9]
	v_add_u32_e32 v2, s31, v30
	s_waitcnt vmcnt(1)
	v_fma_f64 v[18:19], -v[4:5], v[50:51], v[18:19]
	global_store_dwordx2 v[16:17], v[18:19], off
	global_load_dwordx2 v[16:17], v[26:27], off
	v_lshl_add_u64 v[18:19], v[2:3], 3, s[8:9]
	s_waitcnt vmcnt(2)
	v_fma_f64 v[24:25], -v[4:5], v[48:49], v[24:25]
	global_store_dwordx2 v[20:21], v[24:25], off
	v_add_u32_e32 v2, s33, v30
	global_load_dwordx2 v[20:21], v[18:19], off
	v_lshl_add_u64 v[28:29], v[2:3], 3, s[8:9]
	v_add_u32_e32 v2, s34, v30
	v_lshl_add_u64 v[24:25], v[2:3], 3, s[8:9]
	v_add_u32_e32 v2, s35, v30
	s_waitcnt vmcnt(2)
	v_fma_f64 v[16:17], -v[4:5], v[46:47], v[16:17]
	global_store_dwordx2 v[26:27], v[16:17], off
	global_load_dwordx2 v[16:17], v[28:29], off
	s_waitcnt vmcnt(2)
	v_fma_f64 v[20:21], -v[4:5], v[42:43], v[20:21]
	global_store_dwordx2 v[18:19], v[20:21], off
	v_lshl_add_u64 v[18:19], v[2:3], 3, s[8:9]
	v_add_u32_e32 v2, s36, v30
	s_waitcnt vmcnt(1)
	v_fma_f64 v[16:17], -v[4:5], v[36:37], v[16:17]
	global_store_dwordx2 v[28:29], v[16:17], off
	global_load_dwordx2 v[16:17], v[24:25], off
	s_waitcnt vmcnt(0)
	v_fma_f64 v[14:15], -v[4:5], v[14:15], v[16:17]
	global_store_dwordx2 v[24:25], v[14:15], off
	global_load_dwordx2 v[14:15], v[18:19], off
	s_waitcnt vmcnt(0)
	v_fma_f64 v[12:13], -v[4:5], v[12:13], v[14:15]
	global_store_dwordx2 v[18:19], v[12:13], off
	v_lshl_add_u64 v[12:13], v[2:3], 3, s[8:9]
	global_load_dwordx2 v[14:15], v[12:13], off
	s_waitcnt vmcnt(0)
	v_fma_f64 v[4:5], -v[4:5], v[10:11], v[14:15]
	global_store_dwordx2 v[12:13], v[4:5], off
	s_branch .LBB160_3
.LBB160_20:
	s_or_b64 exec, exec, s[18:19]
	s_branch .LBB160_22
.LBB160_21:
	v_mov_b32_e32 v61, 0
.LBB160_22:
	v_subrev_u32_e32 v1, s22, v61
	v_add_u32_e32 v2, v1, v0
	v_ashrrev_i32_e32 v3, 31, v2
	s_waitcnt lgkmcnt(0)
	v_lshl_add_u64 v[2:3], v[2:3], 2, s[6:7]
	buffer_wbl2 sc1
	s_waitcnt vmcnt(0)
	buffer_inv sc1
	global_load_dword v2, v[2:3], off
	s_waitcnt vmcnt(0)
	v_mul_lo_u32 v2, v2, s22
	v_sub_u32_e32 v1, v1, v2
	v_cmp_lt_i32_e32 vcc, -1, v1
	s_and_b64 exec, exec, vcc
	s_cbranch_execz .LBB160_29
; %bb.23:
	s_lshl_b32 s4, s24, 3
	s_add_i32 s5, s4, s23
	s_add_i32 s12, s5, s23
	;; [unrolled: 1-line block ×7, first 2 shown]
	s_lshl_b32 s18, s22, 1
	s_mov_b64 s[0:1], 0
	v_mov_b32_e32 v3, 0
	s_branch .LBB160_25
.LBB160_24:                             ;   in Loop: Header=BB160_25 Depth=1
	s_or_b64 exec, exec, s[2:3]
	v_sub_u32_e32 v1, v1, v2
	v_cmp_gt_i32_e32 vcc, 0, v1
	s_or_b64 s[0:1], vcc, s[0:1]
	s_andn2_b64 exec, exec, s[0:1]
	s_cbranch_execz .LBB160_29
.LBB160_25:                             ; =>This Inner Loop Header: Depth=1
	v_add_u32_e32 v6, v1, v0
	v_ashrrev_i32_e32 v7, 31, v6
	s_waitcnt vmcnt(0)
	v_lshl_add_u64 v[4:5], v[6:7], 2, s[6:7]
	global_load_dword v2, v[4:5], off
	v_lshl_add_u64 v[4:5], v[6:7], 3, s[10:11]
	global_load_dwordx2 v[4:5], v[4:5], off
	s_waitcnt vmcnt(1)
	v_cmp_ne_u32_e32 vcc, 1, v2
	s_and_saveexec_b64 s[2:3], vcc
	s_xor_b64 s[2:3], exec, s[2:3]
	s_cbranch_execz .LBB160_27
; %bb.26:                               ;   in Loop: Header=BB160_25 Depth=1
	v_add_u32_e32 v7, v60, v1
	v_add_u32_e32 v2, s4, v7
	v_lshl_add_u64 v[8:9], v[2:3], 3, s[8:9]
	v_add_u32_e32 v2, s5, v7
	v_lshl_add_u64 v[10:11], v[2:3], 3, s[8:9]
	;; [unrolled: 2-line block ×9, first 2 shown]
	global_load_dwordx2 v[26:27], v[24:25], off
	global_load_dwordx2 v[28:29], v[8:9], off
	;; [unrolled: 1-line block ×9, first 2 shown]
	v_add_u32_e32 v2, s5, v6
	v_lshl_add_u64 v[8:9], v[2:3], 3, s[8:9]
	v_add_u32_e32 v2, s12, v6
	v_lshl_add_u64 v[12:13], v[2:3], 3, s[8:9]
	v_add_u32_e32 v2, s13, v6
	s_waitcnt vmcnt(7)
	v_fma_f64 v[10:11], -v[4:5], v[28:29], v[26:27]
	global_store_dwordx2 v[24:25], v[10:11], off
	global_load_dwordx2 v[10:11], v[8:9], off
	s_waitcnt vmcnt(0)
	v_fma_f64 v[10:11], -v[4:5], v[30:31], v[10:11]
	global_store_dwordx2 v[8:9], v[10:11], off
	global_load_dwordx2 v[8:9], v[12:13], off
	v_lshl_add_u64 v[10:11], v[2:3], 3, s[8:9]
	v_add_u32_e32 v2, s14, v6
	s_waitcnt vmcnt(0)
	v_fma_f64 v[8:9], -v[4:5], v[32:33], v[8:9]
	global_store_dwordx2 v[12:13], v[8:9], off
	global_load_dwordx2 v[8:9], v[10:11], off
	v_lshl_add_u64 v[12:13], v[2:3], 3, s[8:9]
	v_add_u32_e32 v2, s15, v6
	;; [unrolled: 6-line block ×4, first 2 shown]
	v_lshl_add_u64 v[6:7], v[2:3], 3, s[8:9]
	v_subrev_u32_e32 v2, s22, v1
	s_waitcnt vmcnt(0)
	v_fma_f64 v[8:9], -v[4:5], v[38:39], v[8:9]
	global_store_dwordx2 v[10:11], v[8:9], off
	global_load_dwordx2 v[8:9], v[12:13], off
	v_add_u32_e32 v10, v2, v0
	v_ashrrev_i32_e32 v11, 31, v10
	v_add_u32_e32 v2, s4, v10
	v_lshl_add_u64 v[14:15], v[2:3], 3, s[8:9]
	v_add_u32_e32 v2, s5, v10
	s_waitcnt vmcnt(0)
	v_fma_f64 v[8:9], -v[4:5], v[40:41], v[8:9]
	global_store_dwordx2 v[12:13], v[8:9], off
	global_load_dwordx2 v[8:9], v[6:7], off
	v_lshl_add_u64 v[12:13], v[10:11], 3, s[10:11]
	global_load_dwordx2 v[12:13], v[12:13], off
	s_waitcnt vmcnt(1)
	v_fma_f64 v[4:5], -v[4:5], v[42:43], v[8:9]
	global_store_dwordx2 v[6:7], v[4:5], off
	global_load_dwordx2 v[4:5], v[14:15], off
	v_lshl_add_u64 v[6:7], v[2:3], 3, s[8:9]
	v_add_u32_e32 v2, s12, v10
	v_lshl_add_u64 v[8:9], v[2:3], 3, s[8:9]
	v_add_u32_e32 v2, s13, v10
	s_waitcnt vmcnt(0)
	v_fma_f64 v[4:5], -v[12:13], v[28:29], v[4:5]
	global_store_dwordx2 v[14:15], v[4:5], off
	global_load_dwordx2 v[4:5], v[6:7], off
	s_waitcnt vmcnt(0)
	v_fma_f64 v[4:5], -v[12:13], v[30:31], v[4:5]
	global_store_dwordx2 v[6:7], v[4:5], off
	global_load_dwordx2 v[4:5], v[8:9], off
	v_lshl_add_u64 v[6:7], v[2:3], 3, s[8:9]
	v_add_u32_e32 v2, s14, v10
	s_waitcnt vmcnt(0)
	v_fma_f64 v[4:5], -v[12:13], v[32:33], v[4:5]
	global_store_dwordx2 v[8:9], v[4:5], off
	global_load_dwordx2 v[4:5], v[6:7], off
	v_lshl_add_u64 v[8:9], v[2:3], 3, s[8:9]
	v_add_u32_e32 v2, s15, v10
	;; [unrolled: 6-line block ×4, first 2 shown]
	s_waitcnt vmcnt(0)
	v_fma_f64 v[4:5], -v[12:13], v[38:39], v[4:5]
	global_store_dwordx2 v[6:7], v[4:5], off
	global_load_dwordx2 v[4:5], v[8:9], off
	s_waitcnt vmcnt(0)
	v_fma_f64 v[4:5], -v[12:13], v[40:41], v[4:5]
	global_store_dwordx2 v[8:9], v[4:5], off
	v_lshl_add_u64 v[4:5], v[2:3], 3, s[8:9]
	global_load_dwordx2 v[6:7], v[4:5], off
	s_waitcnt vmcnt(0)
	v_fma_f64 v[6:7], -v[12:13], v[42:43], v[6:7]
	global_store_dwordx2 v[4:5], v[6:7], off
                                        ; implicit-def: $vgpr6
                                        ; implicit-def: $vgpr4_vgpr5
.LBB160_27:                             ;   in Loop: Header=BB160_25 Depth=1
	s_or_saveexec_b64 s[2:3], s[2:3]
	v_mov_b32_e32 v2, s18
	s_xor_b64 exec, exec, s[2:3]
	s_cbranch_execz .LBB160_24
; %bb.28:                               ;   in Loop: Header=BB160_25 Depth=1
	v_add_u32_e32 v7, v60, v1
	v_add_u32_e32 v2, s4, v7
	v_lshl_add_u64 v[8:9], v[2:3], 3, s[8:9]
	v_add_u32_e32 v2, s4, v6
	v_lshl_add_u64 v[10:11], v[2:3], 3, s[8:9]
	global_load_dwordx2 v[12:13], v[8:9], off
	global_load_dwordx2 v[14:15], v[10:11], off
	v_add_u32_e32 v2, s5, v7
	v_lshl_add_u64 v[8:9], v[2:3], 3, s[8:9]
	v_add_u32_e32 v2, s5, v6
	v_lshl_add_u64 v[16:17], v[2:3], 3, s[8:9]
	v_add_u32_e32 v2, s12, v7
	s_waitcnt vmcnt(0)
	v_fma_f64 v[12:13], -v[4:5], v[12:13], v[14:15]
	global_store_dwordx2 v[10:11], v[12:13], off
	global_load_dwordx2 v[10:11], v[8:9], off
	s_nop 0
	global_load_dwordx2 v[12:13], v[16:17], off
	v_lshl_add_u64 v[8:9], v[2:3], 3, s[8:9]
	v_add_u32_e32 v2, s12, v6
	v_lshl_add_u64 v[14:15], v[2:3], 3, s[8:9]
	v_add_u32_e32 v2, s13, v7
	s_waitcnt vmcnt(0)
	v_fma_f64 v[10:11], -v[4:5], v[10:11], v[12:13]
	global_store_dwordx2 v[16:17], v[10:11], off
	global_load_dwordx2 v[10:11], v[8:9], off
	s_nop 0
	global_load_dwordx2 v[12:13], v[14:15], off
	;; [unrolled: 10-line block ×6, first 2 shown]
	v_lshl_add_u64 v[8:9], v[2:3], 3, s[8:9]
	v_add_u32_e32 v2, s17, v6
	v_lshl_add_u64 v[6:7], v[2:3], 3, s[8:9]
	v_mov_b32_e32 v2, s22
	s_waitcnt vmcnt(0)
	v_fma_f64 v[10:11], -v[4:5], v[10:11], v[12:13]
	global_store_dwordx2 v[14:15], v[10:11], off
	global_load_dwordx2 v[10:11], v[8:9], off
	s_nop 0
	global_load_dwordx2 v[12:13], v[6:7], off
	s_waitcnt vmcnt(0)
	v_fma_f64 v[4:5], -v[4:5], v[10:11], v[12:13]
	global_store_dwordx2 v[6:7], v[4:5], off
	s_branch .LBB160_24
.LBB160_29:
	s_endpgm
	.section	.rodata,"a",@progbits
	.p2align	6, 0x0
	.amdhsa_kernel _ZN9rocsparseL19gtsv_LBM_rhs_kernelILj256ELj128ELj8EdEEviiiPKT2_S3_S3_PS1_S3_PKi
		.amdhsa_group_segment_fixed_size 0
		.amdhsa_private_segment_fixed_size 0
		.amdhsa_kernarg_size 64
		.amdhsa_user_sgpr_count 2
		.amdhsa_user_sgpr_dispatch_ptr 0
		.amdhsa_user_sgpr_queue_ptr 0
		.amdhsa_user_sgpr_kernarg_segment_ptr 1
		.amdhsa_user_sgpr_dispatch_id 0
		.amdhsa_user_sgpr_kernarg_preload_length 0
		.amdhsa_user_sgpr_kernarg_preload_offset 0
		.amdhsa_user_sgpr_private_segment_size 0
		.amdhsa_uses_dynamic_stack 0
		.amdhsa_enable_private_segment 0
		.amdhsa_system_sgpr_workgroup_id_x 1
		.amdhsa_system_sgpr_workgroup_id_y 1
		.amdhsa_system_sgpr_workgroup_id_z 0
		.amdhsa_system_sgpr_workgroup_info 0
		.amdhsa_system_vgpr_workitem_id 0
		.amdhsa_next_free_vgpr 90
		.amdhsa_next_free_sgpr 37
		.amdhsa_accum_offset 92
		.amdhsa_reserve_vcc 1
		.amdhsa_float_round_mode_32 0
		.amdhsa_float_round_mode_16_64 0
		.amdhsa_float_denorm_mode_32 3
		.amdhsa_float_denorm_mode_16_64 3
		.amdhsa_dx10_clamp 1
		.amdhsa_ieee_mode 1
		.amdhsa_fp16_overflow 0
		.amdhsa_tg_split 0
		.amdhsa_exception_fp_ieee_invalid_op 0
		.amdhsa_exception_fp_denorm_src 0
		.amdhsa_exception_fp_ieee_div_zero 0
		.amdhsa_exception_fp_ieee_overflow 0
		.amdhsa_exception_fp_ieee_underflow 0
		.amdhsa_exception_fp_ieee_inexact 0
		.amdhsa_exception_int_div_zero 0
	.end_amdhsa_kernel
	.section	.text._ZN9rocsparseL19gtsv_LBM_rhs_kernelILj256ELj128ELj8EdEEviiiPKT2_S3_S3_PS1_S3_PKi,"axG",@progbits,_ZN9rocsparseL19gtsv_LBM_rhs_kernelILj256ELj128ELj8EdEEviiiPKT2_S3_S3_PS1_S3_PKi,comdat
.Lfunc_end160:
	.size	_ZN9rocsparseL19gtsv_LBM_rhs_kernelILj256ELj128ELj8EdEEviiiPKT2_S3_S3_PS1_S3_PKi, .Lfunc_end160-_ZN9rocsparseL19gtsv_LBM_rhs_kernelILj256ELj128ELj8EdEEviiiPKT2_S3_S3_PS1_S3_PKi
                                        ; -- End function
	.set _ZN9rocsparseL19gtsv_LBM_rhs_kernelILj256ELj128ELj8EdEEviiiPKT2_S3_S3_PS1_S3_PKi.num_vgpr, 90
	.set _ZN9rocsparseL19gtsv_LBM_rhs_kernelILj256ELj128ELj8EdEEviiiPKT2_S3_S3_PS1_S3_PKi.num_agpr, 0
	.set _ZN9rocsparseL19gtsv_LBM_rhs_kernelILj256ELj128ELj8EdEEviiiPKT2_S3_S3_PS1_S3_PKi.numbered_sgpr, 37
	.set _ZN9rocsparseL19gtsv_LBM_rhs_kernelILj256ELj128ELj8EdEEviiiPKT2_S3_S3_PS1_S3_PKi.num_named_barrier, 0
	.set _ZN9rocsparseL19gtsv_LBM_rhs_kernelILj256ELj128ELj8EdEEviiiPKT2_S3_S3_PS1_S3_PKi.private_seg_size, 0
	.set _ZN9rocsparseL19gtsv_LBM_rhs_kernelILj256ELj128ELj8EdEEviiiPKT2_S3_S3_PS1_S3_PKi.uses_vcc, 1
	.set _ZN9rocsparseL19gtsv_LBM_rhs_kernelILj256ELj128ELj8EdEEviiiPKT2_S3_S3_PS1_S3_PKi.uses_flat_scratch, 0
	.set _ZN9rocsparseL19gtsv_LBM_rhs_kernelILj256ELj128ELj8EdEEviiiPKT2_S3_S3_PS1_S3_PKi.has_dyn_sized_stack, 0
	.set _ZN9rocsparseL19gtsv_LBM_rhs_kernelILj256ELj128ELj8EdEEviiiPKT2_S3_S3_PS1_S3_PKi.has_recursion, 0
	.set _ZN9rocsparseL19gtsv_LBM_rhs_kernelILj256ELj128ELj8EdEEviiiPKT2_S3_S3_PS1_S3_PKi.has_indirect_call, 0
	.section	.AMDGPU.csdata,"",@progbits
; Kernel info:
; codeLenInByte = 4152
; TotalNumSgprs: 43
; NumVgprs: 90
; NumAgprs: 0
; TotalNumVgprs: 90
; ScratchSize: 0
; MemoryBound: 0
; FloatMode: 240
; IeeeMode: 1
; LDSByteSize: 0 bytes/workgroup (compile time only)
; SGPRBlocks: 5
; VGPRBlocks: 11
; NumSGPRsForWavesPerEU: 43
; NumVGPRsForWavesPerEU: 90
; AccumOffset: 92
; Occupancy: 5
; WaveLimiterHint : 0
; COMPUTE_PGM_RSRC2:SCRATCH_EN: 0
; COMPUTE_PGM_RSRC2:USER_SGPR: 2
; COMPUTE_PGM_RSRC2:TRAP_HANDLER: 0
; COMPUTE_PGM_RSRC2:TGID_X_EN: 1
; COMPUTE_PGM_RSRC2:TGID_Y_EN: 1
; COMPUTE_PGM_RSRC2:TGID_Z_EN: 0
; COMPUTE_PGM_RSRC2:TIDIG_COMP_CNT: 0
; COMPUTE_PGM_RSRC3_GFX90A:ACCUM_OFFSET: 22
; COMPUTE_PGM_RSRC3_GFX90A:TG_SPLIT: 0
	.section	.text._ZN9rocsparseL19gtsv_LBM_rhs_kernelILj256ELj128ELj4EdEEviiiPKT2_S3_S3_PS1_S3_PKi,"axG",@progbits,_ZN9rocsparseL19gtsv_LBM_rhs_kernelILj256ELj128ELj4EdEEviiiPKT2_S3_S3_PS1_S3_PKi,comdat
	.globl	_ZN9rocsparseL19gtsv_LBM_rhs_kernelILj256ELj128ELj4EdEEviiiPKT2_S3_S3_PS1_S3_PKi ; -- Begin function _ZN9rocsparseL19gtsv_LBM_rhs_kernelILj256ELj128ELj4EdEEviiiPKT2_S3_S3_PS1_S3_PKi
	.p2align	8
	.type	_ZN9rocsparseL19gtsv_LBM_rhs_kernelILj256ELj128ELj4EdEEviiiPKT2_S3_S3_PS1_S3_PKi,@function
_ZN9rocsparseL19gtsv_LBM_rhs_kernelILj256ELj128ELj4EdEEviiiPKT2_S3_S3_PS1_S3_PKi: ; @_ZN9rocsparseL19gtsv_LBM_rhs_kernelILj256ELj128ELj4EdEEviiiPKT2_S3_S3_PS1_S3_PKi
; %bb.0:
	s_load_dword s23, s[0:1], 0x0
	v_lshl_or_b32 v0, s2, 8, v0
	s_waitcnt lgkmcnt(0)
	s_lshr_b32 s22, s23, 7
	v_cmp_gt_i32_e32 vcc, s22, v0
	s_and_saveexec_b64 s[4:5], vcc
	s_cbranch_execz .LBB161_29
; %bb.1:
	s_load_dwordx4 s[8:11], s[0:1], 0x28
	s_load_dwordx2 s[6:7], s[0:1], 0x38
	s_cmp_lt_i32 s23, 1
	v_add_u32_e32 v42, s22, v0
	s_mul_i32 s24, s3, s23
	s_cbranch_scc1 .LBB161_21
; %bb.2:
	s_load_dwordx4 s[12:15], s[0:1], 0x10
	s_load_dwordx2 s[16:17], s[0:1], 0x20
	v_ashrrev_i32_e32 v1, 31, v0
	s_lshl_b32 s28, s24, 2
	s_add_i32 s29, s28, s23
	s_waitcnt lgkmcnt(0)
	v_lshl_add_u64 v[2:3], v[0:1], 3, s[14:15]
	global_load_dwordx2 v[4:5], v[2:3], off
	s_add_i32 s30, s29, s23
	s_mul_i32 s25, s22, 0x7f
	s_mul_i32 s26, s22, 0x7e
	s_lshl_b32 s27, s22, 1
	v_add_u32_e32 v43, s22, v42
	s_add_i32 s31, s30, s23
	v_mov_b32_e32 v3, 0
	s_mov_b64 s[18:19], 0
	v_mov_b32_e32 v1, 0
	s_branch .LBB161_5
.LBB161_3:                              ;   in Loop: Header=BB161_5 Depth=1
	s_or_b64 exec, exec, s[4:5]
	v_fma_f64 v[4:5], -v[4:5], v[14:15], v[8:9]
	v_mov_b32_e32 v2, s22
.LBB161_4:                              ;   in Loop: Header=BB161_5 Depth=1
	s_or_b64 exec, exec, s[2:3]
	v_add_u32_e32 v1, v2, v1
	v_cmp_le_i32_e32 vcc, s23, v1
	s_or_b64 s[18:19], vcc, s[18:19]
	s_andn2_b64 exec, exec, s[18:19]
	s_cbranch_execz .LBB161_20
.LBB161_5:                              ; =>This Inner Loop Header: Depth=1
	v_add_u32_e32 v14, v1, v0
	v_ashrrev_i32_e32 v15, 31, v14
	v_lshl_add_u64 v[6:7], v[14:15], 3, s[16:17]
	global_load_dwordx2 v[20:21], v[6:7], off
	v_cmp_gt_u32_e64 s[0:1], s25, v1
	v_mov_b64_e32 v[8:9], 0
	v_mov_b64_e32 v[6:7], 0
	s_and_saveexec_b64 s[2:3], s[0:1]
	s_cbranch_execz .LBB161_7
; %bb.6:                                ;   in Loop: Header=BB161_5 Depth=1
	v_add_u32_e32 v6, v42, v1
	v_ashrrev_i32_e32 v7, 31, v6
	v_lshl_add_u64 v[6:7], v[6:7], 3, s[12:13]
	global_load_dwordx2 v[6:7], v[6:7], off
.LBB161_7:                              ;   in Loop: Header=BB161_5 Depth=1
	s_or_b64 exec, exec, s[2:3]
	s_and_saveexec_b64 s[2:3], s[0:1]
	s_cbranch_execz .LBB161_9
; %bb.8:                                ;   in Loop: Header=BB161_5 Depth=1
	v_add_u32_e32 v8, v42, v1
	v_ashrrev_i32_e32 v9, 31, v8
	v_lshl_add_u64 v[8:9], v[8:9], 3, s[14:15]
	global_load_dwordx2 v[8:9], v[8:9], off
.LBB161_9:                              ;   in Loop: Header=BB161_5 Depth=1
	s_or_b64 exec, exec, s[2:3]
	v_mov_b64_e32 v[12:13], 0
	v_mov_b64_e32 v[10:11], 0
	s_and_saveexec_b64 s[2:3], s[0:1]
	s_cbranch_execz .LBB161_11
; %bb.10:                               ;   in Loop: Header=BB161_5 Depth=1
	v_add_u32_e32 v10, v42, v1
	v_ashrrev_i32_e32 v11, 31, v10
	v_lshl_add_u64 v[10:11], v[10:11], 3, s[16:17]
	global_load_dwordx2 v[10:11], v[10:11], off
.LBB161_11:                             ;   in Loop: Header=BB161_5 Depth=1
	s_or_b64 exec, exec, s[2:3]
	v_cmp_gt_u32_e64 s[2:3], s26, v1
	s_and_saveexec_b64 s[4:5], s[2:3]
	s_cbranch_execz .LBB161_13
; %bb.12:                               ;   in Loop: Header=BB161_5 Depth=1
	v_add_u32_e32 v12, v43, v1
	v_ashrrev_i32_e32 v13, 31, v12
	v_lshl_add_u64 v[12:13], v[12:13], 3, s[12:13]
	global_load_dwordx2 v[12:13], v[12:13], off
.LBB161_13:                             ;   in Loop: Header=BB161_5 Depth=1
	s_or_b64 exec, exec, s[4:5]
	v_add_u32_e32 v2, s28, v14
	v_lshl_add_u64 v[26:27], v[2:3], 3, s[8:9]
	v_add_u32_e32 v2, s29, v14
	v_lshl_add_u64 v[28:29], v[2:3], 3, s[8:9]
	v_add_u32_e32 v2, s30, v14
	s_waitcnt vmcnt(4)
	v_lshl_add_u64 v[16:17], v[14:15], 2, s[6:7]
	v_lshl_add_u64 v[30:31], v[2:3], 3, s[8:9]
	v_add_u32_e32 v2, s31, v14
	global_load_dword v15, v[16:17], off
	v_lshl_add_u64 v[34:35], v[2:3], 3, s[8:9]
	global_load_dwordx2 v[16:17], v[26:27], off
	global_load_dwordx2 v[18:19], v[28:29], off
	;; [unrolled: 1-line block ×4, first 2 shown]
	v_cmp_ne_u32_e64 s[4:5], s25, v1
	s_waitcnt vmcnt(4)
	v_cmp_ne_u32_e32 vcc, 1, v15
	s_and_b64 s[4:5], s[4:5], vcc
	v_mul_f64 v[14:15], v[20:21], v[6:7]
	s_and_saveexec_b64 s[20:21], s[4:5]
	s_xor_b64 s[4:5], exec, s[20:21]
	s_cbranch_execz .LBB161_17
; %bb.14:                               ;   in Loop: Header=BB161_5 Depth=1
	v_fma_f64 v[14:15], v[4:5], v[8:9], -v[14:15]
	v_div_scale_f64 v[22:23], s[20:21], v[14:15], v[14:15], 1.0
	v_rcp_f64_e32 v[24:25], v[22:23]
	s_nop 0
	v_fma_f64 v[38:39], -v[22:23], v[24:25], 1.0
	v_fmac_f64_e32 v[24:25], v[24:25], v[38:39]
	v_fma_f64 v[38:39], -v[22:23], v[24:25], 1.0
	v_fmac_f64_e32 v[24:25], v[24:25], v[38:39]
	v_div_scale_f64 v[38:39], vcc, 1.0, v[14:15], 1.0
	v_mul_f64 v[40:41], v[38:39], v[24:25]
	v_fma_f64 v[22:23], -v[22:23], v[40:41], v[38:39]
	s_nop 1
	v_div_fmas_f64 v[22:23], v[22:23], v[24:25], v[40:41]
	v_div_fixup_f64 v[14:15], v[22:23], v[14:15], 1.0
	s_waitcnt vmcnt(2)
	v_mul_f64 v[24:25], v[14:15], v[18:19]
	s_waitcnt vmcnt(0)
	v_mul_f64 v[18:19], v[14:15], v[36:37]
	v_add_u32_e32 v36, v42, v1
	v_add_u32_e32 v2, s28, v36
	v_lshl_add_u64 v[44:45], v[2:3], 3, s[8:9]
	v_mul_f64 v[22:23], v[14:15], v[16:17]
	v_mul_f64 v[16:17], v[14:15], v[32:33]
	global_load_dwordx2 v[32:33], v[44:45], off
	v_add_u32_e32 v2, s29, v36
	v_lshl_add_u64 v[46:47], v[2:3], 3, s[8:9]
	v_add_u32_e32 v2, s30, v36
	v_lshl_add_u64 v[48:49], v[2:3], 3, s[8:9]
	;; [unrolled: 2-line block ×3, first 2 shown]
	global_load_dwordx2 v[36:37], v[50:51], off
	s_waitcnt vmcnt(1)
	v_mul_f64 v[38:39], v[14:15], v[32:33]
	global_load_dwordx2 v[32:33], v[46:47], off
	v_mul_f64 v[52:53], v[20:21], v[38:39]
	v_fma_f64 v[52:53], v[8:9], v[22:23], -v[52:53]
	s_waitcnt vmcnt(1)
	v_mul_f64 v[36:37], v[14:15], v[36:37]
	s_waitcnt vmcnt(0)
	v_mul_f64 v[40:41], v[14:15], v[32:33]
	global_load_dwordx2 v[32:33], v[48:49], off
	s_waitcnt vmcnt(0)
	v_mul_f64 v[32:33], v[14:15], v[32:33]
	global_store_dwordx2 v[26:27], v[52:53], off
	v_mul_f64 v[26:27], v[20:21], v[40:41]
	v_fma_f64 v[26:27], v[8:9], v[24:25], -v[26:27]
	global_store_dwordx2 v[28:29], v[26:27], off
	v_mul_f64 v[26:27], v[20:21], v[32:33]
	v_mul_f64 v[20:21], v[20:21], v[36:37]
	v_fma_f64 v[26:27], v[8:9], v[16:17], -v[26:27]
	v_fma_f64 v[8:9], v[8:9], v[18:19], -v[20:21]
	global_store_dwordx2 v[30:31], v[26:27], off
	global_store_dwordx2 v[34:35], v[8:9], off
	v_mul_f64 v[8:9], v[6:7], v[22:23]
	v_fma_f64 v[8:9], v[4:5], v[38:39], -v[8:9]
	global_store_dwordx2 v[44:45], v[8:9], off
	v_mul_f64 v[8:9], v[6:7], v[24:25]
	v_fma_f64 v[8:9], v[4:5], v[40:41], -v[8:9]
	;; [unrolled: 3-line block ×4, first 2 shown]
	global_store_dwordx2 v[50:51], v[8:9], off
	v_mov_b64_e32 v[8:9], 0
	s_and_saveexec_b64 s[20:21], s[2:3]
	s_cbranch_execz .LBB161_16
; %bb.15:                               ;   in Loop: Header=BB161_5 Depth=1
	v_add_u32_e32 v8, v43, v1
	v_add_u32_e32 v2, s28, v8
	v_lshl_add_u64 v[20:21], v[2:3], 3, s[8:9]
	v_add_u32_e32 v2, s29, v8
	global_load_dwordx2 v[26:27], v[20:21], off
	v_lshl_add_u64 v[28:29], v[2:3], 3, s[8:9]
	global_load_dwordx2 v[30:31], v[28:29], off
	v_mul_f64 v[4:5], v[4:5], v[12:13]
	v_mul_f64 v[6:7], v[6:7], v[12:13]
	;; [unrolled: 1-line block ×4, first 2 shown]
	v_fma_f64 v[12:13], v[6:7], v[22:23], -v[12:13]
	v_fma_f64 v[22:23], v[6:7], v[24:25], -v[34:35]
	v_add_u32_e32 v2, s30, v8
	v_ashrrev_i32_e32 v9, 31, v8
	v_lshl_add_u64 v[24:25], v[2:3], 3, s[8:9]
	v_add_u32_e32 v2, s31, v8
	v_lshl_add_u64 v[34:35], v[2:3], 3, s[8:9]
	v_lshl_add_u64 v[8:9], v[8:9], 3, s[14:15]
	global_load_dwordx2 v[8:9], v[8:9], off
	s_waitcnt vmcnt(2)
	v_add_f64 v[12:13], v[12:13], v[26:27]
	global_store_dwordx2 v[20:21], v[12:13], off
	s_waitcnt vmcnt(2)
	v_add_f64 v[12:13], v[22:23], v[30:31]
	global_store_dwordx2 v[28:29], v[12:13], off
	global_load_dwordx2 v[20:21], v[24:25], off
	v_mul_f64 v[22:23], v[4:5], v[32:33]
	global_load_dwordx2 v[12:13], v[34:35], off
	v_mul_f64 v[26:27], v[4:5], v[36:37]
	v_mul_f64 v[4:5], v[10:11], v[4:5]
	v_fma_f64 v[10:11], v[6:7], v[16:17], -v[22:23]
	v_fma_f64 v[6:7], v[6:7], v[18:19], -v[26:27]
	s_waitcnt vmcnt(4)
	v_fma_f64 v[8:9], -v[14:15], v[4:5], v[8:9]
	s_waitcnt vmcnt(1)
	v_add_f64 v[10:11], v[10:11], v[20:21]
	global_store_dwordx2 v[24:25], v[10:11], off
	s_waitcnt vmcnt(1)
	v_add_f64 v[6:7], v[6:7], v[12:13]
	global_store_dwordx2 v[34:35], v[6:7], off
.LBB161_16:                             ;   in Loop: Header=BB161_5 Depth=1
	s_or_b64 exec, exec, s[20:21]
	v_mov_b64_e32 v[4:5], v[8:9]
                                        ; implicit-def: $vgpr6_vgpr7
                                        ; implicit-def: $vgpr8_vgpr9
                                        ; implicit-def: $vgpr14_vgpr15
                                        ; implicit-def: $vgpr26_vgpr27
                                        ; implicit-def: $vgpr16_vgpr17
                                        ; implicit-def: $vgpr28_vgpr29
                                        ; implicit-def: $vgpr18_vgpr19
                                        ; implicit-def: $vgpr30_vgpr31
                                        ; implicit-def: $vgpr32_vgpr33
                                        ; implicit-def: $vgpr34_vgpr35
                                        ; implicit-def: $vgpr36_vgpr37
.LBB161_17:                             ;   in Loop: Header=BB161_5 Depth=1
	s_or_saveexec_b64 s[2:3], s[4:5]
	v_mov_b32_e32 v2, s27
	s_xor_b64 exec, exec, s[2:3]
	s_cbranch_execz .LBB161_4
; %bb.18:                               ;   in Loop: Header=BB161_5 Depth=1
	v_div_scale_f64 v[10:11], s[4:5], v[4:5], v[4:5], 1.0
	v_rcp_f64_e32 v[12:13], v[10:11]
	v_div_scale_f64 v[20:21], vcc, 1.0, v[4:5], 1.0
	v_fma_f64 v[22:23], -v[10:11], v[12:13], 1.0
	v_fmac_f64_e32 v[12:13], v[12:13], v[22:23]
	v_fma_f64 v[22:23], -v[10:11], v[12:13], 1.0
	v_fmac_f64_e32 v[12:13], v[12:13], v[22:23]
	v_mul_f64 v[22:23], v[20:21], v[12:13]
	v_fma_f64 v[10:11], -v[10:11], v[22:23], v[20:21]
	v_div_fmas_f64 v[10:11], v[10:11], v[12:13], v[22:23]
	v_div_fixup_f64 v[4:5], v[10:11], v[4:5], 1.0
	s_waitcnt vmcnt(3)
	v_mul_f64 v[20:21], v[4:5], v[16:17]
	s_waitcnt vmcnt(2)
	v_mul_f64 v[16:17], v[4:5], v[18:19]
	;; [unrolled: 2-line block ×4, first 2 shown]
	global_store_dwordx2 v[26:27], v[20:21], off
	global_store_dwordx2 v[28:29], v[16:17], off
	;; [unrolled: 1-line block ×4, first 2 shown]
	s_and_saveexec_b64 s[4:5], s[0:1]
	s_cbranch_execz .LBB161_3
; %bb.19:                               ;   in Loop: Header=BB161_5 Depth=1
	v_add_u32_e32 v30, v42, v1
	v_add_u32_e32 v2, s28, v30
	v_lshl_add_u64 v[18:19], v[2:3], 3, s[8:9]
	v_add_u32_e32 v2, s29, v30
	v_lshl_add_u64 v[24:25], v[2:3], 3, s[8:9]
	global_load_dwordx2 v[22:23], v[18:19], off
	global_load_dwordx2 v[26:27], v[24:25], off
	v_add_u32_e32 v2, s30, v30
	v_lshl_add_u64 v[28:29], v[2:3], 3, s[8:9]
	v_add_u32_e32 v2, s31, v30
	v_lshl_add_u64 v[30:31], v[2:3], 3, s[8:9]
	s_waitcnt vmcnt(1)
	v_fma_f64 v[20:21], -v[6:7], v[20:21], v[22:23]
	s_waitcnt vmcnt(0)
	v_fma_f64 v[16:17], -v[6:7], v[16:17], v[26:27]
	global_store_dwordx2 v[18:19], v[20:21], off
	global_store_dwordx2 v[24:25], v[16:17], off
	global_load_dwordx2 v[18:19], v[28:29], off
	s_nop 0
	global_load_dwordx2 v[16:17], v[30:31], off
	s_waitcnt vmcnt(1)
	v_fma_f64 v[12:13], -v[6:7], v[12:13], v[18:19]
	global_store_dwordx2 v[28:29], v[12:13], off
	s_waitcnt vmcnt(1)
	v_fma_f64 v[6:7], -v[6:7], v[10:11], v[16:17]
	global_store_dwordx2 v[30:31], v[6:7], off
	s_branch .LBB161_3
.LBB161_20:
	s_or_b64 exec, exec, s[18:19]
	s_branch .LBB161_22
.LBB161_21:
	v_mov_b32_e32 v1, 0
.LBB161_22:
	v_subrev_u32_e32 v1, s22, v1
	v_add_u32_e32 v2, v1, v0
	v_ashrrev_i32_e32 v3, 31, v2
	s_waitcnt lgkmcnt(0)
	v_lshl_add_u64 v[2:3], v[2:3], 2, s[6:7]
	buffer_wbl2 sc1
	s_waitcnt vmcnt(0)
	buffer_inv sc1
	global_load_dword v2, v[2:3], off
	s_waitcnt vmcnt(0)
	v_mul_lo_u32 v2, v2, s22
	v_sub_u32_e32 v1, v1, v2
	v_cmp_lt_i32_e32 vcc, -1, v1
	s_and_b64 exec, exec, vcc
	s_cbranch_execz .LBB161_29
; %bb.23:
	s_lshl_b32 s4, s24, 2
	s_add_i32 s5, s4, s23
	s_add_i32 s12, s5, s23
	;; [unrolled: 1-line block ×3, first 2 shown]
	s_lshl_b32 s14, s22, 1
	s_mov_b64 s[0:1], 0
	v_mov_b32_e32 v3, 0
	s_branch .LBB161_25
.LBB161_24:                             ;   in Loop: Header=BB161_25 Depth=1
	s_or_b64 exec, exec, s[2:3]
	v_sub_u32_e32 v1, v1, v2
	v_cmp_gt_i32_e32 vcc, 0, v1
	s_or_b64 s[0:1], vcc, s[0:1]
	s_andn2_b64 exec, exec, s[0:1]
	s_cbranch_execz .LBB161_29
.LBB161_25:                             ; =>This Inner Loop Header: Depth=1
	v_add_u32_e32 v6, v1, v0
	v_ashrrev_i32_e32 v7, 31, v6
	s_waitcnt vmcnt(0)
	v_lshl_add_u64 v[4:5], v[6:7], 2, s[6:7]
	global_load_dword v2, v[4:5], off
	v_lshl_add_u64 v[4:5], v[6:7], 3, s[10:11]
	global_load_dwordx2 v[4:5], v[4:5], off
	s_waitcnt vmcnt(1)
	v_cmp_ne_u32_e32 vcc, 1, v2
	s_and_saveexec_b64 s[2:3], vcc
	s_xor_b64 s[2:3], exec, s[2:3]
	s_cbranch_execz .LBB161_27
; %bb.26:                               ;   in Loop: Header=BB161_25 Depth=1
	v_add_u32_e32 v7, v42, v1
	v_add_u32_e32 v2, s4, v7
	v_lshl_add_u64 v[8:9], v[2:3], 3, s[8:9]
	v_add_u32_e32 v2, s5, v7
	v_lshl_add_u64 v[10:11], v[2:3], 3, s[8:9]
	;; [unrolled: 2-line block ×5, first 2 shown]
	global_load_dwordx2 v[18:19], v[16:17], off
	global_load_dwordx2 v[20:21], v[8:9], off
	;; [unrolled: 1-line block ×5, first 2 shown]
	v_add_u32_e32 v2, s5, v6
	v_lshl_add_u64 v[8:9], v[2:3], 3, s[8:9]
	v_add_u32_e32 v2, s12, v6
	v_lshl_add_u64 v[12:13], v[2:3], 3, s[8:9]
	;; [unrolled: 2-line block ×3, first 2 shown]
	v_subrev_u32_e32 v2, s22, v1
	s_waitcnt vmcnt(3)
	v_fma_f64 v[10:11], -v[4:5], v[20:21], v[18:19]
	global_store_dwordx2 v[16:17], v[10:11], off
	global_load_dwordx2 v[10:11], v[8:9], off
	s_waitcnt vmcnt(0)
	v_fma_f64 v[10:11], -v[4:5], v[22:23], v[10:11]
	global_store_dwordx2 v[8:9], v[10:11], off
	global_load_dwordx2 v[8:9], v[12:13], off
	v_add_u32_e32 v10, v2, v0
	v_ashrrev_i32_e32 v11, 31, v10
	v_add_u32_e32 v2, s4, v10
	v_lshl_add_u64 v[14:15], v[2:3], 3, s[8:9]
	v_add_u32_e32 v2, s5, v10
	s_waitcnt vmcnt(0)
	v_fma_f64 v[8:9], -v[4:5], v[24:25], v[8:9]
	global_store_dwordx2 v[12:13], v[8:9], off
	global_load_dwordx2 v[8:9], v[6:7], off
	v_lshl_add_u64 v[12:13], v[10:11], 3, s[10:11]
	global_load_dwordx2 v[12:13], v[12:13], off
	s_waitcnt vmcnt(1)
	v_fma_f64 v[4:5], -v[4:5], v[26:27], v[8:9]
	global_store_dwordx2 v[6:7], v[4:5], off
	global_load_dwordx2 v[4:5], v[14:15], off
	v_lshl_add_u64 v[6:7], v[2:3], 3, s[8:9]
	v_add_u32_e32 v2, s12, v10
	v_lshl_add_u64 v[8:9], v[2:3], 3, s[8:9]
	v_add_u32_e32 v2, s13, v10
	s_waitcnt vmcnt(0)
	v_fma_f64 v[4:5], -v[12:13], v[20:21], v[4:5]
	global_store_dwordx2 v[14:15], v[4:5], off
	global_load_dwordx2 v[4:5], v[6:7], off
	s_waitcnt vmcnt(0)
	v_fma_f64 v[4:5], -v[12:13], v[22:23], v[4:5]
	global_store_dwordx2 v[6:7], v[4:5], off
	global_load_dwordx2 v[4:5], v[8:9], off
	s_waitcnt vmcnt(0)
	v_fma_f64 v[4:5], -v[12:13], v[24:25], v[4:5]
	global_store_dwordx2 v[8:9], v[4:5], off
	v_lshl_add_u64 v[4:5], v[2:3], 3, s[8:9]
	global_load_dwordx2 v[6:7], v[4:5], off
	s_waitcnt vmcnt(0)
	v_fma_f64 v[6:7], -v[12:13], v[26:27], v[6:7]
	global_store_dwordx2 v[4:5], v[6:7], off
                                        ; implicit-def: $vgpr6
                                        ; implicit-def: $vgpr4_vgpr5
.LBB161_27:                             ;   in Loop: Header=BB161_25 Depth=1
	s_or_saveexec_b64 s[2:3], s[2:3]
	v_mov_b32_e32 v2, s14
	s_xor_b64 exec, exec, s[2:3]
	s_cbranch_execz .LBB161_24
; %bb.28:                               ;   in Loop: Header=BB161_25 Depth=1
	v_add_u32_e32 v7, v42, v1
	v_add_u32_e32 v2, s4, v7
	v_lshl_add_u64 v[8:9], v[2:3], 3, s[8:9]
	v_add_u32_e32 v2, s4, v6
	v_lshl_add_u64 v[10:11], v[2:3], 3, s[8:9]
	global_load_dwordx2 v[12:13], v[8:9], off
	global_load_dwordx2 v[14:15], v[10:11], off
	v_add_u32_e32 v2, s5, v7
	v_lshl_add_u64 v[8:9], v[2:3], 3, s[8:9]
	v_add_u32_e32 v2, s5, v6
	v_lshl_add_u64 v[16:17], v[2:3], 3, s[8:9]
	v_add_u32_e32 v2, s12, v7
	s_waitcnt vmcnt(0)
	v_fma_f64 v[12:13], -v[4:5], v[12:13], v[14:15]
	global_store_dwordx2 v[10:11], v[12:13], off
	global_load_dwordx2 v[10:11], v[8:9], off
	s_nop 0
	global_load_dwordx2 v[12:13], v[16:17], off
	v_lshl_add_u64 v[8:9], v[2:3], 3, s[8:9]
	v_add_u32_e32 v2, s12, v6
	v_lshl_add_u64 v[14:15], v[2:3], 3, s[8:9]
	v_add_u32_e32 v2, s13, v7
	s_waitcnt vmcnt(0)
	v_fma_f64 v[10:11], -v[4:5], v[10:11], v[12:13]
	global_store_dwordx2 v[16:17], v[10:11], off
	global_load_dwordx2 v[10:11], v[8:9], off
	s_nop 0
	global_load_dwordx2 v[12:13], v[14:15], off
	v_lshl_add_u64 v[8:9], v[2:3], 3, s[8:9]
	v_add_u32_e32 v2, s13, v6
	v_lshl_add_u64 v[6:7], v[2:3], 3, s[8:9]
	v_mov_b32_e32 v2, s22
	s_waitcnt vmcnt(0)
	v_fma_f64 v[10:11], -v[4:5], v[10:11], v[12:13]
	global_store_dwordx2 v[14:15], v[10:11], off
	global_load_dwordx2 v[10:11], v[8:9], off
	s_nop 0
	global_load_dwordx2 v[12:13], v[6:7], off
	s_waitcnt vmcnt(0)
	v_fma_f64 v[4:5], -v[4:5], v[10:11], v[12:13]
	global_store_dwordx2 v[6:7], v[4:5], off
	s_branch .LBB161_24
.LBB161_29:
	s_endpgm
	.section	.rodata,"a",@progbits
	.p2align	6, 0x0
	.amdhsa_kernel _ZN9rocsparseL19gtsv_LBM_rhs_kernelILj256ELj128ELj4EdEEviiiPKT2_S3_S3_PS1_S3_PKi
		.amdhsa_group_segment_fixed_size 0
		.amdhsa_private_segment_fixed_size 0
		.amdhsa_kernarg_size 64
		.amdhsa_user_sgpr_count 2
		.amdhsa_user_sgpr_dispatch_ptr 0
		.amdhsa_user_sgpr_queue_ptr 0
		.amdhsa_user_sgpr_kernarg_segment_ptr 1
		.amdhsa_user_sgpr_dispatch_id 0
		.amdhsa_user_sgpr_kernarg_preload_length 0
		.amdhsa_user_sgpr_kernarg_preload_offset 0
		.amdhsa_user_sgpr_private_segment_size 0
		.amdhsa_uses_dynamic_stack 0
		.amdhsa_enable_private_segment 0
		.amdhsa_system_sgpr_workgroup_id_x 1
		.amdhsa_system_sgpr_workgroup_id_y 1
		.amdhsa_system_sgpr_workgroup_id_z 0
		.amdhsa_system_sgpr_workgroup_info 0
		.amdhsa_system_vgpr_workitem_id 0
		.amdhsa_next_free_vgpr 54
		.amdhsa_next_free_sgpr 32
		.amdhsa_accum_offset 56
		.amdhsa_reserve_vcc 1
		.amdhsa_float_round_mode_32 0
		.amdhsa_float_round_mode_16_64 0
		.amdhsa_float_denorm_mode_32 3
		.amdhsa_float_denorm_mode_16_64 3
		.amdhsa_dx10_clamp 1
		.amdhsa_ieee_mode 1
		.amdhsa_fp16_overflow 0
		.amdhsa_tg_split 0
		.amdhsa_exception_fp_ieee_invalid_op 0
		.amdhsa_exception_fp_denorm_src 0
		.amdhsa_exception_fp_ieee_div_zero 0
		.amdhsa_exception_fp_ieee_overflow 0
		.amdhsa_exception_fp_ieee_underflow 0
		.amdhsa_exception_fp_ieee_inexact 0
		.amdhsa_exception_int_div_zero 0
	.end_amdhsa_kernel
	.section	.text._ZN9rocsparseL19gtsv_LBM_rhs_kernelILj256ELj128ELj4EdEEviiiPKT2_S3_S3_PS1_S3_PKi,"axG",@progbits,_ZN9rocsparseL19gtsv_LBM_rhs_kernelILj256ELj128ELj4EdEEviiiPKT2_S3_S3_PS1_S3_PKi,comdat
.Lfunc_end161:
	.size	_ZN9rocsparseL19gtsv_LBM_rhs_kernelILj256ELj128ELj4EdEEviiiPKT2_S3_S3_PS1_S3_PKi, .Lfunc_end161-_ZN9rocsparseL19gtsv_LBM_rhs_kernelILj256ELj128ELj4EdEEviiiPKT2_S3_S3_PS1_S3_PKi
                                        ; -- End function
	.set _ZN9rocsparseL19gtsv_LBM_rhs_kernelILj256ELj128ELj4EdEEviiiPKT2_S3_S3_PS1_S3_PKi.num_vgpr, 54
	.set _ZN9rocsparseL19gtsv_LBM_rhs_kernelILj256ELj128ELj4EdEEviiiPKT2_S3_S3_PS1_S3_PKi.num_agpr, 0
	.set _ZN9rocsparseL19gtsv_LBM_rhs_kernelILj256ELj128ELj4EdEEviiiPKT2_S3_S3_PS1_S3_PKi.numbered_sgpr, 32
	.set _ZN9rocsparseL19gtsv_LBM_rhs_kernelILj256ELj128ELj4EdEEviiiPKT2_S3_S3_PS1_S3_PKi.num_named_barrier, 0
	.set _ZN9rocsparseL19gtsv_LBM_rhs_kernelILj256ELj128ELj4EdEEviiiPKT2_S3_S3_PS1_S3_PKi.private_seg_size, 0
	.set _ZN9rocsparseL19gtsv_LBM_rhs_kernelILj256ELj128ELj4EdEEviiiPKT2_S3_S3_PS1_S3_PKi.uses_vcc, 1
	.set _ZN9rocsparseL19gtsv_LBM_rhs_kernelILj256ELj128ELj4EdEEviiiPKT2_S3_S3_PS1_S3_PKi.uses_flat_scratch, 0
	.set _ZN9rocsparseL19gtsv_LBM_rhs_kernelILj256ELj128ELj4EdEEviiiPKT2_S3_S3_PS1_S3_PKi.has_dyn_sized_stack, 0
	.set _ZN9rocsparseL19gtsv_LBM_rhs_kernelILj256ELj128ELj4EdEEviiiPKT2_S3_S3_PS1_S3_PKi.has_recursion, 0
	.set _ZN9rocsparseL19gtsv_LBM_rhs_kernelILj256ELj128ELj4EdEEviiiPKT2_S3_S3_PS1_S3_PKi.has_indirect_call, 0
	.section	.AMDGPU.csdata,"",@progbits
; Kernel info:
; codeLenInByte = 2584
; TotalNumSgprs: 38
; NumVgprs: 54
; NumAgprs: 0
; TotalNumVgprs: 54
; ScratchSize: 0
; MemoryBound: 0
; FloatMode: 240
; IeeeMode: 1
; LDSByteSize: 0 bytes/workgroup (compile time only)
; SGPRBlocks: 4
; VGPRBlocks: 6
; NumSGPRsForWavesPerEU: 38
; NumVGPRsForWavesPerEU: 54
; AccumOffset: 56
; Occupancy: 8
; WaveLimiterHint : 0
; COMPUTE_PGM_RSRC2:SCRATCH_EN: 0
; COMPUTE_PGM_RSRC2:USER_SGPR: 2
; COMPUTE_PGM_RSRC2:TRAP_HANDLER: 0
; COMPUTE_PGM_RSRC2:TGID_X_EN: 1
; COMPUTE_PGM_RSRC2:TGID_Y_EN: 1
; COMPUTE_PGM_RSRC2:TGID_Z_EN: 0
; COMPUTE_PGM_RSRC2:TIDIG_COMP_CNT: 0
; COMPUTE_PGM_RSRC3_GFX90A:ACCUM_OFFSET: 13
; COMPUTE_PGM_RSRC3_GFX90A:TG_SPLIT: 0
	.section	.text._ZN9rocsparseL19gtsv_LBM_rhs_kernelILj256ELj128ELj2EdEEviiiPKT2_S3_S3_PS1_S3_PKi,"axG",@progbits,_ZN9rocsparseL19gtsv_LBM_rhs_kernelILj256ELj128ELj2EdEEviiiPKT2_S3_S3_PS1_S3_PKi,comdat
	.globl	_ZN9rocsparseL19gtsv_LBM_rhs_kernelILj256ELj128ELj2EdEEviiiPKT2_S3_S3_PS1_S3_PKi ; -- Begin function _ZN9rocsparseL19gtsv_LBM_rhs_kernelILj256ELj128ELj2EdEEviiiPKT2_S3_S3_PS1_S3_PKi
	.p2align	8
	.type	_ZN9rocsparseL19gtsv_LBM_rhs_kernelILj256ELj128ELj2EdEEviiiPKT2_S3_S3_PS1_S3_PKi,@function
_ZN9rocsparseL19gtsv_LBM_rhs_kernelILj256ELj128ELj2EdEEviiiPKT2_S3_S3_PS1_S3_PKi: ; @_ZN9rocsparseL19gtsv_LBM_rhs_kernelILj256ELj128ELj2EdEEviiiPKT2_S3_S3_PS1_S3_PKi
; %bb.0:
	s_load_dword s23, s[0:1], 0x0
	v_lshl_or_b32 v0, s2, 8, v0
	s_waitcnt lgkmcnt(0)
	s_lshr_b32 s22, s23, 7
	v_cmp_gt_i32_e32 vcc, s22, v0
	s_and_saveexec_b64 s[4:5], vcc
	s_cbranch_execz .LBB162_29
; %bb.1:
	s_load_dwordx4 s[8:11], s[0:1], 0x28
	s_load_dwordx2 s[6:7], s[0:1], 0x38
	s_cmp_lt_i32 s23, 1
	v_add_u32_e32 v30, s22, v0
	s_mul_i32 s24, s3, s23
	s_cbranch_scc1 .LBB162_21
; %bb.2:
	s_load_dwordx4 s[12:15], s[0:1], 0x10
	s_load_dwordx2 s[16:17], s[0:1], 0x20
	v_ashrrev_i32_e32 v1, 31, v0
	s_lshl_b32 s28, s24, 1
	s_mul_i32 s25, s22, 0x7f
	s_waitcnt lgkmcnt(0)
	v_lshl_add_u64 v[2:3], v[0:1], 3, s[14:15]
	global_load_dwordx2 v[4:5], v[2:3], off
	s_mul_i32 s26, s22, 0x7e
	s_lshl_b32 s27, s22, 1
	v_add_u32_e32 v31, s22, v30
	s_add_i32 s29, s28, s23
	v_mov_b32_e32 v3, 0
	s_mov_b64 s[18:19], 0
	v_mov_b32_e32 v1, 0
	s_branch .LBB162_5
.LBB162_3:                              ;   in Loop: Header=BB162_5 Depth=1
	s_or_b64 exec, exec, s[4:5]
	v_fma_f64 v[4:5], -v[4:5], v[20:21], v[8:9]
	v_mov_b32_e32 v2, s22
.LBB162_4:                              ;   in Loop: Header=BB162_5 Depth=1
	s_or_b64 exec, exec, s[2:3]
	v_add_u32_e32 v1, v2, v1
	v_cmp_le_i32_e32 vcc, s23, v1
	s_or_b64 s[18:19], vcc, s[18:19]
	s_andn2_b64 exec, exec, s[18:19]
	s_cbranch_execz .LBB162_20
.LBB162_5:                              ; =>This Inner Loop Header: Depth=1
	v_add_u32_e32 v18, v1, v0
	v_ashrrev_i32_e32 v19, 31, v18
	v_lshl_add_u64 v[6:7], v[18:19], 3, s[16:17]
	global_load_dwordx2 v[12:13], v[6:7], off
	v_cmp_gt_u32_e64 s[0:1], s25, v1
	v_mov_b64_e32 v[8:9], 0
	v_mov_b64_e32 v[6:7], 0
	s_and_saveexec_b64 s[2:3], s[0:1]
	s_cbranch_execz .LBB162_7
; %bb.6:                                ;   in Loop: Header=BB162_5 Depth=1
	v_add_u32_e32 v6, v30, v1
	v_ashrrev_i32_e32 v7, 31, v6
	v_lshl_add_u64 v[6:7], v[6:7], 3, s[12:13]
	global_load_dwordx2 v[6:7], v[6:7], off
.LBB162_7:                              ;   in Loop: Header=BB162_5 Depth=1
	s_or_b64 exec, exec, s[2:3]
	s_and_saveexec_b64 s[2:3], s[0:1]
	s_cbranch_execz .LBB162_9
; %bb.8:                                ;   in Loop: Header=BB162_5 Depth=1
	v_add_u32_e32 v8, v30, v1
	v_ashrrev_i32_e32 v9, 31, v8
	v_lshl_add_u64 v[8:9], v[8:9], 3, s[14:15]
	global_load_dwordx2 v[8:9], v[8:9], off
.LBB162_9:                              ;   in Loop: Header=BB162_5 Depth=1
	s_or_b64 exec, exec, s[2:3]
	v_mov_b64_e32 v[14:15], 0
	v_mov_b64_e32 v[10:11], 0
	s_and_saveexec_b64 s[2:3], s[0:1]
	s_cbranch_execz .LBB162_11
; %bb.10:                               ;   in Loop: Header=BB162_5 Depth=1
	v_add_u32_e32 v10, v30, v1
	v_ashrrev_i32_e32 v11, 31, v10
	v_lshl_add_u64 v[10:11], v[10:11], 3, s[16:17]
	global_load_dwordx2 v[10:11], v[10:11], off
.LBB162_11:                             ;   in Loop: Header=BB162_5 Depth=1
	s_or_b64 exec, exec, s[2:3]
	v_cmp_gt_u32_e64 s[2:3], s26, v1
	s_and_saveexec_b64 s[4:5], s[2:3]
	s_cbranch_execz .LBB162_13
; %bb.12:                               ;   in Loop: Header=BB162_5 Depth=1
	v_add_u32_e32 v14, v31, v1
	v_ashrrev_i32_e32 v15, 31, v14
	v_lshl_add_u64 v[14:15], v[14:15], 3, s[12:13]
	global_load_dwordx2 v[14:15], v[14:15], off
.LBB162_13:                             ;   in Loop: Header=BB162_5 Depth=1
	s_or_b64 exec, exec, s[4:5]
	v_lshl_add_u64 v[16:17], v[18:19], 2, s[6:7]
	global_load_dword v20, v[16:17], off
	v_add_u32_e32 v2, s28, v18
	v_lshl_add_u64 v[16:17], v[2:3], 3, s[8:9]
	v_add_u32_e32 v2, s29, v18
	v_lshl_add_u64 v[18:19], v[2:3], 3, s[8:9]
	global_load_dwordx2 v[22:23], v[16:17], off
	global_load_dwordx2 v[24:25], v[18:19], off
	v_cmp_ne_u32_e32 vcc, s25, v1
	s_waitcnt vmcnt(2)
	v_cmp_ne_u32_e64 s[4:5], 1, v20
	s_and_b64 s[4:5], vcc, s[4:5]
	v_mul_f64 v[20:21], v[12:13], v[6:7]
	s_and_saveexec_b64 s[20:21], s[4:5]
	s_xor_b64 s[4:5], exec, s[20:21]
	s_cbranch_execz .LBB162_17
; %bb.14:                               ;   in Loop: Header=BB162_5 Depth=1
	v_add_u32_e32 v26, v30, v1
	v_add_u32_e32 v2, s28, v26
	v_lshl_add_u64 v[32:33], v[2:3], 3, s[8:9]
	v_add_u32_e32 v2, s29, v26
	v_lshl_add_u64 v[34:35], v[2:3], 3, s[8:9]
	global_load_dwordx2 v[26:27], v[32:33], off
	global_load_dwordx2 v[28:29], v[34:35], off
	v_fma_f64 v[20:21], v[4:5], v[8:9], -v[20:21]
	v_div_scale_f64 v[36:37], s[20:21], v[20:21], v[20:21], 1.0
	v_rcp_f64_e32 v[38:39], v[36:37]
	v_div_scale_f64 v[40:41], vcc, 1.0, v[20:21], 1.0
	v_fma_f64 v[42:43], -v[36:37], v[38:39], 1.0
	v_fmac_f64_e32 v[38:39], v[38:39], v[42:43]
	v_fma_f64 v[42:43], -v[36:37], v[38:39], 1.0
	v_fmac_f64_e32 v[38:39], v[38:39], v[42:43]
	v_mul_f64 v[42:43], v[40:41], v[38:39]
	v_fma_f64 v[36:37], -v[36:37], v[42:43], v[40:41]
	v_div_fmas_f64 v[36:37], v[36:37], v[38:39], v[42:43]
	v_div_fixup_f64 v[20:21], v[36:37], v[20:21], 1.0
	s_waitcnt vmcnt(3)
	v_mul_f64 v[22:23], v[20:21], v[22:23]
	s_waitcnt vmcnt(2)
	v_mul_f64 v[24:25], v[20:21], v[24:25]
	v_mul_f64 v[36:37], v[6:7], v[22:23]
	;; [unrolled: 1-line block ×3, first 2 shown]
	s_waitcnt vmcnt(1)
	v_mul_f64 v[26:27], v[20:21], v[26:27]
	s_waitcnt vmcnt(0)
	v_mul_f64 v[28:29], v[20:21], v[28:29]
	v_mul_f64 v[40:41], v[12:13], v[26:27]
	;; [unrolled: 1-line block ×3, first 2 shown]
	v_fma_f64 v[40:41], v[8:9], v[22:23], -v[40:41]
	v_fma_f64 v[8:9], v[8:9], v[24:25], -v[12:13]
	;; [unrolled: 1-line block ×4, first 2 shown]
	global_store_dwordx2 v[16:17], v[40:41], off
	global_store_dwordx2 v[18:19], v[8:9], off
	;; [unrolled: 1-line block ×4, first 2 shown]
	v_mov_b64_e32 v[8:9], 0
	s_and_saveexec_b64 s[20:21], s[2:3]
	s_cbranch_execz .LBB162_16
; %bb.15:                               ;   in Loop: Header=BB162_5 Depth=1
	v_add_u32_e32 v8, v31, v1
	v_add_u32_e32 v2, s28, v8
	v_ashrrev_i32_e32 v9, 31, v8
	v_lshl_add_u64 v[12:13], v[2:3], 3, s[8:9]
	v_add_u32_e32 v2, s29, v8
	v_lshl_add_u64 v[8:9], v[8:9], 3, s[14:15]
	v_lshl_add_u64 v[16:17], v[2:3], 3, s[8:9]
	global_load_dwordx2 v[18:19], v[12:13], off
	global_load_dwordx2 v[32:33], v[16:17], off
	v_mul_f64 v[4:5], v[4:5], v[14:15]
	global_load_dwordx2 v[8:9], v[8:9], off
	v_mul_f64 v[6:7], v[6:7], v[14:15]
	v_mul_f64 v[14:15], v[4:5], v[26:27]
	;; [unrolled: 1-line block ×4, first 2 shown]
	v_fma_f64 v[10:11], v[6:7], v[22:23], -v[14:15]
	v_fma_f64 v[6:7], v[6:7], v[24:25], -v[26:27]
	s_waitcnt vmcnt(2)
	v_add_f64 v[10:11], v[10:11], v[18:19]
	s_waitcnt vmcnt(1)
	v_add_f64 v[6:7], v[6:7], v[32:33]
	global_store_dwordx2 v[12:13], v[10:11], off
	s_waitcnt vmcnt(1)
	v_fma_f64 v[8:9], -v[20:21], v[4:5], v[8:9]
	global_store_dwordx2 v[16:17], v[6:7], off
.LBB162_16:                             ;   in Loop: Header=BB162_5 Depth=1
	s_or_b64 exec, exec, s[20:21]
	v_mov_b64_e32 v[4:5], v[8:9]
                                        ; implicit-def: $vgpr20_vgpr21
                                        ; implicit-def: $vgpr8_vgpr9
                                        ; implicit-def: $vgpr22_vgpr23
                                        ; implicit-def: $vgpr24_vgpr25
                                        ; implicit-def: $vgpr16_vgpr17
                                        ; implicit-def: $vgpr18_vgpr19
                                        ; implicit-def: $vgpr6_vgpr7
.LBB162_17:                             ;   in Loop: Header=BB162_5 Depth=1
	s_or_saveexec_b64 s[2:3], s[4:5]
	v_mov_b32_e32 v2, s27
	s_xor_b64 exec, exec, s[2:3]
	s_cbranch_execz .LBB162_4
; %bb.18:                               ;   in Loop: Header=BB162_5 Depth=1
	v_div_scale_f64 v[10:11], s[4:5], v[4:5], v[4:5], 1.0
	v_rcp_f64_e32 v[12:13], v[10:11]
	v_div_scale_f64 v[14:15], vcc, 1.0, v[4:5], 1.0
	v_fma_f64 v[26:27], -v[10:11], v[12:13], 1.0
	v_fmac_f64_e32 v[12:13], v[12:13], v[26:27]
	v_fma_f64 v[26:27], -v[10:11], v[12:13], 1.0
	v_fmac_f64_e32 v[12:13], v[12:13], v[26:27]
	v_mul_f64 v[26:27], v[14:15], v[12:13]
	v_fma_f64 v[10:11], -v[10:11], v[26:27], v[14:15]
	v_div_fmas_f64 v[10:11], v[10:11], v[12:13], v[26:27]
	v_div_fixup_f64 v[4:5], v[10:11], v[4:5], 1.0
	s_waitcnt vmcnt(1)
	v_mul_f64 v[12:13], v[4:5], v[22:23]
	s_waitcnt vmcnt(0)
	v_mul_f64 v[10:11], v[4:5], v[24:25]
	global_store_dwordx2 v[16:17], v[12:13], off
	global_store_dwordx2 v[18:19], v[10:11], off
	s_and_saveexec_b64 s[4:5], s[0:1]
	s_cbranch_execz .LBB162_3
; %bb.19:                               ;   in Loop: Header=BB162_5 Depth=1
	v_add_u32_e32 v18, v30, v1
	v_add_u32_e32 v2, s28, v18
	v_lshl_add_u64 v[14:15], v[2:3], 3, s[8:9]
	v_add_u32_e32 v2, s29, v18
	v_lshl_add_u64 v[18:19], v[2:3], 3, s[8:9]
	global_load_dwordx2 v[16:17], v[14:15], off
	global_load_dwordx2 v[22:23], v[18:19], off
	s_waitcnt vmcnt(1)
	v_fma_f64 v[12:13], -v[6:7], v[12:13], v[16:17]
	s_waitcnt vmcnt(0)
	v_fma_f64 v[6:7], -v[6:7], v[10:11], v[22:23]
	global_store_dwordx2 v[14:15], v[12:13], off
	global_store_dwordx2 v[18:19], v[6:7], off
	s_branch .LBB162_3
.LBB162_20:
	s_or_b64 exec, exec, s[18:19]
	s_branch .LBB162_22
.LBB162_21:
	v_mov_b32_e32 v1, 0
.LBB162_22:
	v_subrev_u32_e32 v1, s22, v1
	v_add_u32_e32 v2, v1, v0
	v_ashrrev_i32_e32 v3, 31, v2
	s_waitcnt lgkmcnt(0)
	v_lshl_add_u64 v[2:3], v[2:3], 2, s[6:7]
	buffer_wbl2 sc1
	s_waitcnt vmcnt(0)
	buffer_inv sc1
	global_load_dword v2, v[2:3], off
	s_waitcnt vmcnt(0)
	v_mul_lo_u32 v2, v2, s22
	v_sub_u32_e32 v1, v1, v2
	v_cmp_lt_i32_e32 vcc, -1, v1
	s_and_b64 exec, exec, vcc
	s_cbranch_execz .LBB162_29
; %bb.23:
	s_lshl_b32 s4, s24, 1
	s_add_i32 s5, s4, s23
	s_lshl_b32 s12, s22, 1
	s_mov_b64 s[0:1], 0
	v_mov_b32_e32 v3, 0
	s_branch .LBB162_25
.LBB162_24:                             ;   in Loop: Header=BB162_25 Depth=1
	s_or_b64 exec, exec, s[2:3]
	v_sub_u32_e32 v1, v1, v2
	v_cmp_gt_i32_e32 vcc, 0, v1
	s_or_b64 s[0:1], vcc, s[0:1]
	s_andn2_b64 exec, exec, s[0:1]
	s_cbranch_execz .LBB162_29
.LBB162_25:                             ; =>This Inner Loop Header: Depth=1
	v_add_u32_e32 v6, v1, v0
	v_ashrrev_i32_e32 v7, 31, v6
	s_waitcnt vmcnt(0)
	v_lshl_add_u64 v[4:5], v[6:7], 2, s[6:7]
	global_load_dword v2, v[4:5], off
	v_lshl_add_u64 v[4:5], v[6:7], 3, s[10:11]
	global_load_dwordx2 v[4:5], v[4:5], off
	s_waitcnt vmcnt(1)
	v_cmp_ne_u32_e32 vcc, 1, v2
	s_and_saveexec_b64 s[2:3], vcc
	s_xor_b64 s[2:3], exec, s[2:3]
	s_cbranch_execz .LBB162_27
; %bb.26:                               ;   in Loop: Header=BB162_25 Depth=1
	v_add_u32_e32 v7, v30, v1
	v_add_u32_e32 v2, s4, v7
	v_lshl_add_u64 v[8:9], v[2:3], 3, s[8:9]
	v_add_u32_e32 v2, s5, v7
	v_lshl_add_u64 v[10:11], v[2:3], 3, s[8:9]
	;; [unrolled: 2-line block ×3, first 2 shown]
	global_load_dwordx2 v[14:15], v[8:9], off
	global_load_dwordx2 v[16:17], v[12:13], off
	;; [unrolled: 1-line block ×3, first 2 shown]
	v_add_u32_e32 v2, s5, v6
	v_lshl_add_u64 v[6:7], v[2:3], 3, s[8:9]
	v_subrev_u32_e32 v2, s22, v1
	v_add_u32_e32 v10, v2, v0
	v_ashrrev_i32_e32 v11, 31, v10
	v_add_u32_e32 v2, s4, v10
	s_waitcnt vmcnt(1)
	v_fma_f64 v[8:9], -v[4:5], v[14:15], v[16:17]
	global_store_dwordx2 v[12:13], v[8:9], off
	global_load_dwordx2 v[8:9], v[6:7], off
	v_lshl_add_u64 v[12:13], v[10:11], 3, s[10:11]
	v_lshl_add_u64 v[16:17], v[2:3], 3, s[8:9]
	global_load_dwordx2 v[12:13], v[12:13], off
	v_add_u32_e32 v2, s5, v10
	s_waitcnt vmcnt(1)
	v_fma_f64 v[4:5], -v[4:5], v[18:19], v[8:9]
	global_store_dwordx2 v[6:7], v[4:5], off
	global_load_dwordx2 v[4:5], v[16:17], off
	s_waitcnt vmcnt(0)
	v_fma_f64 v[4:5], -v[12:13], v[14:15], v[4:5]
	global_store_dwordx2 v[16:17], v[4:5], off
	v_lshl_add_u64 v[4:5], v[2:3], 3, s[8:9]
	global_load_dwordx2 v[6:7], v[4:5], off
	s_waitcnt vmcnt(0)
	v_fma_f64 v[6:7], -v[12:13], v[18:19], v[6:7]
	global_store_dwordx2 v[4:5], v[6:7], off
                                        ; implicit-def: $vgpr6
                                        ; implicit-def: $vgpr4_vgpr5
.LBB162_27:                             ;   in Loop: Header=BB162_25 Depth=1
	s_or_saveexec_b64 s[2:3], s[2:3]
	v_mov_b32_e32 v2, s12
	s_xor_b64 exec, exec, s[2:3]
	s_cbranch_execz .LBB162_24
; %bb.28:                               ;   in Loop: Header=BB162_25 Depth=1
	v_add_u32_e32 v7, v30, v1
	v_add_u32_e32 v2, s4, v7
	v_lshl_add_u64 v[8:9], v[2:3], 3, s[8:9]
	v_add_u32_e32 v2, s4, v6
	v_lshl_add_u64 v[10:11], v[2:3], 3, s[8:9]
	global_load_dwordx2 v[12:13], v[8:9], off
	global_load_dwordx2 v[14:15], v[10:11], off
	v_add_u32_e32 v2, s5, v7
	v_lshl_add_u64 v[8:9], v[2:3], 3, s[8:9]
	v_add_u32_e32 v2, s5, v6
	v_lshl_add_u64 v[6:7], v[2:3], 3, s[8:9]
	v_mov_b32_e32 v2, s22
	s_waitcnt vmcnt(0)
	v_fma_f64 v[12:13], -v[4:5], v[12:13], v[14:15]
	global_store_dwordx2 v[10:11], v[12:13], off
	global_load_dwordx2 v[10:11], v[8:9], off
	s_nop 0
	global_load_dwordx2 v[12:13], v[6:7], off
	s_waitcnt vmcnt(0)
	v_fma_f64 v[4:5], -v[4:5], v[10:11], v[12:13]
	global_store_dwordx2 v[6:7], v[4:5], off
	s_branch .LBB162_24
.LBB162_29:
	s_endpgm
	.section	.rodata,"a",@progbits
	.p2align	6, 0x0
	.amdhsa_kernel _ZN9rocsparseL19gtsv_LBM_rhs_kernelILj256ELj128ELj2EdEEviiiPKT2_S3_S3_PS1_S3_PKi
		.amdhsa_group_segment_fixed_size 0
		.amdhsa_private_segment_fixed_size 0
		.amdhsa_kernarg_size 64
		.amdhsa_user_sgpr_count 2
		.amdhsa_user_sgpr_dispatch_ptr 0
		.amdhsa_user_sgpr_queue_ptr 0
		.amdhsa_user_sgpr_kernarg_segment_ptr 1
		.amdhsa_user_sgpr_dispatch_id 0
		.amdhsa_user_sgpr_kernarg_preload_length 0
		.amdhsa_user_sgpr_kernarg_preload_offset 0
		.amdhsa_user_sgpr_private_segment_size 0
		.amdhsa_uses_dynamic_stack 0
		.amdhsa_enable_private_segment 0
		.amdhsa_system_sgpr_workgroup_id_x 1
		.amdhsa_system_sgpr_workgroup_id_y 1
		.amdhsa_system_sgpr_workgroup_id_z 0
		.amdhsa_system_sgpr_workgroup_info 0
		.amdhsa_system_vgpr_workitem_id 0
		.amdhsa_next_free_vgpr 44
		.amdhsa_next_free_sgpr 30
		.amdhsa_accum_offset 44
		.amdhsa_reserve_vcc 1
		.amdhsa_float_round_mode_32 0
		.amdhsa_float_round_mode_16_64 0
		.amdhsa_float_denorm_mode_32 3
		.amdhsa_float_denorm_mode_16_64 3
		.amdhsa_dx10_clamp 1
		.amdhsa_ieee_mode 1
		.amdhsa_fp16_overflow 0
		.amdhsa_tg_split 0
		.amdhsa_exception_fp_ieee_invalid_op 0
		.amdhsa_exception_fp_denorm_src 0
		.amdhsa_exception_fp_ieee_div_zero 0
		.amdhsa_exception_fp_ieee_overflow 0
		.amdhsa_exception_fp_ieee_underflow 0
		.amdhsa_exception_fp_ieee_inexact 0
		.amdhsa_exception_int_div_zero 0
	.end_amdhsa_kernel
	.section	.text._ZN9rocsparseL19gtsv_LBM_rhs_kernelILj256ELj128ELj2EdEEviiiPKT2_S3_S3_PS1_S3_PKi,"axG",@progbits,_ZN9rocsparseL19gtsv_LBM_rhs_kernelILj256ELj128ELj2EdEEviiiPKT2_S3_S3_PS1_S3_PKi,comdat
.Lfunc_end162:
	.size	_ZN9rocsparseL19gtsv_LBM_rhs_kernelILj256ELj128ELj2EdEEviiiPKT2_S3_S3_PS1_S3_PKi, .Lfunc_end162-_ZN9rocsparseL19gtsv_LBM_rhs_kernelILj256ELj128ELj2EdEEviiiPKT2_S3_S3_PS1_S3_PKi
                                        ; -- End function
	.set _ZN9rocsparseL19gtsv_LBM_rhs_kernelILj256ELj128ELj2EdEEviiiPKT2_S3_S3_PS1_S3_PKi.num_vgpr, 44
	.set _ZN9rocsparseL19gtsv_LBM_rhs_kernelILj256ELj128ELj2EdEEviiiPKT2_S3_S3_PS1_S3_PKi.num_agpr, 0
	.set _ZN9rocsparseL19gtsv_LBM_rhs_kernelILj256ELj128ELj2EdEEviiiPKT2_S3_S3_PS1_S3_PKi.numbered_sgpr, 30
	.set _ZN9rocsparseL19gtsv_LBM_rhs_kernelILj256ELj128ELj2EdEEviiiPKT2_S3_S3_PS1_S3_PKi.num_named_barrier, 0
	.set _ZN9rocsparseL19gtsv_LBM_rhs_kernelILj256ELj128ELj2EdEEviiiPKT2_S3_S3_PS1_S3_PKi.private_seg_size, 0
	.set _ZN9rocsparseL19gtsv_LBM_rhs_kernelILj256ELj128ELj2EdEEviiiPKT2_S3_S3_PS1_S3_PKi.uses_vcc, 1
	.set _ZN9rocsparseL19gtsv_LBM_rhs_kernelILj256ELj128ELj2EdEEviiiPKT2_S3_S3_PS1_S3_PKi.uses_flat_scratch, 0
	.set _ZN9rocsparseL19gtsv_LBM_rhs_kernelILj256ELj128ELj2EdEEviiiPKT2_S3_S3_PS1_S3_PKi.has_dyn_sized_stack, 0
	.set _ZN9rocsparseL19gtsv_LBM_rhs_kernelILj256ELj128ELj2EdEEviiiPKT2_S3_S3_PS1_S3_PKi.has_recursion, 0
	.set _ZN9rocsparseL19gtsv_LBM_rhs_kernelILj256ELj128ELj2EdEEviiiPKT2_S3_S3_PS1_S3_PKi.has_indirect_call, 0
	.section	.AMDGPU.csdata,"",@progbits
; Kernel info:
; codeLenInByte = 1776
; TotalNumSgprs: 36
; NumVgprs: 44
; NumAgprs: 0
; TotalNumVgprs: 44
; ScratchSize: 0
; MemoryBound: 0
; FloatMode: 240
; IeeeMode: 1
; LDSByteSize: 0 bytes/workgroup (compile time only)
; SGPRBlocks: 4
; VGPRBlocks: 5
; NumSGPRsForWavesPerEU: 36
; NumVGPRsForWavesPerEU: 44
; AccumOffset: 44
; Occupancy: 8
; WaveLimiterHint : 0
; COMPUTE_PGM_RSRC2:SCRATCH_EN: 0
; COMPUTE_PGM_RSRC2:USER_SGPR: 2
; COMPUTE_PGM_RSRC2:TRAP_HANDLER: 0
; COMPUTE_PGM_RSRC2:TGID_X_EN: 1
; COMPUTE_PGM_RSRC2:TGID_Y_EN: 1
; COMPUTE_PGM_RSRC2:TGID_Z_EN: 0
; COMPUTE_PGM_RSRC2:TIDIG_COMP_CNT: 0
; COMPUTE_PGM_RSRC3_GFX90A:ACCUM_OFFSET: 10
; COMPUTE_PGM_RSRC3_GFX90A:TG_SPLIT: 0
	.section	.text._ZN9rocsparseL19gtsv_LBM_rhs_kernelILj256ELj128ELj1EdEEviiiPKT2_S3_S3_PS1_S3_PKi,"axG",@progbits,_ZN9rocsparseL19gtsv_LBM_rhs_kernelILj256ELj128ELj1EdEEviiiPKT2_S3_S3_PS1_S3_PKi,comdat
	.globl	_ZN9rocsparseL19gtsv_LBM_rhs_kernelILj256ELj128ELj1EdEEviiiPKT2_S3_S3_PS1_S3_PKi ; -- Begin function _ZN9rocsparseL19gtsv_LBM_rhs_kernelILj256ELj128ELj1EdEEviiiPKT2_S3_S3_PS1_S3_PKi
	.p2align	8
	.type	_ZN9rocsparseL19gtsv_LBM_rhs_kernelILj256ELj128ELj1EdEEviiiPKT2_S3_S3_PS1_S3_PKi,@function
_ZN9rocsparseL19gtsv_LBM_rhs_kernelILj256ELj128ELj1EdEEviiiPKT2_S3_S3_PS1_S3_PKi: ; @_ZN9rocsparseL19gtsv_LBM_rhs_kernelILj256ELj128ELj1EdEEviiiPKT2_S3_S3_PS1_S3_PKi
; %bb.0:
	s_load_dword s24, s[0:1], 0x0
	v_lshl_or_b32 v0, s2, 8, v0
	s_waitcnt lgkmcnt(0)
	s_lshr_b32 s22, s24, 7
	v_cmp_gt_i32_e32 vcc, s22, v0
	s_and_saveexec_b64 s[4:5], vcc
	s_cbranch_execz .LBB163_29
; %bb.1:
	s_load_dwordx4 s[8:11], s[0:1], 0x28
	s_load_dwordx2 s[6:7], s[0:1], 0x38
	s_cmp_lt_i32 s24, 1
	s_mul_i32 s23, s24, s3
	s_cbranch_scc1 .LBB163_21
; %bb.2:
	s_load_dwordx4 s[12:15], s[0:1], 0x10
	s_load_dwordx2 s[16:17], s[0:1], 0x20
	v_ashrrev_i32_e32 v1, 31, v0
	v_add_u32_e32 v24, s22, v0
	s_mul_i32 s25, s22, 0x7f
	s_waitcnt lgkmcnt(0)
	v_lshl_add_u64 v[2:3], v[0:1], 3, s[14:15]
	global_load_dwordx2 v[4:5], v[2:3], off
	s_mul_i32 s26, s22, 0x7e
	s_lshl_b32 s27, s22, 1
	v_add_u32_e32 v25, s22, v24
	v_add_u32_e32 v26, s23, v24
	v_mov_b32_e32 v3, 0
	s_mov_b64 s[18:19], 0
	v_mov_b32_e32 v1, 0
	s_branch .LBB163_5
.LBB163_3:                              ;   in Loop: Header=BB163_5 Depth=1
	s_or_b64 exec, exec, s[4:5]
	v_fma_f64 v[4:5], -v[4:5], v[18:19], v[8:9]
	v_mov_b32_e32 v2, s22
.LBB163_4:                              ;   in Loop: Header=BB163_5 Depth=1
	s_or_b64 exec, exec, s[2:3]
	v_add_u32_e32 v1, v2, v1
	v_cmp_le_i32_e32 vcc, s24, v1
	s_or_b64 s[18:19], vcc, s[18:19]
	s_andn2_b64 exec, exec, s[18:19]
	s_cbranch_execz .LBB163_20
.LBB163_5:                              ; =>This Inner Loop Header: Depth=1
	v_add_u32_e32 v16, v1, v0
	v_ashrrev_i32_e32 v17, 31, v16
	v_lshl_add_u64 v[6:7], v[16:17], 3, s[16:17]
	global_load_dwordx2 v[10:11], v[6:7], off
	v_cmp_gt_u32_e64 s[0:1], s25, v1
	v_mov_b64_e32 v[8:9], 0
	v_add_u32_e32 v18, v24, v1
	v_mov_b64_e32 v[6:7], 0
	s_and_saveexec_b64 s[2:3], s[0:1]
	s_cbranch_execz .LBB163_7
; %bb.6:                                ;   in Loop: Header=BB163_5 Depth=1
	v_ashrrev_i32_e32 v19, 31, v18
	v_lshl_add_u64 v[6:7], v[18:19], 3, s[12:13]
	global_load_dwordx2 v[6:7], v[6:7], off
.LBB163_7:                              ;   in Loop: Header=BB163_5 Depth=1
	s_or_b64 exec, exec, s[2:3]
	s_and_saveexec_b64 s[2:3], s[0:1]
	s_cbranch_execz .LBB163_9
; %bb.8:                                ;   in Loop: Header=BB163_5 Depth=1
	v_ashrrev_i32_e32 v19, 31, v18
	v_lshl_add_u64 v[8:9], v[18:19], 3, s[14:15]
	global_load_dwordx2 v[8:9], v[8:9], off
.LBB163_9:                              ;   in Loop: Header=BB163_5 Depth=1
	s_or_b64 exec, exec, s[2:3]
	v_mov_b64_e32 v[14:15], 0
	v_mov_b64_e32 v[12:13], 0
	s_and_saveexec_b64 s[2:3], s[0:1]
	s_cbranch_execz .LBB163_11
; %bb.10:                               ;   in Loop: Header=BB163_5 Depth=1
	v_ashrrev_i32_e32 v19, 31, v18
	v_lshl_add_u64 v[12:13], v[18:19], 3, s[16:17]
	global_load_dwordx2 v[12:13], v[12:13], off
.LBB163_11:                             ;   in Loop: Header=BB163_5 Depth=1
	s_or_b64 exec, exec, s[2:3]
	v_cmp_gt_u32_e64 s[2:3], s26, v1
	s_and_saveexec_b64 s[4:5], s[2:3]
	s_cbranch_execz .LBB163_13
; %bb.12:                               ;   in Loop: Header=BB163_5 Depth=1
	v_add_u32_e32 v14, v25, v1
	v_ashrrev_i32_e32 v15, 31, v14
	v_lshl_add_u64 v[14:15], v[14:15], 3, s[12:13]
	global_load_dwordx2 v[14:15], v[14:15], off
.LBB163_13:                             ;   in Loop: Header=BB163_5 Depth=1
	s_or_b64 exec, exec, s[4:5]
	v_lshl_add_u64 v[18:19], v[16:17], 2, s[6:7]
	global_load_dword v18, v[18:19], off
	v_add_u32_e32 v2, s23, v16
	v_lshl_add_u64 v[16:17], v[2:3], 3, s[8:9]
	global_load_dwordx2 v[20:21], v[16:17], off
	v_cmp_ne_u32_e32 vcc, s25, v1
	s_waitcnt vmcnt(1)
	v_cmp_ne_u32_e64 s[4:5], 1, v18
	s_and_b64 s[4:5], vcc, s[4:5]
	v_mul_f64 v[18:19], v[10:11], v[6:7]
	s_and_saveexec_b64 s[20:21], s[4:5]
	s_xor_b64 s[4:5], exec, s[20:21]
	s_cbranch_execz .LBB163_17
; %bb.14:                               ;   in Loop: Header=BB163_5 Depth=1
	v_add_u32_e32 v2, v26, v1
	v_lshl_add_u64 v[28:29], v[2:3], 3, s[8:9]
	global_load_dwordx2 v[22:23], v[28:29], off
	v_fma_f64 v[18:19], v[4:5], v[8:9], -v[18:19]
	v_div_scale_f64 v[30:31], s[20:21], v[18:19], v[18:19], 1.0
	v_rcp_f64_e32 v[32:33], v[30:31]
	v_div_scale_f64 v[34:35], vcc, 1.0, v[18:19], 1.0
	v_fma_f64 v[36:37], -v[30:31], v[32:33], 1.0
	v_fmac_f64_e32 v[32:33], v[32:33], v[36:37]
	v_fma_f64 v[36:37], -v[30:31], v[32:33], 1.0
	v_fmac_f64_e32 v[32:33], v[32:33], v[36:37]
	v_mul_f64 v[36:37], v[34:35], v[32:33]
	v_fma_f64 v[30:31], -v[30:31], v[36:37], v[34:35]
	v_div_fmas_f64 v[30:31], v[30:31], v[32:33], v[36:37]
	v_div_fixup_f64 v[18:19], v[30:31], v[18:19], 1.0
	s_waitcnt vmcnt(1)
	v_mul_f64 v[20:21], v[18:19], v[20:21]
	v_mul_f64 v[30:31], v[6:7], v[20:21]
	s_waitcnt vmcnt(0)
	v_mul_f64 v[22:23], v[18:19], v[22:23]
	v_mul_f64 v[10:11], v[10:11], v[22:23]
	v_fma_f64 v[8:9], v[8:9], v[20:21], -v[10:11]
	v_fma_f64 v[30:31], v[4:5], v[22:23], -v[30:31]
	global_store_dwordx2 v[16:17], v[8:9], off
	global_store_dwordx2 v[28:29], v[30:31], off
	v_mov_b64_e32 v[8:9], 0
	s_and_saveexec_b64 s[20:21], s[2:3]
	s_cbranch_execz .LBB163_16
; %bb.15:                               ;   in Loop: Header=BB163_5 Depth=1
	v_add_u32_e32 v8, v25, v1
	v_add_u32_e32 v2, s23, v8
	v_ashrrev_i32_e32 v9, 31, v8
	v_lshl_add_u64 v[10:11], v[2:3], 3, s[8:9]
	v_lshl_add_u64 v[8:9], v[8:9], 3, s[14:15]
	global_load_dwordx2 v[16:17], v[10:11], off
	v_mul_f64 v[4:5], v[4:5], v[14:15]
	global_load_dwordx2 v[8:9], v[8:9], off
	v_mul_f64 v[6:7], v[6:7], v[14:15]
	v_mul_f64 v[14:15], v[4:5], v[22:23]
	;; [unrolled: 1-line block ×3, first 2 shown]
	v_fma_f64 v[6:7], v[6:7], v[20:21], -v[14:15]
	s_waitcnt vmcnt(1)
	v_add_f64 v[6:7], v[6:7], v[16:17]
	global_store_dwordx2 v[10:11], v[6:7], off
	s_waitcnt vmcnt(1)
	v_fma_f64 v[8:9], -v[18:19], v[4:5], v[8:9]
.LBB163_16:                             ;   in Loop: Header=BB163_5 Depth=1
	s_or_b64 exec, exec, s[20:21]
	v_mov_b64_e32 v[4:5], v[8:9]
                                        ; implicit-def: $vgpr18_vgpr19
                                        ; implicit-def: $vgpr8_vgpr9
                                        ; implicit-def: $vgpr20_vgpr21
                                        ; implicit-def: $vgpr16_vgpr17
                                        ; implicit-def: $vgpr6_vgpr7
.LBB163_17:                             ;   in Loop: Header=BB163_5 Depth=1
	s_or_saveexec_b64 s[2:3], s[4:5]
	v_mov_b32_e32 v2, s27
	s_xor_b64 exec, exec, s[2:3]
	s_cbranch_execz .LBB163_4
; %bb.18:                               ;   in Loop: Header=BB163_5 Depth=1
	v_div_scale_f64 v[10:11], s[4:5], v[4:5], v[4:5], 1.0
	v_rcp_f64_e32 v[12:13], v[10:11]
	v_div_scale_f64 v[14:15], vcc, 1.0, v[4:5], 1.0
	v_fma_f64 v[22:23], -v[10:11], v[12:13], 1.0
	v_fmac_f64_e32 v[12:13], v[12:13], v[22:23]
	v_fma_f64 v[22:23], -v[10:11], v[12:13], 1.0
	v_fmac_f64_e32 v[12:13], v[12:13], v[22:23]
	v_mul_f64 v[22:23], v[14:15], v[12:13]
	v_fma_f64 v[10:11], -v[10:11], v[22:23], v[14:15]
	v_div_fmas_f64 v[10:11], v[10:11], v[12:13], v[22:23]
	v_div_fixup_f64 v[4:5], v[10:11], v[4:5], 1.0
	s_waitcnt vmcnt(0)
	v_mul_f64 v[10:11], v[4:5], v[20:21]
	global_store_dwordx2 v[16:17], v[10:11], off
	s_and_saveexec_b64 s[4:5], s[0:1]
	s_cbranch_execz .LBB163_3
; %bb.19:                               ;   in Loop: Header=BB163_5 Depth=1
	v_add_u32_e32 v2, v26, v1
	v_lshl_add_u64 v[12:13], v[2:3], 3, s[8:9]
	global_load_dwordx2 v[14:15], v[12:13], off
	s_waitcnt vmcnt(0)
	v_fma_f64 v[6:7], -v[6:7], v[10:11], v[14:15]
	global_store_dwordx2 v[12:13], v[6:7], off
	s_branch .LBB163_3
.LBB163_20:
	s_or_b64 exec, exec, s[18:19]
	s_branch .LBB163_22
.LBB163_21:
	v_mov_b32_e32 v1, 0
.LBB163_22:
	v_subrev_u32_e32 v1, s22, v1
	v_add_u32_e32 v2, v1, v0
	v_ashrrev_i32_e32 v3, 31, v2
	s_waitcnt lgkmcnt(0)
	v_lshl_add_u64 v[2:3], v[2:3], 2, s[6:7]
	buffer_wbl2 sc1
	s_waitcnt vmcnt(0)
	buffer_inv sc1
	global_load_dword v2, v[2:3], off
	s_waitcnt vmcnt(0)
	v_mul_lo_u32 v2, v2, s22
	v_sub_u32_e32 v1, v1, v2
	v_cmp_lt_i32_e32 vcc, -1, v1
	s_and_b64 exec, exec, vcc
	s_cbranch_execz .LBB163_29
; %bb.23:
	s_add_i32 s0, s23, s22
	v_add_u32_e32 v8, s0, v0
	s_lshl_b32 s4, s22, 1
	s_mov_b64 s[0:1], 0
	v_mov_b32_e32 v3, 0
	s_branch .LBB163_25
.LBB163_24:                             ;   in Loop: Header=BB163_25 Depth=1
	s_or_b64 exec, exec, s[2:3]
	v_sub_u32_e32 v1, v1, v2
	v_cmp_gt_i32_e32 vcc, 0, v1
	s_or_b64 s[0:1], vcc, s[0:1]
	s_andn2_b64 exec, exec, s[0:1]
	s_cbranch_execz .LBB163_29
.LBB163_25:                             ; =>This Inner Loop Header: Depth=1
	v_add_u32_e32 v6, v1, v0
	v_ashrrev_i32_e32 v7, 31, v6
	s_waitcnt vmcnt(0)
	v_lshl_add_u64 v[4:5], v[6:7], 2, s[6:7]
	global_load_dword v2, v[4:5], off
	v_lshl_add_u64 v[4:5], v[6:7], 3, s[10:11]
	global_load_dwordx2 v[4:5], v[4:5], off
	s_waitcnt vmcnt(1)
	v_cmp_ne_u32_e32 vcc, 1, v2
	s_and_saveexec_b64 s[2:3], vcc
	s_xor_b64 s[2:3], exec, s[2:3]
	s_cbranch_execz .LBB163_27
; %bb.26:                               ;   in Loop: Header=BB163_25 Depth=1
	v_add_u32_e32 v2, v8, v1
	v_lshl_add_u64 v[10:11], v[2:3], 3, s[8:9]
	v_add_u32_e32 v2, s23, v6
	v_lshl_add_u64 v[6:7], v[2:3], 3, s[8:9]
	global_load_dwordx2 v[12:13], v[10:11], off
	global_load_dwordx2 v[14:15], v[6:7], off
	v_subrev_u32_e32 v2, s22, v1
	v_add_u32_e32 v10, v2, v0
	v_ashrrev_i32_e32 v11, 31, v10
	v_add_u32_e32 v2, s23, v10
	v_lshl_add_u64 v[10:11], v[10:11], 3, s[10:11]
	global_load_dwordx2 v[10:11], v[10:11], off
	s_waitcnt vmcnt(1)
	v_fma_f64 v[4:5], -v[4:5], v[12:13], v[14:15]
	global_store_dwordx2 v[6:7], v[4:5], off
	v_lshl_add_u64 v[4:5], v[2:3], 3, s[8:9]
	global_load_dwordx2 v[6:7], v[4:5], off
	s_waitcnt vmcnt(0)
	v_fma_f64 v[6:7], -v[10:11], v[12:13], v[6:7]
	global_store_dwordx2 v[4:5], v[6:7], off
                                        ; implicit-def: $vgpr6
                                        ; implicit-def: $vgpr4_vgpr5
.LBB163_27:                             ;   in Loop: Header=BB163_25 Depth=1
	s_or_saveexec_b64 s[2:3], s[2:3]
	v_mov_b32_e32 v2, s4
	s_xor_b64 exec, exec, s[2:3]
	s_cbranch_execz .LBB163_24
; %bb.28:                               ;   in Loop: Header=BB163_25 Depth=1
	v_add_u32_e32 v2, v8, v1
	v_lshl_add_u64 v[10:11], v[2:3], 3, s[8:9]
	v_add_u32_e32 v2, s23, v6
	v_lshl_add_u64 v[6:7], v[2:3], 3, s[8:9]
	global_load_dwordx2 v[12:13], v[10:11], off
	global_load_dwordx2 v[14:15], v[6:7], off
	v_mov_b32_e32 v2, s22
	s_waitcnt vmcnt(0)
	v_fma_f64 v[4:5], -v[4:5], v[12:13], v[14:15]
	global_store_dwordx2 v[6:7], v[4:5], off
	s_branch .LBB163_24
.LBB163_29:
	s_endpgm
	.section	.rodata,"a",@progbits
	.p2align	6, 0x0
	.amdhsa_kernel _ZN9rocsparseL19gtsv_LBM_rhs_kernelILj256ELj128ELj1EdEEviiiPKT2_S3_S3_PS1_S3_PKi
		.amdhsa_group_segment_fixed_size 0
		.amdhsa_private_segment_fixed_size 0
		.amdhsa_kernarg_size 64
		.amdhsa_user_sgpr_count 2
		.amdhsa_user_sgpr_dispatch_ptr 0
		.amdhsa_user_sgpr_queue_ptr 0
		.amdhsa_user_sgpr_kernarg_segment_ptr 1
		.amdhsa_user_sgpr_dispatch_id 0
		.amdhsa_user_sgpr_kernarg_preload_length 0
		.amdhsa_user_sgpr_kernarg_preload_offset 0
		.amdhsa_user_sgpr_private_segment_size 0
		.amdhsa_uses_dynamic_stack 0
		.amdhsa_enable_private_segment 0
		.amdhsa_system_sgpr_workgroup_id_x 1
		.amdhsa_system_sgpr_workgroup_id_y 1
		.amdhsa_system_sgpr_workgroup_id_z 0
		.amdhsa_system_sgpr_workgroup_info 0
		.amdhsa_system_vgpr_workitem_id 0
		.amdhsa_next_free_vgpr 38
		.amdhsa_next_free_sgpr 28
		.amdhsa_accum_offset 40
		.amdhsa_reserve_vcc 1
		.amdhsa_float_round_mode_32 0
		.amdhsa_float_round_mode_16_64 0
		.amdhsa_float_denorm_mode_32 3
		.amdhsa_float_denorm_mode_16_64 3
		.amdhsa_dx10_clamp 1
		.amdhsa_ieee_mode 1
		.amdhsa_fp16_overflow 0
		.amdhsa_tg_split 0
		.amdhsa_exception_fp_ieee_invalid_op 0
		.amdhsa_exception_fp_denorm_src 0
		.amdhsa_exception_fp_ieee_div_zero 0
		.amdhsa_exception_fp_ieee_overflow 0
		.amdhsa_exception_fp_ieee_underflow 0
		.amdhsa_exception_fp_ieee_inexact 0
		.amdhsa_exception_int_div_zero 0
	.end_amdhsa_kernel
	.section	.text._ZN9rocsparseL19gtsv_LBM_rhs_kernelILj256ELj128ELj1EdEEviiiPKT2_S3_S3_PS1_S3_PKi,"axG",@progbits,_ZN9rocsparseL19gtsv_LBM_rhs_kernelILj256ELj128ELj1EdEEviiiPKT2_S3_S3_PS1_S3_PKi,comdat
.Lfunc_end163:
	.size	_ZN9rocsparseL19gtsv_LBM_rhs_kernelILj256ELj128ELj1EdEEviiiPKT2_S3_S3_PS1_S3_PKi, .Lfunc_end163-_ZN9rocsparseL19gtsv_LBM_rhs_kernelILj256ELj128ELj1EdEEviiiPKT2_S3_S3_PS1_S3_PKi
                                        ; -- End function
	.set _ZN9rocsparseL19gtsv_LBM_rhs_kernelILj256ELj128ELj1EdEEviiiPKT2_S3_S3_PS1_S3_PKi.num_vgpr, 38
	.set _ZN9rocsparseL19gtsv_LBM_rhs_kernelILj256ELj128ELj1EdEEviiiPKT2_S3_S3_PS1_S3_PKi.num_agpr, 0
	.set _ZN9rocsparseL19gtsv_LBM_rhs_kernelILj256ELj128ELj1EdEEviiiPKT2_S3_S3_PS1_S3_PKi.numbered_sgpr, 28
	.set _ZN9rocsparseL19gtsv_LBM_rhs_kernelILj256ELj128ELj1EdEEviiiPKT2_S3_S3_PS1_S3_PKi.num_named_barrier, 0
	.set _ZN9rocsparseL19gtsv_LBM_rhs_kernelILj256ELj128ELj1EdEEviiiPKT2_S3_S3_PS1_S3_PKi.private_seg_size, 0
	.set _ZN9rocsparseL19gtsv_LBM_rhs_kernelILj256ELj128ELj1EdEEviiiPKT2_S3_S3_PS1_S3_PKi.uses_vcc, 1
	.set _ZN9rocsparseL19gtsv_LBM_rhs_kernelILj256ELj128ELj1EdEEviiiPKT2_S3_S3_PS1_S3_PKi.uses_flat_scratch, 0
	.set _ZN9rocsparseL19gtsv_LBM_rhs_kernelILj256ELj128ELj1EdEEviiiPKT2_S3_S3_PS1_S3_PKi.has_dyn_sized_stack, 0
	.set _ZN9rocsparseL19gtsv_LBM_rhs_kernelILj256ELj128ELj1EdEEviiiPKT2_S3_S3_PS1_S3_PKi.has_recursion, 0
	.set _ZN9rocsparseL19gtsv_LBM_rhs_kernelILj256ELj128ELj1EdEEviiiPKT2_S3_S3_PS1_S3_PKi.has_indirect_call, 0
	.section	.AMDGPU.csdata,"",@progbits
; Kernel info:
; codeLenInByte = 1356
; TotalNumSgprs: 34
; NumVgprs: 38
; NumAgprs: 0
; TotalNumVgprs: 38
; ScratchSize: 0
; MemoryBound: 0
; FloatMode: 240
; IeeeMode: 1
; LDSByteSize: 0 bytes/workgroup (compile time only)
; SGPRBlocks: 4
; VGPRBlocks: 4
; NumSGPRsForWavesPerEU: 34
; NumVGPRsForWavesPerEU: 38
; AccumOffset: 40
; Occupancy: 8
; WaveLimiterHint : 0
; COMPUTE_PGM_RSRC2:SCRATCH_EN: 0
; COMPUTE_PGM_RSRC2:USER_SGPR: 2
; COMPUTE_PGM_RSRC2:TRAP_HANDLER: 0
; COMPUTE_PGM_RSRC2:TGID_X_EN: 1
; COMPUTE_PGM_RSRC2:TGID_Y_EN: 1
; COMPUTE_PGM_RSRC2:TGID_Z_EN: 0
; COMPUTE_PGM_RSRC2:TIDIG_COMP_CNT: 0
; COMPUTE_PGM_RSRC3_GFX90A:ACCUM_OFFSET: 9
; COMPUTE_PGM_RSRC3_GFX90A:TG_SPLIT: 0
	.section	.text._ZN9rocsparseL29gtsv_spike_block_level_kernelILj256ELj128EdEEviiiPT1_PKS1_S4_S2_S2_S2_S2_S2_,"axG",@progbits,_ZN9rocsparseL29gtsv_spike_block_level_kernelILj256ELj128EdEEviiiPT1_PKS1_S4_S2_S2_S2_S2_S2_,comdat
	.globl	_ZN9rocsparseL29gtsv_spike_block_level_kernelILj256ELj128EdEEviiiPT1_PKS1_S4_S2_S2_S2_S2_S2_ ; -- Begin function _ZN9rocsparseL29gtsv_spike_block_level_kernelILj256ELj128EdEEviiiPT1_PKS1_S4_S2_S2_S2_S2_S2_
	.p2align	8
	.type	_ZN9rocsparseL29gtsv_spike_block_level_kernelILj256ELj128EdEEviiiPT1_PKS1_S4_S2_S2_S2_S2_S2_,@function
_ZN9rocsparseL29gtsv_spike_block_level_kernelILj256ELj128EdEEviiiPT1_PKS1_S4_S2_S2_S2_S2_S2_: ; @_ZN9rocsparseL29gtsv_spike_block_level_kernelILj256ELj128EdEEviiiPT1_PKS1_S4_S2_S2_S2_S2_S2_
; %bb.0:
	s_load_dword s14, s[0:1], 0x0
	s_load_dwordx2 s[8:9], s[0:1], 0x18
	v_lshl_or_b32 v2, s2, 8, v0
	v_mov_b64_e32 v[4:5], 0
	v_mov_b64_e32 v[8:9], 0
	s_waitcnt lgkmcnt(0)
	s_lshr_b32 s19, s14, 7
	v_cmp_gt_i32_e64 s[4:5], s19, v2
	s_and_saveexec_b64 s[6:7], s[4:5]
	s_cbranch_execz .LBB164_2
; %bb.1:
	v_ashrrev_i32_e32 v3, 31, v2
	v_lshl_add_u64 v[6:7], v[2:3], 3, s[8:9]
	global_load_dwordx2 v[8:9], v[6:7], off
.LBB164_2:
	s_or_b64 exec, exec, s[6:7]
	s_load_dwordx2 s[6:7], s[0:1], 0x20
	v_lshlrev_b32_e32 v1, 3, v0
	v_or_b32_e32 v6, 0x1000, v1
	s_mul_i32 s18, s19, 0x7f
	s_waitcnt vmcnt(0)
	ds_write_b64 v1, v[8:9] offset:4096
	s_and_saveexec_b64 s[10:11], s[4:5]
	s_cbranch_execz .LBB164_4
; %bb.3:
	s_mul_i32 s12, s19, 0x7f
	v_add_u32_e32 v4, s12, v2
	v_mov_b32_e32 v5, 0
	v_lshl_add_u64 v[4:5], v[4:5], 3, s[8:9]
	global_load_dwordx2 v[4:5], v[4:5], off
.LBB164_4:
	s_or_b64 exec, exec, s[10:11]
	s_waitcnt vmcnt(0)
	ds_write_b64 v6, v[4:5] offset:2048
	v_mov_b64_e32 v[4:5], 0
	v_mov_b64_e32 v[8:9], 0
	s_and_saveexec_b64 s[8:9], s[4:5]
	s_cbranch_execz .LBB164_6
; %bb.5:
	v_ashrrev_i32_e32 v3, 31, v2
	s_waitcnt lgkmcnt(0)
	v_lshl_add_u64 v[8:9], v[2:3], 3, s[6:7]
	global_load_dwordx2 v[8:9], v[8:9], off
.LBB164_6:
	s_or_b64 exec, exec, s[8:9]
	s_load_dwordx2 s[12:13], s[0:1], 0x10
	s_waitcnt vmcnt(0)
	ds_write_b64 v1, v[8:9]
	s_and_saveexec_b64 s[8:9], s[4:5]
	s_cbranch_execz .LBB164_8
; %bb.7:
	s_mul_i32 s10, s19, 0x7f
	v_add_u32_e32 v4, s10, v2
	v_mov_b32_e32 v5, 0
	s_waitcnt lgkmcnt(0)
	v_lshl_add_u64 v[4:5], v[4:5], 3, s[6:7]
	global_load_dwordx2 v[4:5], v[4:5], off
.LBB164_8:
	s_or_b64 exec, exec, s[8:9]
	s_mul_i32 s14, s14, s3
	s_waitcnt vmcnt(0)
	ds_write_b64 v1, v[4:5] offset:2048
	v_mov_b64_e32 v[8:9], 0
	v_add_u32_e32 v4, s14, v2
	v_mov_b64_e32 v[10:11], 0
	s_waitcnt lgkmcnt(0)
	s_and_saveexec_b64 s[6:7], s[4:5]
	s_cbranch_execz .LBB164_10
; %bb.9:
	v_ashrrev_i32_e32 v5, 31, v4
	v_lshl_add_u64 v[10:11], v[4:5], 3, s[12:13]
	global_load_dwordx2 v[10:11], v[10:11], off
.LBB164_10:
	s_or_b64 exec, exec, s[6:7]
	v_or_b32_e32 v5, 0x2000, v1
	s_waitcnt vmcnt(0)
	ds_write_b64 v1, v[10:11] offset:8192
	s_and_saveexec_b64 s[6:7], s[4:5]
	s_cbranch_execz .LBB164_12
; %bb.11:
	s_mul_i32 s8, s19, 0x7f
	s_add_i32 s8, s8, s14
	v_add_u32_e32 v8, s8, v2
	v_mov_b32_e32 v9, 0
	v_lshl_add_u64 v[8:9], v[8:9], 3, s[12:13]
	global_load_dwordx2 v[8:9], v[8:9], off
.LBB164_12:
	s_or_b64 exec, exec, s[6:7]
	s_movk_i32 s6, 0x80
	v_cmp_gt_u32_e32 vcc, s6, v0
	s_waitcnt vmcnt(0)
	ds_write_b64 v5, v[8:9] offset:2048
	s_waitcnt lgkmcnt(0)
	s_barrier
	s_and_saveexec_b64 s[6:7], vcc
	s_cbranch_execz .LBB164_14
; %bb.13:
	v_add_u32_e32 v3, v6, v1
	ds_read_b128 v[8:11], v3
	v_add_u32_e32 v7, v1, v1
	ds_read_b128 v[12:15], v7 offset:2048
	ds_read_b128 v[16:19], v7
	ds_read_b128 v[20:23], v3 offset:2048
	v_add_u32_e32 v42, v5, v1
	s_waitcnt lgkmcnt(2)
	v_fma_f64 v[32:33], -v[10:11], v[12:13], 1.0
	v_div_scale_f64 v[34:35], s[8:9], v[32:33], v[32:33], 1.0
	v_rcp_f64_e32 v[36:37], v[34:35]
	v_div_scale_f64 v[38:39], vcc, 1.0, v[32:33], 1.0
	v_fma_f64 v[24:25], -v[34:35], v[36:37], 1.0
	v_fmac_f64_e32 v[36:37], v[36:37], v[24:25]
	v_fma_f64 v[24:25], -v[34:35], v[36:37], 1.0
	v_fmac_f64_e32 v[36:37], v[36:37], v[24:25]
	ds_read_b128 v[24:27], v42 offset:2048
	ds_read_b128 v[28:31], v42
	v_mul_f64 v[40:41], v[38:39], v[36:37]
	v_fma_f64 v[34:35], -v[34:35], v[40:41], v[38:39]
	v_div_fmas_f64 v[34:35], v[34:35], v[36:37], v[40:41]
	v_div_fixup_f64 v[36:37], v[34:35], v[32:33], 1.0
	s_waitcnt lgkmcnt(0)
	v_fma_f64 v[32:33], -v[12:13], v[30:31], v[24:25]
	v_fma_f64 v[24:25], -v[10:11], v[24:25], v[30:31]
	v_mul_f64 v[12:13], v[12:13], v[18:19]
	v_mul_f64 v[10:11], v[10:11], v[20:21]
	;; [unrolled: 1-line block ×4, first 2 shown]
	v_mul_f64 v[12:13], v[12:13], -v[36:37]
	v_mul_f64 v[18:19], v[36:37], v[18:19]
	v_mul_f64 v[10:11], v[10:11], -v[36:37]
	v_mul_f64 v[20:21], v[36:37], v[20:21]
	v_fma_f64 v[28:29], -v[30:31], v[16:17], v[28:29]
	v_fma_f64 v[34:35], -v[22:23], v[32:33], v[26:27]
	v_fma_f64 v[8:9], -v[10:11], v[16:17], v[8:9]
	v_mul_f64 v[16:17], v[18:19], -v[16:17]
	v_fma_f64 v[14:15], -v[12:13], v[22:23], v[14:15]
	v_mul_f64 v[22:23], v[20:21], -v[22:23]
	ds_write_b128 v42, v[28:31]
	ds_write_b128 v42, v[32:35] offset:2048
	ds_write_b128 v3, v[8:11]
	ds_write_b128 v7, v[16:19]
	ds_write_b128 v7, v[12:15] offset:2048
	ds_write_b128 v3, v[20:23] offset:2048
.LBB164_14:
	s_or_b64 exec, exec, s[6:7]
	v_cmp_gt_u32_e32 vcc, 64, v0
	s_waitcnt lgkmcnt(0)
	s_barrier
	s_and_saveexec_b64 s[6:7], vcc
	s_cbranch_execz .LBB164_16
; %bb.15:
	v_lshlrev_b32_e32 v3, 5, v0
	v_add_u32_e32 v7, 0x1000, v3
	v_add_u32_e32 v36, 0x800, v3
	ds_read2_b64 v[8:11], v7 offset1:2
	ds_read2_b64 v[12:15], v36 offset0:1 offset1:3
	v_mad_u32_u24 v37, v0, 24, v5
	v_add_u32_e32 v38, 0x800, v37
	v_add_u32_e32 v39, 0x1800, v3
	s_waitcnt lgkmcnt(0)
	v_fma_f64 v[24:25], -v[10:11], v[12:13], 1.0
	v_div_scale_f64 v[26:27], s[8:9], v[24:25], v[24:25], 1.0
	v_rcp_f64_e32 v[28:29], v[26:27]
	v_div_scale_f64 v[30:31], vcc, 1.0, v[24:25], 1.0
	v_fma_f64 v[16:17], -v[26:27], v[28:29], 1.0
	v_fmac_f64_e32 v[28:29], v[28:29], v[16:17]
	v_fma_f64 v[16:17], -v[26:27], v[28:29], 1.0
	v_fmac_f64_e32 v[28:29], v[28:29], v[16:17]
	ds_read2_b64 v[16:19], v38 offset0:1 offset1:3
	ds_read2_b64 v[20:23], v37 offset1:2
	v_mul_f64 v[32:33], v[30:31], v[28:29]
	v_fma_f64 v[26:27], -v[26:27], v[32:33], v[30:31]
	v_div_fmas_f64 v[26:27], v[26:27], v[28:29], v[32:33]
	v_div_fixup_f64 v[32:33], v[26:27], v[24:25], 1.0
	s_waitcnt lgkmcnt(0)
	v_fma_f64 v[24:25], -v[12:13], v[22:23], v[16:17]
	v_mul_f64 v[34:35], v[32:33], v[24:25]
	ds_read2_b64 v[24:27], v3 offset1:2
	ds_read2_b64 v[28:31], v39 offset0:1 offset1:3
	v_fma_f64 v[16:17], -v[10:11], v[16:17], v[22:23]
	v_mul_f64 v[16:17], v[16:17], v[32:33]
	s_waitcnt lgkmcnt(1)
	v_fma_f64 v[20:21], -v[16:17], v[24:25], v[20:21]
	s_waitcnt lgkmcnt(0)
	v_mul_f64 v[10:11], v[10:11], v[28:29]
	ds_write2_b64 v37, v[20:21], v[16:17] offset1:2
	v_fma_f64 v[16:17], -v[30:31], v[34:35], v[18:19]
	v_mul_f64 v[10:11], v[10:11], -v[32:33]
	ds_write2_b64 v38, v[34:35], v[16:17] offset0:1 offset1:3
	v_mul_f64 v[12:13], v[12:13], v[26:27]
	v_mul_f64 v[16:17], v[32:33], v[26:27]
	v_fma_f64 v[8:9], -v[10:11], v[24:25], v[8:9]
	v_mul_f64 v[12:13], v[12:13], -v[32:33]
	ds_write2_b64 v7, v[8:9], v[10:11] offset1:2
	v_mul_f64 v[8:9], v[16:17], -v[24:25]
	v_mul_f64 v[18:19], v[32:33], v[28:29]
	ds_write2_b64 v3, v[8:9], v[16:17] offset1:2
	v_fma_f64 v[8:9], -v[12:13], v[30:31], v[14:15]
	ds_write2_b64 v36, v[12:13], v[8:9] offset0:1 offset1:3
	v_mul_f64 v[8:9], v[18:19], -v[30:31]
	ds_write2_b64 v39, v[18:19], v[8:9] offset0:1 offset1:3
.LBB164_16:
	s_or_b64 exec, exec, s[6:7]
	v_cmp_gt_u32_e32 vcc, 32, v0
	s_waitcnt lgkmcnt(0)
	s_barrier
	s_and_saveexec_b64 s[6:7], vcc
	s_cbranch_execz .LBB164_18
; %bb.17:
	v_lshlrev_b32_e32 v3, 6, v0
	v_add_u32_e32 v7, 0x1000, v3
	v_add_u32_e32 v36, 0x800, v3
	ds_read2_b64 v[8:11], v7 offset1:4
	ds_read2_b64 v[12:15], v36 offset0:3 offset1:7
	v_add_u32_e32 v37, 0x2800, v3
	v_add_u32_e32 v38, 0x2000, v3
	ds_read2_b64 v[16:19], v37 offset0:3 offset1:7
	v_add_u32_e32 v39, 0x1800, v3
	s_waitcnt lgkmcnt(1)
	v_fma_f64 v[24:25], -v[10:11], v[12:13], 1.0
	v_div_scale_f64 v[26:27], s[8:9], v[24:25], v[24:25], 1.0
	v_rcp_f64_e32 v[28:29], v[26:27]
	v_div_scale_f64 v[30:31], vcc, 1.0, v[24:25], 1.0
	v_fma_f64 v[20:21], -v[26:27], v[28:29], 1.0
	v_fmac_f64_e32 v[28:29], v[28:29], v[20:21]
	v_fma_f64 v[20:21], -v[26:27], v[28:29], 1.0
	v_fmac_f64_e32 v[28:29], v[28:29], v[20:21]
	ds_read2_b64 v[20:23], v38 offset1:4
	v_mul_f64 v[32:33], v[30:31], v[28:29]
	v_fma_f64 v[26:27], -v[26:27], v[32:33], v[30:31]
	v_div_fmas_f64 v[26:27], v[26:27], v[28:29], v[32:33]
	v_div_fixup_f64 v[32:33], v[26:27], v[24:25], 1.0
	s_waitcnt lgkmcnt(0)
	v_fma_f64 v[24:25], -v[12:13], v[22:23], v[16:17]
	v_mul_f64 v[34:35], v[32:33], v[24:25]
	ds_read2_b64 v[24:27], v3 offset1:4
	ds_read2_b64 v[28:31], v39 offset0:3 offset1:7
	v_fma_f64 v[16:17], -v[10:11], v[16:17], v[22:23]
	v_mul_f64 v[16:17], v[16:17], v[32:33]
	s_waitcnt lgkmcnt(1)
	v_fma_f64 v[20:21], -v[16:17], v[24:25], v[20:21]
	s_waitcnt lgkmcnt(0)
	v_mul_f64 v[10:11], v[10:11], v[28:29]
	ds_write2_b64 v38, v[20:21], v[16:17] offset1:4
	v_fma_f64 v[16:17], -v[30:31], v[34:35], v[18:19]
	v_mul_f64 v[10:11], v[10:11], -v[32:33]
	ds_write2_b64 v37, v[34:35], v[16:17] offset0:3 offset1:7
	v_mul_f64 v[12:13], v[12:13], v[26:27]
	v_mul_f64 v[16:17], v[32:33], v[26:27]
	v_fma_f64 v[8:9], -v[10:11], v[24:25], v[8:9]
	v_mul_f64 v[12:13], v[12:13], -v[32:33]
	ds_write2_b64 v7, v[8:9], v[10:11] offset1:4
	v_mul_f64 v[8:9], v[16:17], -v[24:25]
	v_mul_f64 v[18:19], v[32:33], v[28:29]
	ds_write2_b64 v3, v[8:9], v[16:17] offset1:4
	v_fma_f64 v[8:9], -v[12:13], v[30:31], v[14:15]
	ds_write2_b64 v36, v[12:13], v[8:9] offset0:3 offset1:7
	v_mul_f64 v[8:9], v[18:19], -v[30:31]
	ds_write2_b64 v39, v[18:19], v[8:9] offset0:3 offset1:7
.LBB164_18:
	s_or_b64 exec, exec, s[6:7]
	v_cmp_gt_u32_e32 vcc, 16, v0
	s_waitcnt lgkmcnt(0)
	s_barrier
	s_and_saveexec_b64 s[6:7], vcc
	s_cbranch_execz .LBB164_20
; %bb.19:
	v_lshlrev_b32_e32 v3, 7, v0
	v_add_u32_e32 v7, 0x1000, v3
	v_add_u32_e32 v36, 0x800, v3
	ds_read2_b64 v[8:11], v7 offset1:8
	ds_read2_b64 v[12:15], v36 offset0:7 offset1:15
	v_add_u32_e32 v37, 0x2800, v3
	v_add_u32_e32 v38, 0x2000, v3
	ds_read2_b64 v[16:19], v37 offset0:7 offset1:15
	v_add_u32_e32 v39, 0x1800, v3
	s_waitcnt lgkmcnt(1)
	v_fma_f64 v[24:25], -v[10:11], v[12:13], 1.0
	v_div_scale_f64 v[26:27], s[8:9], v[24:25], v[24:25], 1.0
	v_rcp_f64_e32 v[28:29], v[26:27]
	v_div_scale_f64 v[30:31], vcc, 1.0, v[24:25], 1.0
	v_fma_f64 v[20:21], -v[26:27], v[28:29], 1.0
	v_fmac_f64_e32 v[28:29], v[28:29], v[20:21]
	v_fma_f64 v[20:21], -v[26:27], v[28:29], 1.0
	v_fmac_f64_e32 v[28:29], v[28:29], v[20:21]
	ds_read2_b64 v[20:23], v38 offset1:8
	v_mul_f64 v[32:33], v[30:31], v[28:29]
	v_fma_f64 v[26:27], -v[26:27], v[32:33], v[30:31]
	v_div_fmas_f64 v[26:27], v[26:27], v[28:29], v[32:33]
	v_div_fixup_f64 v[32:33], v[26:27], v[24:25], 1.0
	s_waitcnt lgkmcnt(0)
	v_fma_f64 v[24:25], -v[12:13], v[22:23], v[16:17]
	v_mul_f64 v[34:35], v[32:33], v[24:25]
	ds_read2_b64 v[24:27], v3 offset1:8
	ds_read2_b64 v[28:31], v39 offset0:7 offset1:15
	v_fma_f64 v[16:17], -v[10:11], v[16:17], v[22:23]
	v_mul_f64 v[16:17], v[16:17], v[32:33]
	s_waitcnt lgkmcnt(1)
	v_fma_f64 v[20:21], -v[16:17], v[24:25], v[20:21]
	s_waitcnt lgkmcnt(0)
	v_mul_f64 v[10:11], v[10:11], v[28:29]
	ds_write2_b64 v38, v[20:21], v[16:17] offset1:8
	v_fma_f64 v[16:17], -v[30:31], v[34:35], v[18:19]
	v_mul_f64 v[10:11], v[10:11], -v[32:33]
	ds_write2_b64 v37, v[34:35], v[16:17] offset0:7 offset1:15
	v_mul_f64 v[12:13], v[12:13], v[26:27]
	v_mul_f64 v[16:17], v[32:33], v[26:27]
	v_fma_f64 v[8:9], -v[10:11], v[24:25], v[8:9]
	v_mul_f64 v[12:13], v[12:13], -v[32:33]
	ds_write2_b64 v7, v[8:9], v[10:11] offset1:8
	v_mul_f64 v[8:9], v[16:17], -v[24:25]
	v_mul_f64 v[18:19], v[32:33], v[28:29]
	ds_write2_b64 v3, v[8:9], v[16:17] offset1:8
	v_fma_f64 v[8:9], -v[12:13], v[30:31], v[14:15]
	ds_write2_b64 v36, v[12:13], v[8:9] offset0:7 offset1:15
	v_mul_f64 v[8:9], v[18:19], -v[30:31]
	ds_write2_b64 v39, v[18:19], v[8:9] offset0:7 offset1:15
.LBB164_20:
	;; [unrolled: 58-line block ×4, first 2 shown]
	s_or_b64 exec, exec, s[6:7]
	v_cmp_gt_u32_e32 vcc, 2, v0
	s_waitcnt lgkmcnt(0)
	s_barrier
	s_and_saveexec_b64 s[6:7], vcc
	s_cbranch_execz .LBB164_26
; %bb.25:
	v_lshlrev_b32_e32 v3, 10, v0
	v_add_u32_e32 v7, 0x1f8, v3
	ds_read2st64_b64 v[8:11], v7 offset0:4 offset1:5
	ds_read2st64_b64 v[12:15], v3 offset0:8 offset1:9
	ds_read2st64_b64 v[16:19], v3 offset1:1
	ds_read2st64_b64 v[20:23], v7 offset0:12 offset1:13
	ds_read2st64_b64 v[24:27], v7 offset0:20 offset1:21
	s_waitcnt lgkmcnt(3)
	v_fma_f64 v[32:33], -v[14:15], v[8:9], 1.0
	v_div_scale_f64 v[34:35], s[8:9], v[32:33], v[32:33], 1.0
	v_rcp_f64_e32 v[36:37], v[34:35]
	v_div_scale_f64 v[38:39], vcc, 1.0, v[32:33], 1.0
	v_fma_f64 v[28:29], -v[34:35], v[36:37], 1.0
	v_fmac_f64_e32 v[36:37], v[36:37], v[28:29]
	v_fma_f64 v[28:29], -v[34:35], v[36:37], 1.0
	v_fmac_f64_e32 v[36:37], v[36:37], v[28:29]
	ds_read2st64_b64 v[28:31], v3 offset0:16 offset1:17
	v_mul_f64 v[40:41], v[38:39], v[36:37]
	v_fma_f64 v[34:35], -v[34:35], v[40:41], v[38:39]
	v_div_fmas_f64 v[34:35], v[34:35], v[36:37], v[40:41]
	v_div_fixup_f64 v[32:33], v[34:35], v[32:33], 1.0
	s_waitcnt lgkmcnt(0)
	v_fma_f64 v[34:35], -v[8:9], v[30:31], v[24:25]
	v_fma_f64 v[24:25], -v[14:15], v[24:25], v[30:31]
	v_mul_f64 v[8:9], v[8:9], v[18:19]
	v_mul_f64 v[14:15], v[14:15], v[20:21]
	;; [unrolled: 1-line block ×3, first 2 shown]
	v_mul_f64 v[8:9], v[8:9], -v[32:33]
	v_mul_f64 v[14:15], v[14:15], -v[32:33]
	v_mul_f64 v[34:35], v[32:33], v[34:35]
	v_fma_f64 v[28:29], -v[24:25], v[16:17], v[28:29]
	v_mul_f64 v[18:19], v[32:33], v[18:19]
	v_mul_f64 v[20:21], v[32:33], v[20:21]
	v_fma_f64 v[12:13], -v[14:15], v[16:17], v[12:13]
	v_fma_f64 v[10:11], -v[8:9], v[22:23], v[10:11]
	ds_write2st64_b64 v3, v[28:29], v[24:25] offset0:16 offset1:17
	v_fma_f64 v[24:25], -v[22:23], v[34:35], v[26:27]
	ds_write2st64_b64 v3, v[12:13], v[14:15] offset0:8 offset1:9
	v_mul_f64 v[12:13], v[18:19], -v[16:17]
	ds_write2st64_b64 v7, v[8:9], v[10:11] offset0:4 offset1:5
	v_mul_f64 v[8:9], v[20:21], -v[22:23]
	ds_write2st64_b64 v7, v[34:35], v[24:25] offset0:20 offset1:21
	ds_write2st64_b64 v3, v[12:13], v[18:19] offset1:1
	ds_write2st64_b64 v7, v[20:21], v[8:9] offset0:12 offset1:13
.LBB164_26:
	s_or_b64 exec, exec, s[6:7]
	v_cmp_eq_u32_e64 s[6:7], 0, v0
	s_waitcnt lgkmcnt(0)
	s_barrier
	s_and_saveexec_b64 s[8:9], s[6:7]
	s_cbranch_execz .LBB164_28
; %bb.27:
	s_movk_i32 s10, 0x1400
	v_add_u32_e64 v3, s10, 0
	v_mov_b32_e32 v0, 0
	ds_read2_b64 v[8:11], v3 offset1:255
	ds_read_b64 v[24:25], v0 offset:3064
	ds_read_b64 v[26:27], v0 offset:12280
	v_mov_b32_e32 v34, 0x1ff8
	s_waitcnt lgkmcnt(1)
	v_fma_f64 v[16:17], -v[8:9], v[24:25], 1.0
	v_div_scale_f64 v[18:19], s[10:11], v[16:17], v[16:17], 1.0
	v_rcp_f64_e32 v[20:21], v[18:19]
	s_movk_i32 s10, 0x2400
	v_add_u32_e64 v7, s10, 0
	v_div_scale_f64 v[22:23], vcc, 1.0, v[16:17], 1.0
	v_fma_f64 v[12:13], -v[18:19], v[20:21], 1.0
	v_fmac_f64_e32 v[20:21], v[20:21], v[12:13]
	v_fma_f64 v[12:13], -v[18:19], v[20:21], 1.0
	v_fmac_f64_e32 v[20:21], v[20:21], v[12:13]
	ds_read2_b64 v[12:15], v7 offset1:255
	v_mul_f64 v[28:29], v[22:23], v[20:21]
	v_fma_f64 v[18:19], -v[18:19], v[28:29], v[22:23]
	v_div_fmas_f64 v[18:19], v[18:19], v[20:21], v[28:29]
	v_div_fixup_f64 v[28:29], v[18:19], v[16:17], 1.0
	s_waitcnt lgkmcnt(0)
	v_fma_f64 v[16:17], -v[24:25], v[12:13], v[14:15]
	v_fma_f64 v[20:21], -v[8:9], v[14:15], v[12:13]
	v_mul_f64 v[30:31], v[28:29], v[16:17]
	v_mul_f64 v[32:33], v[20:21], v[28:29]
	ds_read2_b64 v[12:15], v34 offset1:1
	ds_read2st64_b64 v[16:19], v0 offset1:2
	ds_write2_b64 v7, v[32:33], v[30:31] offset1:255
	v_mov_b32_e32 v7, 0xff8
	ds_read2_b64 v[20:23], v7 offset1:1
	v_mul_f64 v[8:9], v[8:9], v[10:11]
	s_waitcnt lgkmcnt(2)
	v_mul_f64 v[24:25], v[24:25], v[18:19]
	v_mul_f64 v[18:19], v[28:29], v[18:19]
	v_mul_f64 v[8:9], v[8:9], -v[28:29]
	v_mul_f64 v[10:11], v[28:29], v[10:11]
	v_fma_f64 v[14:15], -v[32:33], v[16:17], v[14:15]
	v_mul_f64 v[24:25], v[24:25], -v[28:29]
	ds_write2_b64 v3, v[8:9], v[10:11] offset1:255
	s_waitcnt lgkmcnt(1)
	v_fma_f64 v[8:9], -v[8:9], v[16:17], v[22:23]
	v_mul_f64 v[16:17], v[18:19], -v[16:17]
	ds_write2st64_b64 v0, v[16:17], v[18:19] offset1:2
	v_fma_f64 v[16:17], -v[24:25], v[12:13], v[20:21]
	v_fma_f64 v[26:27], -v[12:13], v[30:31], v[26:27]
	ds_write2_b64 v7, v[16:17], v[8:9] offset1:1
	v_mul_f64 v[8:9], v[10:11], -v[12:13]
	ds_write_b64 v0, v[26:27] offset:12280
	ds_write_b64 v0, v[24:25] offset:3064
	ds_write2_b64 v34, v[8:9], v[14:15] offset1:1
.LBB164_28:
	s_or_b64 exec, exec, s[8:9]
	s_load_dwordx2 s[14:15], s[0:1], 0x48
	s_load_dwordx4 s[8:11], s[0:1], 0x38
	s_waitcnt lgkmcnt(0)
	s_barrier
	s_and_saveexec_b64 s[16:17], s[4:5]
	s_cbranch_execnz .LBB164_31
; %bb.29:
	s_or_b64 exec, exec, s[16:17]
	s_and_saveexec_b64 s[4:5], s[6:7]
	s_cbranch_execnz .LBB164_35
.LBB164_30:
	s_endpgm
.LBB164_31:
	s_cmp_eq_u32 s3, 0
	s_cbranch_scc1 .LBB164_39
; %bb.32:
	s_mulk_i32 s19, 0x7f
	s_cbranch_execnz .LBB164_34
.LBB164_33:
	s_load_dwordx4 s[20:23], s[0:1], 0x28
	ds_read2st64_b64 v[6:9], v6 offset1:4
	v_ashrrev_i32_e32 v3, 31, v2
	v_lshlrev_b64 v[12:13], 3, v[2:3]
	v_add_u32_e32 v10, s18, v2
	s_waitcnt lgkmcnt(0)
	v_lshl_add_u64 v[2:3], s[20:21], 0, v[12:13]
	global_store_dwordx2 v[2:3], v[6:7], off
	ds_read2st64_b64 v[0:3], v1 offset1:4
	v_mov_b32_e32 v11, 0
	v_lshlrev_b64 v[6:7], 3, v[10:11]
	v_lshl_add_u64 v[10:11], s[20:21], 0, v[6:7]
	global_store_dwordx2 v[10:11], v[8:9], off
	v_lshl_add_u64 v[8:9], s[22:23], 0, v[12:13]
	s_waitcnt lgkmcnt(0)
	global_store_dwordx2 v[8:9], v[0:1], off
	v_lshl_add_u64 v[0:1], s[22:23], 0, v[6:7]
	s_mov_b32 s19, s18
	global_store_dwordx2 v[0:1], v[2:3], off
.LBB164_34:
	ds_read2st64_b64 v[0:3], v5 offset1:4
	v_ashrrev_i32_e32 v5, 31, v4
	v_add_u32_e32 v6, s19, v4
	v_mov_b32_e32 v7, 0
	v_lshl_add_u64 v[4:5], v[4:5], 3, s[12:13]
	s_waitcnt lgkmcnt(0)
	global_store_dwordx2 v[4:5], v[0:1], off
	v_lshl_add_u64 v[0:1], v[6:7], 3, s[12:13]
	global_store_dwordx2 v[0:1], v[2:3], off
	s_or_b64 exec, exec, s[16:17]
	s_and_saveexec_b64 s[4:5], s[6:7]
	s_cbranch_execz .LBB164_30
.LBB164_35:
	s_cmp_eq_u32 s3, 0
	s_cbranch_scc1 .LBB164_40
; %bb.36:
	s_load_dword s6, s[0:1], 0x50
	s_cbranch_execnz .LBB164_38
.LBB164_37:
	s_waitcnt lgkmcnt(0)
	s_load_dword s6, s[0:1], 0x50
	v_mov_b32_e32 v0, 0xff8
	ds_read2_b64 v[6:9], v0 offset1:1
	s_mov_b32 s4, s3
	s_ashr_i32 s3, s2, 31
	s_lshl_b64 s[12:13], s[2:3], 3
	v_mov_b32_e32 v4, 0
	s_mov_b32 s3, s4
	s_add_u32 s4, s10, s12
	ds_read_b64 v[2:3], v4 offset:8184
	s_addc_u32 s5, s11, s13
	s_waitcnt lgkmcnt(0)
	s_add_i32 s0, s6, s2
	s_mov_b32 s1, 0
	s_lshl_b64 s[0:1], s[0:1], 3
	global_store_dwordx2 v4, v[8:9], s[4:5]
	s_add_u32 s4, s10, s0
	ds_read_b64 v[0:1], v4
	s_addc_u32 s5, s11, s1
	global_store_dwordx2 v4, v[2:3], s[4:5]
	s_add_u32 s4, s14, s12
	s_addc_u32 s5, s15, s13
	s_add_u32 s0, s14, s0
	s_addc_u32 s1, s15, s1
	s_waitcnt lgkmcnt(0)
	global_store_dwordx2 v4, v[0:1], s[4:5]
	global_store_dwordx2 v4, v[6:7], s[0:1]
.LBB164_38:
	s_waitcnt lgkmcnt(0)
	s_mul_i32 s0, s6, s3
	s_lshl_b32 s0, s0, 1
	s_add_i32 s0, s0, s2
	s_mov_b32 s1, 0
	v_mov_b32_e32 v4, 0
	s_lshl_b64 s[2:3], s[0:1], 3
	ds_read_b64 v[0:1], v4 offset:8192
	ds_read_b64 v[2:3], v4 offset:12280
	s_add_u32 s2, s8, s2
	s_addc_u32 s3, s9, s3
	s_add_i32 s0, s0, s6
	s_lshl_b64 s[0:1], s[0:1], 3
	s_add_u32 s0, s8, s0
	s_addc_u32 s1, s9, s1
	s_waitcnt lgkmcnt(1)
	global_store_dwordx2 v4, v[0:1], s[2:3]
	s_waitcnt lgkmcnt(0)
	global_store_dwordx2 v4, v[2:3], s[0:1]
	s_endpgm
.LBB164_39:
                                        ; implicit-def: $sgpr19
	s_branch .LBB164_33
.LBB164_40:
                                        ; implicit-def: $sgpr6
	s_branch .LBB164_37
	.section	.rodata,"a",@progbits
	.p2align	6, 0x0
	.amdhsa_kernel _ZN9rocsparseL29gtsv_spike_block_level_kernelILj256ELj128EdEEviiiPT1_PKS1_S4_S2_S2_S2_S2_S2_
		.amdhsa_group_segment_fixed_size 12288
		.amdhsa_private_segment_fixed_size 0
		.amdhsa_kernarg_size 336
		.amdhsa_user_sgpr_count 2
		.amdhsa_user_sgpr_dispatch_ptr 0
		.amdhsa_user_sgpr_queue_ptr 0
		.amdhsa_user_sgpr_kernarg_segment_ptr 1
		.amdhsa_user_sgpr_dispatch_id 0
		.amdhsa_user_sgpr_kernarg_preload_length 0
		.amdhsa_user_sgpr_kernarg_preload_offset 0
		.amdhsa_user_sgpr_private_segment_size 0
		.amdhsa_uses_dynamic_stack 0
		.amdhsa_enable_private_segment 0
		.amdhsa_system_sgpr_workgroup_id_x 1
		.amdhsa_system_sgpr_workgroup_id_y 1
		.amdhsa_system_sgpr_workgroup_id_z 0
		.amdhsa_system_sgpr_workgroup_info 0
		.amdhsa_system_vgpr_workitem_id 0
		.amdhsa_next_free_vgpr 43
		.amdhsa_next_free_sgpr 24
		.amdhsa_accum_offset 44
		.amdhsa_reserve_vcc 1
		.amdhsa_float_round_mode_32 0
		.amdhsa_float_round_mode_16_64 0
		.amdhsa_float_denorm_mode_32 3
		.amdhsa_float_denorm_mode_16_64 3
		.amdhsa_dx10_clamp 1
		.amdhsa_ieee_mode 1
		.amdhsa_fp16_overflow 0
		.amdhsa_tg_split 0
		.amdhsa_exception_fp_ieee_invalid_op 0
		.amdhsa_exception_fp_denorm_src 0
		.amdhsa_exception_fp_ieee_div_zero 0
		.amdhsa_exception_fp_ieee_overflow 0
		.amdhsa_exception_fp_ieee_underflow 0
		.amdhsa_exception_fp_ieee_inexact 0
		.amdhsa_exception_int_div_zero 0
	.end_amdhsa_kernel
	.section	.text._ZN9rocsparseL29gtsv_spike_block_level_kernelILj256ELj128EdEEviiiPT1_PKS1_S4_S2_S2_S2_S2_S2_,"axG",@progbits,_ZN9rocsparseL29gtsv_spike_block_level_kernelILj256ELj128EdEEviiiPT1_PKS1_S4_S2_S2_S2_S2_S2_,comdat
.Lfunc_end164:
	.size	_ZN9rocsparseL29gtsv_spike_block_level_kernelILj256ELj128EdEEviiiPT1_PKS1_S4_S2_S2_S2_S2_S2_, .Lfunc_end164-_ZN9rocsparseL29gtsv_spike_block_level_kernelILj256ELj128EdEEviiiPT1_PKS1_S4_S2_S2_S2_S2_S2_
                                        ; -- End function
	.set _ZN9rocsparseL29gtsv_spike_block_level_kernelILj256ELj128EdEEviiiPT1_PKS1_S4_S2_S2_S2_S2_S2_.num_vgpr, 43
	.set _ZN9rocsparseL29gtsv_spike_block_level_kernelILj256ELj128EdEEviiiPT1_PKS1_S4_S2_S2_S2_S2_S2_.num_agpr, 0
	.set _ZN9rocsparseL29gtsv_spike_block_level_kernelILj256ELj128EdEEviiiPT1_PKS1_S4_S2_S2_S2_S2_S2_.numbered_sgpr, 24
	.set _ZN9rocsparseL29gtsv_spike_block_level_kernelILj256ELj128EdEEviiiPT1_PKS1_S4_S2_S2_S2_S2_S2_.num_named_barrier, 0
	.set _ZN9rocsparseL29gtsv_spike_block_level_kernelILj256ELj128EdEEviiiPT1_PKS1_S4_S2_S2_S2_S2_S2_.private_seg_size, 0
	.set _ZN9rocsparseL29gtsv_spike_block_level_kernelILj256ELj128EdEEviiiPT1_PKS1_S4_S2_S2_S2_S2_S2_.uses_vcc, 1
	.set _ZN9rocsparseL29gtsv_spike_block_level_kernelILj256ELj128EdEEviiiPT1_PKS1_S4_S2_S2_S2_S2_S2_.uses_flat_scratch, 0
	.set _ZN9rocsparseL29gtsv_spike_block_level_kernelILj256ELj128EdEEviiiPT1_PKS1_S4_S2_S2_S2_S2_S2_.has_dyn_sized_stack, 0
	.set _ZN9rocsparseL29gtsv_spike_block_level_kernelILj256ELj128EdEEviiiPT1_PKS1_S4_S2_S2_S2_S2_S2_.has_recursion, 0
	.set _ZN9rocsparseL29gtsv_spike_block_level_kernelILj256ELj128EdEEviiiPT1_PKS1_S4_S2_S2_S2_S2_S2_.has_indirect_call, 0
	.section	.AMDGPU.csdata,"",@progbits
; Kernel info:
; codeLenInByte = 4044
; TotalNumSgprs: 30
; NumVgprs: 43
; NumAgprs: 0
; TotalNumVgprs: 43
; ScratchSize: 0
; MemoryBound: 0
; FloatMode: 240
; IeeeMode: 1
; LDSByteSize: 12288 bytes/workgroup (compile time only)
; SGPRBlocks: 3
; VGPRBlocks: 5
; NumSGPRsForWavesPerEU: 30
; NumVGPRsForWavesPerEU: 43
; AccumOffset: 44
; Occupancy: 8
; WaveLimiterHint : 0
; COMPUTE_PGM_RSRC2:SCRATCH_EN: 0
; COMPUTE_PGM_RSRC2:USER_SGPR: 2
; COMPUTE_PGM_RSRC2:TRAP_HANDLER: 0
; COMPUTE_PGM_RSRC2:TGID_X_EN: 1
; COMPUTE_PGM_RSRC2:TGID_Y_EN: 1
; COMPUTE_PGM_RSRC2:TGID_Z_EN: 0
; COMPUTE_PGM_RSRC2:TIDIG_COMP_CNT: 0
; COMPUTE_PGM_RSRC3_GFX90A:ACCUM_OFFSET: 10
; COMPUTE_PGM_RSRC3_GFX90A:TG_SPLIT: 0
	.section	.text._ZN9rocsparseL33gtsv_solve_spike_propagate_kernelILj256ELj128EdEEviiiPT1_PKS1_S4_S4_,"axG",@progbits,_ZN9rocsparseL33gtsv_solve_spike_propagate_kernelILj256ELj128EdEEviiiPT1_PKS1_S4_S4_,comdat
	.globl	_ZN9rocsparseL33gtsv_solve_spike_propagate_kernelILj256ELj128EdEEviiiPT1_PKS1_S4_S4_ ; -- Begin function _ZN9rocsparseL33gtsv_solve_spike_propagate_kernelILj256ELj128EdEEviiiPT1_PKS1_S4_S4_
	.p2align	8
	.type	_ZN9rocsparseL33gtsv_solve_spike_propagate_kernelILj256ELj128EdEEviiiPT1_PKS1_S4_S4_,@function
_ZN9rocsparseL33gtsv_solve_spike_propagate_kernelILj256ELj128EdEEviiiPT1_PKS1_S4_S4_: ; @_ZN9rocsparseL33gtsv_solve_spike_propagate_kernelILj256ELj128EdEEviiiPT1_PKS1_S4_S4_
; %bb.0:
	s_load_dword s8, s[0:1], 0x0
	v_lshl_or_b32 v2, s2, 8, v0
	v_mov_b64_e32 v[4:5], 0
	v_ashrrev_i32_e32 v3, 31, v2
	v_mov_b64_e32 v[6:7], 0
	s_waitcnt lgkmcnt(0)
	s_lshr_b32 s14, s8, 7
	v_cmp_le_i32_e64 s[4:5], s14, v2
	v_cmp_gt_i32_e32 vcc, s14, v2
	s_mulk_i32 s14, 0x7f
	s_and_saveexec_b64 s[6:7], vcc
	s_cbranch_execz .LBB165_2
; %bb.1:
	s_load_dwordx2 s[10:11], s[0:1], 0x18
	v_add_u32_e32 v4, s14, v2
	v_mov_b32_e32 v5, 0
	s_waitcnt lgkmcnt(0)
	v_lshl_add_u64 v[8:9], v[2:3], 3, s[10:11]
	v_lshl_add_u64 v[10:11], v[4:5], 3, s[10:11]
	global_load_dwordx2 v[4:5], v[8:9], off
	global_load_dwordx2 v[6:7], v[10:11], off
.LBB165_2:
	s_or_b64 exec, exec, s[6:7]
	s_load_dwordx2 s[6:7], s[0:1], 0x10
	v_lshlrev_b32_e32 v1, 3, v0
	v_add_u32_e32 v8, 16, v1
	s_waitcnt vmcnt(0)
	ds_write2st64_b64 v8, v[4:5], v[6:7] offset0:16 offset1:20
	s_and_saveexec_b64 s[10:11], s[4:5]
	s_xor_b64 s[4:5], exec, s[10:11]
; %bb.3:
	s_mov_b32 s10, 0
	s_mov_b32 s11, s10
	v_mov_b64_e32 v[4:5], s[10:11]
	ds_write2st64_b64 v8, v[4:5], v[4:5] offset0:8 offset1:12
; %bb.4:
	s_or_saveexec_b64 s[4:5], s[4:5]
	v_mov_b64_e32 v[4:5], 0
	s_mul_i32 s8, s8, s3
	v_mov_b64_e32 v[6:7], 0
	s_xor_b64 exec, exec, s[4:5]
	s_cbranch_execz .LBB165_6
; %bb.5:
	s_load_dwordx2 s[10:11], s[0:1], 0x20
	v_add_u32_e32 v6, s14, v2
	v_mov_b32_e32 v7, 0
	s_waitcnt lgkmcnt(0)
	v_lshl_add_u64 v[10:11], v[6:7], 3, s[10:11]
	v_add_u32_e32 v6, s8, v6
	v_lshl_add_u64 v[8:9], v[2:3], 3, s[10:11]
	v_lshl_add_u64 v[6:7], v[6:7], 3, s[6:7]
	global_load_dwordx2 v[12:13], v[8:9], off
	global_load_dwordx2 v[14:15], v[10:11], off
	v_add_u32_e32 v3, 16, v1
	global_load_dwordx2 v[6:7], v[6:7], off
	s_waitcnt vmcnt(1)
	ds_write2st64_b64 v3, v[12:13], v[14:15] offset0:8 offset1:12
.LBB165_6:
	s_or_b64 exec, exec, s[4:5]
	v_add_u32_e32 v2, s8, v2
	s_waitcnt vmcnt(0)
	ds_write_b64 v1, v[6:7] offset:8
	s_and_saveexec_b64 s[4:5], vcc
	s_cbranch_execz .LBB165_8
; %bb.7:
	v_ashrrev_i32_e32 v3, 31, v2
	s_waitcnt lgkmcnt(0)
	v_lshl_add_u64 v[4:5], v[2:3], 3, s[6:7]
	global_load_dwordx2 v[4:5], v[4:5], off
.LBB165_8:
	s_or_b64 exec, exec, s[4:5]
	v_cmp_eq_u32_e64 s[4:5], 0, v0
	s_waitcnt vmcnt(0)
	ds_write_b64 v1, v[4:5] offset:2056
	s_waitcnt lgkmcnt(0)
	s_barrier
	s_and_saveexec_b64 s[8:9], s[4:5]
	s_cbranch_execz .LBB165_14
; %bb.9:
	s_load_dword s15, s[0:1], 0x30
	s_load_dwordx2 s[10:11], s[0:1], 0x28
	s_cmp_lt_i32 s2, 1
	s_mov_b64 s[0:1], 0
	s_mov_b64 s[12:13], 0
	s_waitcnt lgkmcnt(0)
	s_mul_i32 s3, s3, s15
	s_cbranch_scc1 .LBB165_11
; %bb.10:
	s_lshl_b32 s12, s3, 1
	s_add_i32 s13, s2, s15
	s_add_i32 s12, s13, s12
	s_add_i32 s12, s12, -1
	s_mov_b32 s13, 0
	s_lshl_b64 s[12:13], s[12:13], 3
	s_add_u32 s12, s10, s12
	s_addc_u32 s13, s11, s13
	s_load_dwordx2 s[12:13], s[12:13], 0x0
.LBB165_11:
	s_waitcnt lgkmcnt(0)
	v_mov_b64_e32 v[4:5], s[12:13]
	s_add_i32 s12, s15, -1
	v_mov_b32_e32 v3, 0
	s_cmp_ge_u32 s2, s12
	ds_write_b64 v3, v[4:5]
	s_cbranch_scc1 .LBB165_13
; %bb.12:
	s_lshl_b32 s0, s3, 1
	s_add_i32 s0, s2, s0
	s_add_i32 s0, s0, 1
	s_mov_b32 s1, 0
	s_lshl_b64 s[0:1], s[0:1], 3
	s_add_u32 s0, s10, s0
	s_addc_u32 s1, s11, s1
	s_load_dwordx2 s[0:1], s[0:1], 0x0
.LBB165_13:
	s_lshl_b32 s3, s3, 1
	s_add_i32 s2, s3, s2
	s_mov_b32 s3, 0
	s_lshl_b64 s[12:13], s[2:3], 3
	s_add_u32 s12, s10, s12
	s_addc_u32 s13, s11, s13
	s_add_i32 s2, s2, s15
	s_lshl_b64 s[2:3], s[2:3], 3
	s_add_u32 s2, s10, s2
	s_addc_u32 s3, s11, s3
	s_load_dwordx2 s[10:11], s[2:3], 0x0
	s_load_dwordx2 s[16:17], s[12:13], 0x0
	s_waitcnt lgkmcnt(0)
	v_mov_b64_e32 v[4:5], s[0:1]
	ds_write_b64 v3, v[4:5] offset:4104
	v_mov_b32_e32 v4, s10
	v_mov_b32_e32 v5, s11
	;; [unrolled: 1-line block ×4, first 2 shown]
	ds_write_b128 v3, v[4:7] offset:2048
.LBB165_14:
	s_or_b64 exec, exec, s[8:9]
	s_waitcnt lgkmcnt(0)
	s_barrier
	s_and_saveexec_b64 s[0:1], s[4:5]
	s_cbranch_execz .LBB165_16
; %bb.15:
	s_movk_i32 s2, 0x1410
	v_mov_b32_e32 v3, 0
	v_add_u32_e64 v8, s2, 0
	v_add_u32_e64 v12, 8, 0
	s_movk_i32 s2, 0x2410
	ds_read2st64_b64 v[4:7], v3 offset1:2
	ds_read2_b64 v[8:11], v8 offset1:255
	ds_read2st64_b64 v[12:15], v12 offset0:6 offset1:8
	v_add_u32_e64 v16, s2, 0
	ds_read2_b64 v[16:19], v16 offset1:255
	s_waitcnt lgkmcnt(1)
	v_fma_f64 v[6:7], -v[10:11], v[14:15], v[6:7]
	s_waitcnt lgkmcnt(0)
	v_fma_f64 v[6:7], -v[18:19], v[4:5], v[6:7]
	ds_write_b64 v3, v[6:7] offset:1024
	v_fma_f64 v[6:7], -v[8:9], v[14:15], v[12:13]
	v_fma_f64 v[4:5], -v[16:17], v[4:5], v[6:7]
	ds_write_b64 v3, v[4:5] offset:3080
.LBB165_16:
	s_or_b64 exec, exec, s[0:1]
	v_cmp_gt_u32_e64 s[0:1], 2, v0
	s_waitcnt lgkmcnt(0)
	s_barrier
	s_and_saveexec_b64 s[2:3], s[0:1]
	s_cbranch_execz .LBB165_18
; %bb.17:
	s_movk_i32 s0, 0x3f8
	v_mad_u32_u24 v3, v0, s0, v1
	v_lshlrev_b32_e32 v16, 10, v0
	v_add_u32_e32 v8, 0x1210, v16
	v_add_u32_e32 v12, 8, v3
	ds_read2st64_b64 v[4:7], v3 offset1:1
	ds_read2_b64 v[8:11], v8 offset1:255
	ds_read2st64_b64 v[12:15], v12 offset0:5 offset1:6
	v_add_u32_e32 v16, 0x2210, v16
	ds_read2_b64 v[16:19], v16 offset1:255
	s_waitcnt lgkmcnt(1)
	v_fma_f64 v[6:7], -v[10:11], v[14:15], v[6:7]
	s_waitcnt lgkmcnt(0)
	v_fma_f64 v[6:7], -v[18:19], v[4:5], v[6:7]
	ds_write_b64 v3, v[6:7] offset:512
	v_fma_f64 v[6:7], -v[8:9], v[14:15], v[12:13]
	v_fma_f64 v[4:5], -v[16:17], v[4:5], v[6:7]
	ds_write_b64 v3, v[4:5] offset:2568
.LBB165_18:
	s_or_b64 exec, exec, s[2:3]
	v_cmp_gt_u32_e64 s[0:1], 4, v0
	s_waitcnt lgkmcnt(0)
	s_barrier
	s_and_saveexec_b64 s[2:3], s[0:1]
	s_cbranch_execz .LBB165_20
; %bb.19:
	v_lshlrev_b32_e32 v3, 9, v0
	v_add_u32_e32 v8, 0x1110, v3
	v_add_u32_e32 v12, 0x800, v3
	ds_read2_b64 v[4:7], v3 offset1:32
	ds_read2_b64 v[8:11], v8 offset1:255
	ds_read2_b64 v[12:15], v12 offset0:33 offset1:65
	v_add_u32_e32 v16, 0x2110, v3
	ds_read2_b64 v[16:19], v16 offset1:255
	s_waitcnt lgkmcnt(1)
	v_fma_f64 v[6:7], -v[10:11], v[14:15], v[6:7]
	s_waitcnt lgkmcnt(0)
	v_fma_f64 v[6:7], -v[18:19], v[4:5], v[6:7]
	ds_write_b64 v3, v[6:7] offset:256
	v_fma_f64 v[6:7], -v[8:9], v[14:15], v[12:13]
	v_fma_f64 v[4:5], -v[16:17], v[4:5], v[6:7]
	ds_write_b64 v3, v[4:5] offset:2312
.LBB165_20:
	s_or_b64 exec, exec, s[2:3]
	v_cmp_gt_u32_e64 s[0:1], 8, v0
	s_waitcnt lgkmcnt(0)
	s_barrier
	s_and_saveexec_b64 s[2:3], s[0:1]
	s_cbranch_execz .LBB165_22
; %bb.21:
	v_lshlrev_b32_e32 v3, 8, v0
	v_add_u32_e32 v8, 0x1090, v3
	v_add_u32_e32 v12, 0x800, v3
	ds_read2_b64 v[4:7], v3 offset1:16
	ds_read2_b64 v[8:11], v8 offset1:255
	ds_read2_b64 v[12:15], v12 offset0:17 offset1:33
	v_add_u32_e32 v16, 0x2090, v3
	ds_read2_b64 v[16:19], v16 offset1:255
	s_waitcnt lgkmcnt(1)
	v_fma_f64 v[6:7], -v[10:11], v[14:15], v[6:7]
	s_waitcnt lgkmcnt(0)
	v_fma_f64 v[6:7], -v[18:19], v[4:5], v[6:7]
	ds_write_b64 v3, v[6:7] offset:128
	v_fma_f64 v[6:7], -v[8:9], v[14:15], v[12:13]
	v_fma_f64 v[4:5], -v[16:17], v[4:5], v[6:7]
	ds_write_b64 v3, v[4:5] offset:2184
.LBB165_22:
	;; [unrolled: 24-line block ×5, first 2 shown]
	s_or_b64 exec, exec, s[2:3]
	s_movk_i32 s0, 0x80
	v_cmp_gt_u32_e64 s[0:1], s0, v0
	s_waitcnt lgkmcnt(0)
	s_barrier
	s_and_saveexec_b64 s[2:3], s[0:1]
	s_cbranch_execz .LBB165_30
; %bb.29:
	v_lshlrev_b32_e32 v0, 4, v0
	v_add_u32_e32 v3, 0x1018, v0
	ds_read2_b64 v[4:7], v3 offset1:255
	ds_read_b128 v[8:11], v0
	ds_read_b128 v[12:15], v0 offset:2064
	v_add_u32_e32 v3, 0x2018, v0
	ds_read2_b64 v[16:19], v3 offset1:255
	s_waitcnt lgkmcnt(1)
	v_fma_f64 v[6:7], -v[6:7], v[14:15], v[10:11]
	v_fma_f64 v[4:5], -v[4:5], v[14:15], v[12:13]
	s_waitcnt lgkmcnt(0)
	v_fma_f64 v[6:7], -v[18:19], v[8:9], v[6:7]
	v_fma_f64 v[4:5], -v[16:17], v[8:9], v[4:5]
	ds_write_b64 v0, v[6:7] offset:8
	ds_write_b64 v0, v[4:5] offset:2064
.LBB165_30:
	s_or_b64 exec, exec, s[2:3]
	s_waitcnt lgkmcnt(0)
	s_barrier
	s_and_saveexec_b64 s[0:1], vcc
	s_cbranch_execz .LBB165_32
; %bb.31:
	v_add_u32_e32 v0, 8, v1
	ds_read2st64_b64 v[4:7], v0 offset1:4
	v_ashrrev_i32_e32 v3, 31, v2
	v_add_u32_e32 v0, s14, v2
	v_mov_b32_e32 v1, 0
	v_lshl_add_u64 v[2:3], v[2:3], 3, s[6:7]
	v_lshl_add_u64 v[0:1], v[0:1], 3, s[6:7]
	s_waitcnt lgkmcnt(0)
	global_store_dwordx2 v[2:3], v[6:7], off
	global_store_dwordx2 v[0:1], v[4:5], off
.LBB165_32:
	s_endpgm
	.section	.rodata,"a",@progbits
	.p2align	6, 0x0
	.amdhsa_kernel _ZN9rocsparseL33gtsv_solve_spike_propagate_kernelILj256ELj128EdEEviiiPT1_PKS1_S4_S4_
		.amdhsa_group_segment_fixed_size 12304
		.amdhsa_private_segment_fixed_size 0
		.amdhsa_kernarg_size 304
		.amdhsa_user_sgpr_count 2
		.amdhsa_user_sgpr_dispatch_ptr 0
		.amdhsa_user_sgpr_queue_ptr 0
		.amdhsa_user_sgpr_kernarg_segment_ptr 1
		.amdhsa_user_sgpr_dispatch_id 0
		.amdhsa_user_sgpr_kernarg_preload_length 0
		.amdhsa_user_sgpr_kernarg_preload_offset 0
		.amdhsa_user_sgpr_private_segment_size 0
		.amdhsa_uses_dynamic_stack 0
		.amdhsa_enable_private_segment 0
		.amdhsa_system_sgpr_workgroup_id_x 1
		.amdhsa_system_sgpr_workgroup_id_y 1
		.amdhsa_system_sgpr_workgroup_id_z 0
		.amdhsa_system_sgpr_workgroup_info 0
		.amdhsa_system_vgpr_workitem_id 0
		.amdhsa_next_free_vgpr 20
		.amdhsa_next_free_sgpr 18
		.amdhsa_accum_offset 20
		.amdhsa_reserve_vcc 1
		.amdhsa_float_round_mode_32 0
		.amdhsa_float_round_mode_16_64 0
		.amdhsa_float_denorm_mode_32 3
		.amdhsa_float_denorm_mode_16_64 3
		.amdhsa_dx10_clamp 1
		.amdhsa_ieee_mode 1
		.amdhsa_fp16_overflow 0
		.amdhsa_tg_split 0
		.amdhsa_exception_fp_ieee_invalid_op 0
		.amdhsa_exception_fp_denorm_src 0
		.amdhsa_exception_fp_ieee_div_zero 0
		.amdhsa_exception_fp_ieee_overflow 0
		.amdhsa_exception_fp_ieee_underflow 0
		.amdhsa_exception_fp_ieee_inexact 0
		.amdhsa_exception_int_div_zero 0
	.end_amdhsa_kernel
	.section	.text._ZN9rocsparseL33gtsv_solve_spike_propagate_kernelILj256ELj128EdEEviiiPT1_PKS1_S4_S4_,"axG",@progbits,_ZN9rocsparseL33gtsv_solve_spike_propagate_kernelILj256ELj128EdEEviiiPT1_PKS1_S4_S4_,comdat
.Lfunc_end165:
	.size	_ZN9rocsparseL33gtsv_solve_spike_propagate_kernelILj256ELj128EdEEviiiPT1_PKS1_S4_S4_, .Lfunc_end165-_ZN9rocsparseL33gtsv_solve_spike_propagate_kernelILj256ELj128EdEEviiiPT1_PKS1_S4_S4_
                                        ; -- End function
	.set _ZN9rocsparseL33gtsv_solve_spike_propagate_kernelILj256ELj128EdEEviiiPT1_PKS1_S4_S4_.num_vgpr, 20
	.set _ZN9rocsparseL33gtsv_solve_spike_propagate_kernelILj256ELj128EdEEviiiPT1_PKS1_S4_S4_.num_agpr, 0
	.set _ZN9rocsparseL33gtsv_solve_spike_propagate_kernelILj256ELj128EdEEviiiPT1_PKS1_S4_S4_.numbered_sgpr, 18
	.set _ZN9rocsparseL33gtsv_solve_spike_propagate_kernelILj256ELj128EdEEviiiPT1_PKS1_S4_S4_.num_named_barrier, 0
	.set _ZN9rocsparseL33gtsv_solve_spike_propagate_kernelILj256ELj128EdEEviiiPT1_PKS1_S4_S4_.private_seg_size, 0
	.set _ZN9rocsparseL33gtsv_solve_spike_propagate_kernelILj256ELj128EdEEviiiPT1_PKS1_S4_S4_.uses_vcc, 1
	.set _ZN9rocsparseL33gtsv_solve_spike_propagate_kernelILj256ELj128EdEEviiiPT1_PKS1_S4_S4_.uses_flat_scratch, 0
	.set _ZN9rocsparseL33gtsv_solve_spike_propagate_kernelILj256ELj128EdEEviiiPT1_PKS1_S4_S4_.has_dyn_sized_stack, 0
	.set _ZN9rocsparseL33gtsv_solve_spike_propagate_kernelILj256ELj128EdEEviiiPT1_PKS1_S4_S4_.has_recursion, 0
	.set _ZN9rocsparseL33gtsv_solve_spike_propagate_kernelILj256ELj128EdEEviiiPT1_PKS1_S4_S4_.has_indirect_call, 0
	.section	.AMDGPU.csdata,"",@progbits
; Kernel info:
; codeLenInByte = 1860
; TotalNumSgprs: 24
; NumVgprs: 20
; NumAgprs: 0
; TotalNumVgprs: 20
; ScratchSize: 0
; MemoryBound: 0
; FloatMode: 240
; IeeeMode: 1
; LDSByteSize: 12304 bytes/workgroup (compile time only)
; SGPRBlocks: 2
; VGPRBlocks: 2
; NumSGPRsForWavesPerEU: 24
; NumVGPRsForWavesPerEU: 20
; AccumOffset: 20
; Occupancy: 8
; WaveLimiterHint : 0
; COMPUTE_PGM_RSRC2:SCRATCH_EN: 0
; COMPUTE_PGM_RSRC2:USER_SGPR: 2
; COMPUTE_PGM_RSRC2:TRAP_HANDLER: 0
; COMPUTE_PGM_RSRC2:TGID_X_EN: 1
; COMPUTE_PGM_RSRC2:TGID_Y_EN: 1
; COMPUTE_PGM_RSRC2:TGID_Z_EN: 0
; COMPUTE_PGM_RSRC2:TIDIG_COMP_CNT: 0
; COMPUTE_PGM_RSRC3_GFX90A:ACCUM_OFFSET: 4
; COMPUTE_PGM_RSRC3_GFX90A:TG_SPLIT: 0
	.section	.text._ZN9rocsparseL39gtsv_spike_backward_substitution_kernelILj256ELj128EdEEviiiPT1_PKS1_S4_,"axG",@progbits,_ZN9rocsparseL39gtsv_spike_backward_substitution_kernelILj256ELj128EdEEviiiPT1_PKS1_S4_,comdat
	.globl	_ZN9rocsparseL39gtsv_spike_backward_substitution_kernelILj256ELj128EdEEviiiPT1_PKS1_S4_ ; -- Begin function _ZN9rocsparseL39gtsv_spike_backward_substitution_kernelILj256ELj128EdEEviiiPT1_PKS1_S4_
	.p2align	8
	.type	_ZN9rocsparseL39gtsv_spike_backward_substitution_kernelILj256ELj128EdEEviiiPT1_PKS1_S4_,@function
_ZN9rocsparseL39gtsv_spike_backward_substitution_kernelILj256ELj128EdEEviiiPT1_PKS1_S4_: ; @_ZN9rocsparseL39gtsv_spike_backward_substitution_kernelILj256ELj128EdEEviiiPT1_PKS1_S4_
; %bb.0:
	s_load_dword s6, s[0:1], 0x0
	s_lshl_b32 s10, s2, 8
	v_or_b32_e32 v6, s10, v0
	s_waitcnt lgkmcnt(0)
	s_lshr_b32 s11, s6, 7
	v_cmp_gt_i32_e32 vcc, s11, v6
	s_and_saveexec_b64 s[4:5], vcc
	s_cbranch_execz .LBB166_9
; %bb.1:
	s_load_dwordx2 s[8:9], s[0:1], 0x10
	v_cmp_lt_i32_e32 vcc, 0, v6
	v_mov_b64_e32 v[2:3], 0
	s_mul_i32 s2, s6, s3
	s_and_saveexec_b64 s[4:5], vcc
	s_cbranch_execz .LBB166_3
; %bb.2:
	s_mul_i32 s7, s11, 0x7f
	s_mul_i32 s3, s6, s3
	s_add_i32 s7, s7, s3
	v_add3_u32 v2, v6, s7, -1
	v_mov_b32_e32 v3, 0
	s_waitcnt lgkmcnt(0)
	v_lshl_add_u64 v[2:3], v[2:3], 3, s[8:9]
	global_load_dwordx2 v[2:3], v[2:3], off
.LBB166_3:
	s_or_b64 exec, exec, s[4:5]
	v_add_u32_e32 v1, 0x80, v6
	v_cmp_le_u32_e32 vcc, s6, v1
	s_and_saveexec_b64 s[4:5], vcc
	s_xor_b64 s[4:5], exec, s[4:5]
; %bb.4:
                                        ; implicit-def: $vgpr6
; %bb.5:
	s_or_saveexec_b64 s[4:5], s[4:5]
	v_mov_b64_e32 v[4:5], 0
	v_mov_b32_e32 v17, s2
	s_xor_b64 exec, exec, s[4:5]
	s_cbranch_execz .LBB166_7
; %bb.6:
	s_ashr_i32 s3, s2, 31
	v_ashrrev_i32_e32 v7, 31, v6
	v_lshl_add_u64 v[4:5], v[6:7], 0, s[2:3]
	s_waitcnt lgkmcnt(0)
	v_lshl_add_u64 v[4:5], v[4:5], 3, s[8:9]
	global_load_dwordx2 v[4:5], v[4:5], off offset:8
	v_mov_b32_e32 v17, s2
.LBB166_7:
	s_or_b64 exec, exec, s[4:5]
	s_load_dwordx4 s[4:7], s[0:1], 0x18
	v_add_u32_e32 v15, v0, v17
	s_lshl_b32 s1, s11, 1
	v_add_u32_e32 v1, s1, v15
	v_add_u32_e32 v6, s1, v0
	s_mul_i32 s1, s11, 3
	v_add_u32_e32 v7, s1, v15
	v_add_u32_e32 v8, s1, v0
	s_lshl_b32 s1, s11, 2
	v_add_u32_e32 v9, s1, v15
	v_add_u32_e32 v10, s1, v0
	s_mul_i32 s1, s11, 5
	s_mul_i32 s0, s11, 7
	v_add_u32_e32 v11, s1, v15
	v_add_u32_e32 v12, s1, v0
	s_mul_i32 s1, s11, 6
	v_add_u32_e32 v14, s1, v0
	v_add_u32_e32 v16, s0, v0
	;; [unrolled: 1-line block ×6, first 2 shown]
	s_movk_i32 s1, 0x7e
.LBB166_8:                              ; =>This Inner Loop Header: Depth=1
	v_add_u32_e32 v18, s10, v0
	v_add_u32_e32 v20, s10, v17
	v_ashrrev_i32_e32 v21, 31, v20
	v_ashrrev_i32_e32 v19, 31, v18
	s_waitcnt lgkmcnt(0)
	v_lshl_add_u64 v[20:21], v[20:21], 3, s[8:9]
	v_lshlrev_b64 v[18:19], 3, v[18:19]
	global_load_dwordx2 v[22:23], v[20:21], off
	v_lshl_add_u64 v[24:25], s[4:5], 0, v[18:19]
	v_lshl_add_u64 v[18:19], s[6:7], 0, v[18:19]
	global_load_dwordx2 v[26:27], v[24:25], off
	global_load_dwordx2 v[28:29], v[18:19], off
	v_add_u32_e32 v18, s10, v6
	v_ashrrev_i32_e32 v19, 31, v18
	v_add_u32_e32 v24, s10, v1
	v_lshlrev_b64 v[18:19], 3, v[18:19]
	v_ashrrev_i32_e32 v25, 31, v24
	v_lshl_add_u64 v[30:31], s[4:5], 0, v[18:19]
	v_lshl_add_u64 v[24:25], v[24:25], 3, s[8:9]
	global_load_dwordx2 v[30:31], v[30:31], off
	v_lshl_add_u64 v[18:19], s[6:7], 0, v[18:19]
	s_add_i32 s1, s1, -7
	v_add_u32_e32 v1, s0, v1
	v_add_u32_e32 v6, s0, v6
	;; [unrolled: 1-line block ×4, first 2 shown]
	s_cmp_lg_u32 s1, 0
	s_waitcnt vmcnt(2)
	v_fma_f64 v[22:23], -v[2:3], v[26:27], v[22:23]
	s_waitcnt vmcnt(1)
	v_fma_f64 v[22:23], -v[4:5], v[28:29], v[22:23]
	global_store_dwordx2 v[20:21], v[22:23], off
	global_load_dwordx2 v[20:21], v[24:25], off
	s_nop 0
	global_load_dwordx2 v[22:23], v[18:19], off
	v_add_u32_e32 v18, s10, v8
	v_ashrrev_i32_e32 v19, 31, v18
	v_add_u32_e32 v26, s10, v7
	v_lshlrev_b64 v[18:19], 3, v[18:19]
	v_ashrrev_i32_e32 v27, 31, v26
	v_lshl_add_u64 v[28:29], s[4:5], 0, v[18:19]
	v_lshl_add_u64 v[26:27], v[26:27], 3, s[8:9]
	global_load_dwordx2 v[28:29], v[28:29], off
	v_lshl_add_u64 v[18:19], s[6:7], 0, v[18:19]
	v_add_u32_e32 v7, s0, v7
	v_add_u32_e32 v8, s0, v8
	s_waitcnt vmcnt(2)
	v_fma_f64 v[20:21], -v[2:3], v[30:31], v[20:21]
	s_waitcnt vmcnt(1)
	v_fma_f64 v[20:21], -v[4:5], v[22:23], v[20:21]
	global_store_dwordx2 v[24:25], v[20:21], off
	global_load_dwordx2 v[20:21], v[26:27], off
	s_nop 0
	global_load_dwordx2 v[22:23], v[18:19], off
	v_add_u32_e32 v18, s10, v10
	v_ashrrev_i32_e32 v19, 31, v18
	v_add_u32_e32 v24, s10, v9
	v_lshlrev_b64 v[18:19], 3, v[18:19]
	v_ashrrev_i32_e32 v25, 31, v24
	v_lshl_add_u64 v[30:31], s[4:5], 0, v[18:19]
	v_lshl_add_u64 v[24:25], v[24:25], 3, s[8:9]
	global_load_dwordx2 v[30:31], v[30:31], off
	v_lshl_add_u64 v[18:19], s[6:7], 0, v[18:19]
	v_add_u32_e32 v9, s0, v9
	v_add_u32_e32 v10, s0, v10
	;; [unrolled: 19-line block ×5, first 2 shown]
	s_waitcnt vmcnt(2)
	v_fma_f64 v[20:21], -v[2:3], v[30:31], v[20:21]
	s_waitcnt vmcnt(1)
	v_fma_f64 v[20:21], -v[4:5], v[22:23], v[20:21]
	global_store_dwordx2 v[24:25], v[20:21], off
	global_load_dwordx2 v[20:21], v[26:27], off
	s_nop 0
	global_load_dwordx2 v[22:23], v[18:19], off
	s_waitcnt vmcnt(1)
	v_fma_f64 v[18:19], -v[2:3], v[28:29], v[20:21]
	s_waitcnt vmcnt(0)
	v_fma_f64 v[18:19], -v[4:5], v[22:23], v[18:19]
	global_store_dwordx2 v[26:27], v[18:19], off
	s_cbranch_scc1 .LBB166_8
.LBB166_9:
	s_endpgm
	.section	.rodata,"a",@progbits
	.p2align	6, 0x0
	.amdhsa_kernel _ZN9rocsparseL39gtsv_spike_backward_substitution_kernelILj256ELj128EdEEviiiPT1_PKS1_S4_
		.amdhsa_group_segment_fixed_size 0
		.amdhsa_private_segment_fixed_size 0
		.amdhsa_kernarg_size 40
		.amdhsa_user_sgpr_count 2
		.amdhsa_user_sgpr_dispatch_ptr 0
		.amdhsa_user_sgpr_queue_ptr 0
		.amdhsa_user_sgpr_kernarg_segment_ptr 1
		.amdhsa_user_sgpr_dispatch_id 0
		.amdhsa_user_sgpr_kernarg_preload_length 0
		.amdhsa_user_sgpr_kernarg_preload_offset 0
		.amdhsa_user_sgpr_private_segment_size 0
		.amdhsa_uses_dynamic_stack 0
		.amdhsa_enable_private_segment 0
		.amdhsa_system_sgpr_workgroup_id_x 1
		.amdhsa_system_sgpr_workgroup_id_y 1
		.amdhsa_system_sgpr_workgroup_id_z 0
		.amdhsa_system_sgpr_workgroup_info 0
		.amdhsa_system_vgpr_workitem_id 0
		.amdhsa_next_free_vgpr 32
		.amdhsa_next_free_sgpr 12
		.amdhsa_accum_offset 32
		.amdhsa_reserve_vcc 1
		.amdhsa_float_round_mode_32 0
		.amdhsa_float_round_mode_16_64 0
		.amdhsa_float_denorm_mode_32 3
		.amdhsa_float_denorm_mode_16_64 3
		.amdhsa_dx10_clamp 1
		.amdhsa_ieee_mode 1
		.amdhsa_fp16_overflow 0
		.amdhsa_tg_split 0
		.amdhsa_exception_fp_ieee_invalid_op 0
		.amdhsa_exception_fp_denorm_src 0
		.amdhsa_exception_fp_ieee_div_zero 0
		.amdhsa_exception_fp_ieee_overflow 0
		.amdhsa_exception_fp_ieee_underflow 0
		.amdhsa_exception_fp_ieee_inexact 0
		.amdhsa_exception_int_div_zero 0
	.end_amdhsa_kernel
	.section	.text._ZN9rocsparseL39gtsv_spike_backward_substitution_kernelILj256ELj128EdEEviiiPT1_PKS1_S4_,"axG",@progbits,_ZN9rocsparseL39gtsv_spike_backward_substitution_kernelILj256ELj128EdEEviiiPT1_PKS1_S4_,comdat
.Lfunc_end166:
	.size	_ZN9rocsparseL39gtsv_spike_backward_substitution_kernelILj256ELj128EdEEviiiPT1_PKS1_S4_, .Lfunc_end166-_ZN9rocsparseL39gtsv_spike_backward_substitution_kernelILj256ELj128EdEEviiiPT1_PKS1_S4_
                                        ; -- End function
	.set _ZN9rocsparseL39gtsv_spike_backward_substitution_kernelILj256ELj128EdEEviiiPT1_PKS1_S4_.num_vgpr, 32
	.set _ZN9rocsparseL39gtsv_spike_backward_substitution_kernelILj256ELj128EdEEviiiPT1_PKS1_S4_.num_agpr, 0
	.set _ZN9rocsparseL39gtsv_spike_backward_substitution_kernelILj256ELj128EdEEviiiPT1_PKS1_S4_.numbered_sgpr, 12
	.set _ZN9rocsparseL39gtsv_spike_backward_substitution_kernelILj256ELj128EdEEviiiPT1_PKS1_S4_.num_named_barrier, 0
	.set _ZN9rocsparseL39gtsv_spike_backward_substitution_kernelILj256ELj128EdEEviiiPT1_PKS1_S4_.private_seg_size, 0
	.set _ZN9rocsparseL39gtsv_spike_backward_substitution_kernelILj256ELj128EdEEviiiPT1_PKS1_S4_.uses_vcc, 1
	.set _ZN9rocsparseL39gtsv_spike_backward_substitution_kernelILj256ELj128EdEEviiiPT1_PKS1_S4_.uses_flat_scratch, 0
	.set _ZN9rocsparseL39gtsv_spike_backward_substitution_kernelILj256ELj128EdEEviiiPT1_PKS1_S4_.has_dyn_sized_stack, 0
	.set _ZN9rocsparseL39gtsv_spike_backward_substitution_kernelILj256ELj128EdEEviiiPT1_PKS1_S4_.has_recursion, 0
	.set _ZN9rocsparseL39gtsv_spike_backward_substitution_kernelILj256ELj128EdEEviiiPT1_PKS1_S4_.has_indirect_call, 0
	.section	.AMDGPU.csdata,"",@progbits
; Kernel info:
; codeLenInByte = 1124
; TotalNumSgprs: 18
; NumVgprs: 32
; NumAgprs: 0
; TotalNumVgprs: 32
; ScratchSize: 0
; MemoryBound: 0
; FloatMode: 240
; IeeeMode: 1
; LDSByteSize: 0 bytes/workgroup (compile time only)
; SGPRBlocks: 2
; VGPRBlocks: 3
; NumSGPRsForWavesPerEU: 18
; NumVGPRsForWavesPerEU: 32
; AccumOffset: 32
; Occupancy: 8
; WaveLimiterHint : 0
; COMPUTE_PGM_RSRC2:SCRATCH_EN: 0
; COMPUTE_PGM_RSRC2:USER_SGPR: 2
; COMPUTE_PGM_RSRC2:TRAP_HANDLER: 0
; COMPUTE_PGM_RSRC2:TGID_X_EN: 1
; COMPUTE_PGM_RSRC2:TGID_Y_EN: 1
; COMPUTE_PGM_RSRC2:TGID_Z_EN: 0
; COMPUTE_PGM_RSRC2:TIDIG_COMP_CNT: 0
; COMPUTE_PGM_RSRC3_GFX90A:ACCUM_OFFSET: 7
; COMPUTE_PGM_RSRC3_GFX90A:TG_SPLIT: 0
	.section	.text._ZN9rocsparseL32gtsv_transpose_back_array_kernelILj256ELj128EdEEviiiPKT1_PS1_,"axG",@progbits,_ZN9rocsparseL32gtsv_transpose_back_array_kernelILj256ELj128EdEEviiiPKT1_PS1_,comdat
	.globl	_ZN9rocsparseL32gtsv_transpose_back_array_kernelILj256ELj128EdEEviiiPKT1_PS1_ ; -- Begin function _ZN9rocsparseL32gtsv_transpose_back_array_kernelILj256ELj128EdEEviiiPKT1_PS1_
	.p2align	8
	.type	_ZN9rocsparseL32gtsv_transpose_back_array_kernelILj256ELj128EdEEviiiPKT1_PS1_,@function
_ZN9rocsparseL32gtsv_transpose_back_array_kernelILj256ELj128EdEEviiiPKT1_PS1_: ; @_ZN9rocsparseL32gtsv_transpose_back_array_kernelILj256ELj128EdEEviiiPKT1_PS1_
; %bb.0:
	s_load_dwordx4 s[4:7], s[0:1], 0x0
	v_lshl_or_b32 v0, s2, 8, v0
	v_lshlrev_b32_e32 v2, 7, v0
	s_waitcnt lgkmcnt(0)
	v_cvt_f32_u32_e32 v1, s5
	s_sub_i32 s2, 0, s5
	v_rcp_iflag_f32_e32 v1, v1
	s_nop 0
	v_mul_f32_e32 v1, 0x4f7ffffe, v1
	v_cvt_u32_f32_e32 v1, v1
	v_mul_lo_u32 v3, s2, v1
	v_mul_hi_u32 v3, v1, v3
	v_add_u32_e32 v1, v1, v3
	v_mul_hi_u32 v1, v2, v1
	v_mul_lo_u32 v3, v1, s5
	v_sub_u32_e32 v3, v2, v3
	v_add_u32_e32 v4, 1, v1
	v_cmp_le_u32_e32 vcc, s5, v3
	s_nop 1
	v_cndmask_b32_e32 v1, v1, v4, vcc
	v_subrev_u32_e32 v4, s5, v3
	v_cndmask_b32_e32 v3, v3, v4, vcc
	v_add_u32_e32 v4, 1, v1
	v_cmp_le_u32_e32 vcc, s5, v3
	s_nop 1
	v_cndmask_b32_e32 v1, v1, v4, vcc
	v_mul_lo_u32 v3, v1, s5
	v_sub_u32_e32 v2, v2, v3
	v_add_u32_e32 v1, v1, v2
	v_cmp_gt_i32_e32 vcc, s4, v1
	s_and_saveexec_b64 s[8:9], vcc
	s_cbranch_execz .LBB167_2
; %bb.1:
	s_load_dwordx4 s[8:11], s[0:1], 0x10
	s_mul_i32 s0, s5, s3
	v_add_u32_e32 v2, s0, v0
	v_ashrrev_i32_e32 v3, 31, v2
	s_mul_i32 s0, s6, s3
	s_waitcnt lgkmcnt(0)
	v_lshl_add_u64 v[2:3], v[2:3], 3, s[8:9]
	global_load_dwordx2 v[2:3], v[2:3], off
	v_add_u32_e32 v0, s0, v1
	v_ashrrev_i32_e32 v1, 31, v0
	v_lshl_add_u64 v[0:1], v[0:1], 3, s[10:11]
	s_waitcnt vmcnt(0)
	global_store_dwordx2 v[0:1], v[2:3], off
.LBB167_2:
	s_endpgm
	.section	.rodata,"a",@progbits
	.p2align	6, 0x0
	.amdhsa_kernel _ZN9rocsparseL32gtsv_transpose_back_array_kernelILj256ELj128EdEEviiiPKT1_PS1_
		.amdhsa_group_segment_fixed_size 0
		.amdhsa_private_segment_fixed_size 0
		.amdhsa_kernarg_size 32
		.amdhsa_user_sgpr_count 2
		.amdhsa_user_sgpr_dispatch_ptr 0
		.amdhsa_user_sgpr_queue_ptr 0
		.amdhsa_user_sgpr_kernarg_segment_ptr 1
		.amdhsa_user_sgpr_dispatch_id 0
		.amdhsa_user_sgpr_kernarg_preload_length 0
		.amdhsa_user_sgpr_kernarg_preload_offset 0
		.amdhsa_user_sgpr_private_segment_size 0
		.amdhsa_uses_dynamic_stack 0
		.amdhsa_enable_private_segment 0
		.amdhsa_system_sgpr_workgroup_id_x 1
		.amdhsa_system_sgpr_workgroup_id_y 1
		.amdhsa_system_sgpr_workgroup_id_z 0
		.amdhsa_system_sgpr_workgroup_info 0
		.amdhsa_system_vgpr_workitem_id 0
		.amdhsa_next_free_vgpr 5
		.amdhsa_next_free_sgpr 12
		.amdhsa_accum_offset 8
		.amdhsa_reserve_vcc 1
		.amdhsa_float_round_mode_32 0
		.amdhsa_float_round_mode_16_64 0
		.amdhsa_float_denorm_mode_32 3
		.amdhsa_float_denorm_mode_16_64 3
		.amdhsa_dx10_clamp 1
		.amdhsa_ieee_mode 1
		.amdhsa_fp16_overflow 0
		.amdhsa_tg_split 0
		.amdhsa_exception_fp_ieee_invalid_op 0
		.amdhsa_exception_fp_denorm_src 0
		.amdhsa_exception_fp_ieee_div_zero 0
		.amdhsa_exception_fp_ieee_overflow 0
		.amdhsa_exception_fp_ieee_underflow 0
		.amdhsa_exception_fp_ieee_inexact 0
		.amdhsa_exception_int_div_zero 0
	.end_amdhsa_kernel
	.section	.text._ZN9rocsparseL32gtsv_transpose_back_array_kernelILj256ELj128EdEEviiiPKT1_PS1_,"axG",@progbits,_ZN9rocsparseL32gtsv_transpose_back_array_kernelILj256ELj128EdEEviiiPKT1_PS1_,comdat
.Lfunc_end167:
	.size	_ZN9rocsparseL32gtsv_transpose_back_array_kernelILj256ELj128EdEEviiiPKT1_PS1_, .Lfunc_end167-_ZN9rocsparseL32gtsv_transpose_back_array_kernelILj256ELj128EdEEviiiPKT1_PS1_
                                        ; -- End function
	.set _ZN9rocsparseL32gtsv_transpose_back_array_kernelILj256ELj128EdEEviiiPKT1_PS1_.num_vgpr, 5
	.set _ZN9rocsparseL32gtsv_transpose_back_array_kernelILj256ELj128EdEEviiiPKT1_PS1_.num_agpr, 0
	.set _ZN9rocsparseL32gtsv_transpose_back_array_kernelILj256ELj128EdEEviiiPKT1_PS1_.numbered_sgpr, 12
	.set _ZN9rocsparseL32gtsv_transpose_back_array_kernelILj256ELj128EdEEviiiPKT1_PS1_.num_named_barrier, 0
	.set _ZN9rocsparseL32gtsv_transpose_back_array_kernelILj256ELj128EdEEviiiPKT1_PS1_.private_seg_size, 0
	.set _ZN9rocsparseL32gtsv_transpose_back_array_kernelILj256ELj128EdEEviiiPKT1_PS1_.uses_vcc, 1
	.set _ZN9rocsparseL32gtsv_transpose_back_array_kernelILj256ELj128EdEEviiiPKT1_PS1_.uses_flat_scratch, 0
	.set _ZN9rocsparseL32gtsv_transpose_back_array_kernelILj256ELj128EdEEviiiPKT1_PS1_.has_dyn_sized_stack, 0
	.set _ZN9rocsparseL32gtsv_transpose_back_array_kernelILj256ELj128EdEEviiiPKT1_PS1_.has_recursion, 0
	.set _ZN9rocsparseL32gtsv_transpose_back_array_kernelILj256ELj128EdEEviiiPKT1_PS1_.has_indirect_call, 0
	.section	.AMDGPU.csdata,"",@progbits
; Kernel info:
; codeLenInByte = 236
; TotalNumSgprs: 18
; NumVgprs: 5
; NumAgprs: 0
; TotalNumVgprs: 5
; ScratchSize: 0
; MemoryBound: 0
; FloatMode: 240
; IeeeMode: 1
; LDSByteSize: 0 bytes/workgroup (compile time only)
; SGPRBlocks: 2
; VGPRBlocks: 0
; NumSGPRsForWavesPerEU: 18
; NumVGPRsForWavesPerEU: 5
; AccumOffset: 8
; Occupancy: 8
; WaveLimiterHint : 0
; COMPUTE_PGM_RSRC2:SCRATCH_EN: 0
; COMPUTE_PGM_RSRC2:USER_SGPR: 2
; COMPUTE_PGM_RSRC2:TRAP_HANDLER: 0
; COMPUTE_PGM_RSRC2:TGID_X_EN: 1
; COMPUTE_PGM_RSRC2:TGID_Y_EN: 1
; COMPUTE_PGM_RSRC2:TGID_Z_EN: 0
; COMPUTE_PGM_RSRC2:TIDIG_COMP_CNT: 0
; COMPUTE_PGM_RSRC3_GFX90A:ACCUM_OFFSET: 1
; COMPUTE_PGM_RSRC3_GFX90A:TG_SPLIT: 0
	.section	.text._ZN9rocsparseL42gtsv_transpose_and_pad_array_shared_kernelILj256ELj256EdEEviiiPKT1_PS1_S1_,"axG",@progbits,_ZN9rocsparseL42gtsv_transpose_and_pad_array_shared_kernelILj256ELj256EdEEviiiPKT1_PS1_S1_,comdat
	.globl	_ZN9rocsparseL42gtsv_transpose_and_pad_array_shared_kernelILj256ELj256EdEEviiiPKT1_PS1_S1_ ; -- Begin function _ZN9rocsparseL42gtsv_transpose_and_pad_array_shared_kernelILj256ELj256EdEEviiiPKT1_PS1_S1_
	.p2align	8
	.type	_ZN9rocsparseL42gtsv_transpose_and_pad_array_shared_kernelILj256ELj256EdEEviiiPKT1_PS1_S1_,@function
_ZN9rocsparseL42gtsv_transpose_and_pad_array_shared_kernelILj256ELj256EdEEviiiPKT1_PS1_S1_: ; @_ZN9rocsparseL42gtsv_transpose_and_pad_array_shared_kernelILj256ELj256EdEEviiiPKT1_PS1_S1_
; %bb.0:
	s_load_dwordx4 s[4:7], s[0:1], 0x0
	s_load_dwordx2 s[8:9], s[0:1], 0x20
	v_lshl_or_b32 v1, s2, 8, v0
	s_waitcnt lgkmcnt(0)
	v_cmp_gt_i32_e32 vcc, s4, v1
	v_mov_b64_e32 v[2:3], s[8:9]
	s_and_saveexec_b64 s[8:9], vcc
	s_cbranch_execz .LBB168_2
; %bb.1:
	s_load_dwordx2 s[10:11], s[0:1], 0x10
	s_mul_i32 s4, s6, s3
	v_add_u32_e32 v2, s4, v1
	v_ashrrev_i32_e32 v3, 31, v2
	s_waitcnt lgkmcnt(0)
	v_lshl_add_u64 v[2:3], v[2:3], 3, s[10:11]
	global_load_dwordx2 v[2:3], v[2:3], off
.LBB168_2:
	s_or_b64 exec, exec, s[8:9]
	v_lshlrev_b32_e32 v1, 3, v0
	s_waitcnt vmcnt(0)
	ds_write_b64 v1, v[2:3]
	s_lshr_b32 s4, s5, 8
	v_mov_b32_e32 v2, s2
	v_mad_u32_u24 v0, s4, v0, v2
	v_cmp_gt_i32_e32 vcc, s5, v0
	s_waitcnt lgkmcnt(0)
	s_barrier
	s_and_saveexec_b64 s[6:7], vcc
	s_cbranch_execz .LBB168_4
; %bb.3:
	s_load_dwordx2 s[0:1], s[0:1], 0x18
	ds_read_b64 v[2:3], v1
	s_mul_i32 s2, s5, s3
	v_add_u32_e32 v0, s2, v0
	v_ashrrev_i32_e32 v1, 31, v0
	s_waitcnt lgkmcnt(0)
	v_lshl_add_u64 v[0:1], v[0:1], 3, s[0:1]
	global_store_dwordx2 v[0:1], v[2:3], off
.LBB168_4:
	s_endpgm
	.section	.rodata,"a",@progbits
	.p2align	6, 0x0
	.amdhsa_kernel _ZN9rocsparseL42gtsv_transpose_and_pad_array_shared_kernelILj256ELj256EdEEviiiPKT1_PS1_S1_
		.amdhsa_group_segment_fixed_size 2048
		.amdhsa_private_segment_fixed_size 0
		.amdhsa_kernarg_size 40
		.amdhsa_user_sgpr_count 2
		.amdhsa_user_sgpr_dispatch_ptr 0
		.amdhsa_user_sgpr_queue_ptr 0
		.amdhsa_user_sgpr_kernarg_segment_ptr 1
		.amdhsa_user_sgpr_dispatch_id 0
		.amdhsa_user_sgpr_kernarg_preload_length 0
		.amdhsa_user_sgpr_kernarg_preload_offset 0
		.amdhsa_user_sgpr_private_segment_size 0
		.amdhsa_uses_dynamic_stack 0
		.amdhsa_enable_private_segment 0
		.amdhsa_system_sgpr_workgroup_id_x 1
		.amdhsa_system_sgpr_workgroup_id_y 1
		.amdhsa_system_sgpr_workgroup_id_z 0
		.amdhsa_system_sgpr_workgroup_info 0
		.amdhsa_system_vgpr_workitem_id 0
		.amdhsa_next_free_vgpr 4
		.amdhsa_next_free_sgpr 12
		.amdhsa_accum_offset 4
		.amdhsa_reserve_vcc 1
		.amdhsa_float_round_mode_32 0
		.amdhsa_float_round_mode_16_64 0
		.amdhsa_float_denorm_mode_32 3
		.amdhsa_float_denorm_mode_16_64 3
		.amdhsa_dx10_clamp 1
		.amdhsa_ieee_mode 1
		.amdhsa_fp16_overflow 0
		.amdhsa_tg_split 0
		.amdhsa_exception_fp_ieee_invalid_op 0
		.amdhsa_exception_fp_denorm_src 0
		.amdhsa_exception_fp_ieee_div_zero 0
		.amdhsa_exception_fp_ieee_overflow 0
		.amdhsa_exception_fp_ieee_underflow 0
		.amdhsa_exception_fp_ieee_inexact 0
		.amdhsa_exception_int_div_zero 0
	.end_amdhsa_kernel
	.section	.text._ZN9rocsparseL42gtsv_transpose_and_pad_array_shared_kernelILj256ELj256EdEEviiiPKT1_PS1_S1_,"axG",@progbits,_ZN9rocsparseL42gtsv_transpose_and_pad_array_shared_kernelILj256ELj256EdEEviiiPKT1_PS1_S1_,comdat
.Lfunc_end168:
	.size	_ZN9rocsparseL42gtsv_transpose_and_pad_array_shared_kernelILj256ELj256EdEEviiiPKT1_PS1_S1_, .Lfunc_end168-_ZN9rocsparseL42gtsv_transpose_and_pad_array_shared_kernelILj256ELj256EdEEviiiPKT1_PS1_S1_
                                        ; -- End function
	.set _ZN9rocsparseL42gtsv_transpose_and_pad_array_shared_kernelILj256ELj256EdEEviiiPKT1_PS1_S1_.num_vgpr, 4
	.set _ZN9rocsparseL42gtsv_transpose_and_pad_array_shared_kernelILj256ELj256EdEEviiiPKT1_PS1_S1_.num_agpr, 0
	.set _ZN9rocsparseL42gtsv_transpose_and_pad_array_shared_kernelILj256ELj256EdEEviiiPKT1_PS1_S1_.numbered_sgpr, 12
	.set _ZN9rocsparseL42gtsv_transpose_and_pad_array_shared_kernelILj256ELj256EdEEviiiPKT1_PS1_S1_.num_named_barrier, 0
	.set _ZN9rocsparseL42gtsv_transpose_and_pad_array_shared_kernelILj256ELj256EdEEviiiPKT1_PS1_S1_.private_seg_size, 0
	.set _ZN9rocsparseL42gtsv_transpose_and_pad_array_shared_kernelILj256ELj256EdEEviiiPKT1_PS1_S1_.uses_vcc, 1
	.set _ZN9rocsparseL42gtsv_transpose_and_pad_array_shared_kernelILj256ELj256EdEEviiiPKT1_PS1_S1_.uses_flat_scratch, 0
	.set _ZN9rocsparseL42gtsv_transpose_and_pad_array_shared_kernelILj256ELj256EdEEviiiPKT1_PS1_S1_.has_dyn_sized_stack, 0
	.set _ZN9rocsparseL42gtsv_transpose_and_pad_array_shared_kernelILj256ELj256EdEEviiiPKT1_PS1_S1_.has_recursion, 0
	.set _ZN9rocsparseL42gtsv_transpose_and_pad_array_shared_kernelILj256ELj256EdEEviiiPKT1_PS1_S1_.has_indirect_call, 0
	.section	.AMDGPU.csdata,"",@progbits
; Kernel info:
; codeLenInByte = 192
; TotalNumSgprs: 18
; NumVgprs: 4
; NumAgprs: 0
; TotalNumVgprs: 4
; ScratchSize: 0
; MemoryBound: 0
; FloatMode: 240
; IeeeMode: 1
; LDSByteSize: 2048 bytes/workgroup (compile time only)
; SGPRBlocks: 2
; VGPRBlocks: 0
; NumSGPRsForWavesPerEU: 18
; NumVGPRsForWavesPerEU: 4
; AccumOffset: 4
; Occupancy: 8
; WaveLimiterHint : 0
; COMPUTE_PGM_RSRC2:SCRATCH_EN: 0
; COMPUTE_PGM_RSRC2:USER_SGPR: 2
; COMPUTE_PGM_RSRC2:TRAP_HANDLER: 0
; COMPUTE_PGM_RSRC2:TGID_X_EN: 1
; COMPUTE_PGM_RSRC2:TGID_Y_EN: 1
; COMPUTE_PGM_RSRC2:TGID_Z_EN: 0
; COMPUTE_PGM_RSRC2:TIDIG_COMP_CNT: 0
; COMPUTE_PGM_RSRC3_GFX90A:ACCUM_OFFSET: 0
; COMPUTE_PGM_RSRC3_GFX90A:TG_SPLIT: 0
	.section	.text._ZN9rocsparseL18gtsv_LBM_wv_kernelILj256ELj256EdEEviiiPKT1_S3_S3_PS1_S4_S4_Pi,"axG",@progbits,_ZN9rocsparseL18gtsv_LBM_wv_kernelILj256ELj256EdEEviiiPKT1_S3_S3_PS1_S4_S4_Pi,comdat
	.globl	_ZN9rocsparseL18gtsv_LBM_wv_kernelILj256ELj256EdEEviiiPKT1_S3_S3_PS1_S4_S4_Pi ; -- Begin function _ZN9rocsparseL18gtsv_LBM_wv_kernelILj256ELj256EdEEviiiPKT1_S3_S3_PS1_S4_S4_Pi
	.p2align	8
	.type	_ZN9rocsparseL18gtsv_LBM_wv_kernelILj256ELj256EdEEviiiPKT1_S3_S3_PS1_S4_S4_Pi,@function
_ZN9rocsparseL18gtsv_LBM_wv_kernelILj256ELj256EdEEviiiPKT1_S3_S3_PS1_S4_S4_Pi: ; @_ZN9rocsparseL18gtsv_LBM_wv_kernelILj256ELj256EdEEviiiPKT1_S3_S3_PS1_S4_S4_Pi
; %bb.0:
	s_load_dword s27, s[0:1], 0x0
	v_lshl_or_b32 v0, s2, 8, v0
	s_waitcnt lgkmcnt(0)
	s_lshr_b32 s26, s27, 8
	v_cmp_gt_i32_e32 vcc, s26, v0
	s_and_saveexec_b64 s[2:3], vcc
	s_cbranch_execz .LBB169_30
; %bb.1:
	s_load_dwordx2 s[16:17], s[0:1], 0x10
	s_load_dwordx8 s[8:15], s[0:1], 0x20
	v_ashrrev_i32_e32 v1, 31, v0
	s_mul_i32 s28, s26, 0xff
	v_lshlrev_b64 v[2:3], 3, v[0:1]
	v_add_u32_e32 v6, s28, v0
	v_mov_b32_e32 v7, 0
	s_waitcnt lgkmcnt(0)
	v_lshl_add_u64 v[4:5], s[16:17], 0, v[2:3]
	v_lshlrev_b64 v[8:9], 3, v[6:7]
	global_load_dwordx2 v[4:5], v[4:5], off
	v_lshl_add_u64 v[10:11], s[8:9], 0, v[8:9]
	global_load_dwordx2 v[10:11], v[10:11], off
	s_load_dwordx2 s[6:7], s[0:1], 0x40
	v_lshl_add_u64 v[2:3], s[10:11], 0, v[2:3]
	s_cmp_lt_i32 s27, 1
	v_add_u32_e32 v36, s26, v0
	v_lshl_add_u64 v[8:9], s[12:13], 0, v[8:9]
	s_waitcnt vmcnt(1)
	global_store_dwordx2 v[2:3], v[4:5], off
	s_waitcnt vmcnt(1)
	global_store_dwordx2 v[8:9], v[10:11], off
	v_mov_b32_e32 v4, v7
	s_cbranch_scc1 .LBB169_23
; %bb.2:
	s_load_dwordx2 s[18:19], s[0:1], 0x18
	s_mov_b32 s22, 0x372fe950
	s_mul_i32 s29, s26, 0xfe
	s_lshl_b32 s30, s26, 1
	s_mov_b64 s[20:21], 0
	s_waitcnt lgkmcnt(0)
	v_lshl_add_u64 v[4:5], v[0:1], 3, s[18:19]
	global_load_dwordx2 v[6:7], v[4:5], off
	v_add_u32_e32 v1, s26, v36
	v_mov_b32_e32 v4, 0
	s_mov_b32 s23, 0x3fe3c6ef
	v_mov_b32_e32 v37, 2
	v_mov_b32_e32 v38, 1
	s_branch .LBB169_5
.LBB169_3:                              ;   in Loop: Header=BB169_5 Depth=1
	s_or_b64 exec, exec, s[4:5]
	v_fma_f64 v[6:7], -v[6:7], v[20:21], v[10:11]
	v_mov_b32_e32 v5, s26
.LBB169_4:                              ;   in Loop: Header=BB169_5 Depth=1
	s_or_b64 exec, exec, s[2:3]
	v_add_u32_e32 v4, v5, v4
	v_cmp_le_i32_e32 vcc, s27, v4
	s_or_b64 s[20:21], vcc, s[20:21]
	s_andn2_b64 exec, exec, s[20:21]
	s_cbranch_execz .LBB169_22
.LBB169_5:                              ; =>This Inner Loop Header: Depth=1
	v_add_u32_e32 v14, v4, v0
	v_ashrrev_i32_e32 v15, 31, v14
	v_lshl_add_u64 v[8:9], v[14:15], 3, s[8:9]
	global_load_dwordx2 v[12:13], v[8:9], off
	v_cmp_gt_u32_e64 s[0:1], s28, v4
	v_mov_b64_e32 v[10:11], 0
	v_mov_b64_e32 v[8:9], 0
	s_and_saveexec_b64 s[2:3], s[0:1]
	s_cbranch_execz .LBB169_7
; %bb.6:                                ;   in Loop: Header=BB169_5 Depth=1
	v_add_u32_e32 v8, v36, v4
	v_ashrrev_i32_e32 v9, 31, v8
	v_lshl_add_u64 v[8:9], v[8:9], 3, s[16:17]
	global_load_dwordx2 v[8:9], v[8:9], off
.LBB169_7:                              ;   in Loop: Header=BB169_5 Depth=1
	s_or_b64 exec, exec, s[2:3]
	s_and_saveexec_b64 s[2:3], s[0:1]
	s_cbranch_execz .LBB169_9
; %bb.8:                                ;   in Loop: Header=BB169_5 Depth=1
	v_add_u32_e32 v10, v36, v4
	v_ashrrev_i32_e32 v11, 31, v10
	v_lshl_add_u64 v[10:11], v[10:11], 3, s[18:19]
	global_load_dwordx2 v[10:11], v[10:11], off
.LBB169_9:                              ;   in Loop: Header=BB169_5 Depth=1
	s_or_b64 exec, exec, s[2:3]
	v_mov_b64_e32 v[18:19], 0
	v_mov_b64_e32 v[16:17], 0
	s_and_saveexec_b64 s[2:3], s[0:1]
	s_cbranch_execz .LBB169_11
; %bb.10:                               ;   in Loop: Header=BB169_5 Depth=1
	v_add_u32_e32 v16, v36, v4
	v_ashrrev_i32_e32 v17, 31, v16
	v_lshl_add_u64 v[16:17], v[16:17], 3, s[8:9]
	global_load_dwordx2 v[16:17], v[16:17], off
.LBB169_11:                             ;   in Loop: Header=BB169_5 Depth=1
	s_or_b64 exec, exec, s[2:3]
	v_cmp_gt_u32_e64 s[2:3], s29, v4
	s_and_saveexec_b64 s[4:5], s[2:3]
	s_cbranch_execz .LBB169_13
; %bb.12:                               ;   in Loop: Header=BB169_5 Depth=1
	v_add_u32_e32 v18, v1, v4
	v_ashrrev_i32_e32 v19, 31, v18
	v_lshl_add_u64 v[18:19], v[18:19], 3, s[16:17]
	global_load_dwordx2 v[18:19], v[18:19], off
.LBB169_13:                             ;   in Loop: Header=BB169_5 Depth=1
	s_or_b64 exec, exec, s[4:5]
	s_waitcnt vmcnt(0)
	v_xor_b32_e32 v5, 0x80000000, v9
	v_cmp_gt_f64_e32 vcc, 0, v[8:9]
	v_mov_b32_e32 v20, v8
	v_mov_b32_e32 v22, v18
	v_cndmask_b32_e32 v21, v9, v5, vcc
	v_xor_b32_e32 v5, 0x80000000, v19
	v_cmp_gt_f64_e32 vcc, 0, v[18:19]
	v_cmp_ne_u32_e64 s[4:5], s28, v4
	s_nop 0
	v_cndmask_b32_e32 v23, v19, v5, vcc
	v_cmp_lt_f64_e32 vcc, v[20:21], v[22:23]
	v_xor_b32_e32 v5, 0x80000000, v11
	v_mov_b32_e32 v22, v10
	v_cndmask_b32_e32 v21, v21, v23, vcc
	v_cndmask_b32_e32 v20, v8, v18, vcc
	v_cmp_gt_f64_e32 vcc, 0, v[10:11]
	s_nop 1
	v_cndmask_b32_e32 v23, v11, v5, vcc
	v_cmp_lt_f64_e32 vcc, v[22:23], v[20:21]
	v_xor_b32_e32 v5, 0x80000000, v13
	v_mov_b32_e32 v22, v12
	v_cndmask_b32_e32 v21, v23, v21, vcc
	v_cndmask_b32_e32 v20, v10, v20, vcc
	v_cmp_gt_f64_e32 vcc, 0, v[12:13]
	;; [unrolled: 8-line block ×4, first 2 shown]
	s_nop 1
	v_cndmask_b32_e32 v23, v7, v5, vcc
	v_mul_f64 v[22:23], v[22:23], v[20:21]
	v_mul_f64 v[20:21], v[12:13], v[8:9]
	v_xor_b32_e32 v5, 0x80000000, v21
	v_cmp_gt_f64_e32 vcc, 0, v[20:21]
	v_mov_b32_e32 v24, v20
	s_nop 0
	v_cndmask_b32_e32 v25, v21, v5, vcc
	v_mul_f64 v[24:25], v[24:25], s[22:23]
	v_cmp_nge_f64_e32 vcc, v[22:23], v[24:25]
	s_and_b64 s[4:5], s[4:5], vcc
	s_and_saveexec_b64 s[24:25], s[4:5]
	s_xor_b64 s[4:5], exec, s[24:25]
	s_cbranch_execz .LBB169_19
; %bb.14:                               ;   in Loop: Header=BB169_5 Depth=1
	v_add_u32_e32 v26, v36, v4
	v_ashrrev_i32_e32 v27, 31, v26
	v_lshlrev_b64 v[30:31], 3, v[26:27]
	v_ashrrev_i32_e32 v5, 31, v4
	v_lshl_add_u64 v[28:29], s[10:11], 0, v[30:31]
	v_lshl_add_u64 v[40:41], v[4:5], 3, v[2:3]
	global_load_dwordx2 v[24:25], v[28:29], off
	v_lshlrev_b64 v[42:43], 3, v[14:15]
	v_lshl_add_u64 v[30:31], s[12:13], 0, v[30:31]
	global_load_dwordx2 v[22:23], v[40:41], off
	global_load_dwordx2 v[32:33], v[30:31], off
	v_lshl_add_u64 v[44:45], s[12:13], 0, v[42:43]
	global_load_dwordx2 v[34:35], v[44:45], off
	v_fma_f64 v[20:21], v[6:7], v[10:11], -v[20:21]
	v_lshl_add_u64 v[48:49], v[14:15], 2, s[6:7]
	v_div_scale_f64 v[14:15], s[24:25], v[20:21], v[20:21], 1.0
	v_rcp_f64_e32 v[50:51], v[14:15]
	v_div_scale_f64 v[52:53], vcc, 1.0, v[20:21], 1.0
	v_mul_f64 v[46:47], v[16:17], -v[12:13]
	v_fma_f64 v[54:55], -v[14:15], v[50:51], 1.0
	v_fmac_f64_e32 v[50:51], v[50:51], v[54:55]
	v_fma_f64 v[54:55], -v[14:15], v[50:51], 1.0
	v_fmac_f64_e32 v[50:51], v[50:51], v[54:55]
	v_mul_f64 v[54:55], v[52:53], v[50:51]
	v_fma_f64 v[14:15], -v[14:15], v[54:55], v[52:53]
	v_div_fmas_f64 v[14:15], v[14:15], v[50:51], v[54:55]
	v_div_fixup_f64 v[14:15], v[14:15], v[20:21], 1.0
	v_lshl_add_u64 v[42:43], s[14:15], 0, v[42:43]
	v_mul_f64 v[20:21], v[14:15], v[46:47]
	global_store_dwordx2 v[42:43], v[20:21], off
	s_waitcnt vmcnt(4)
	v_mul_f64 v[20:21], v[12:13], v[24:25]
	s_waitcnt vmcnt(3)
	v_fma_f64 v[20:21], v[10:11], v[22:23], -v[20:21]
	s_waitcnt vmcnt(2)
	v_mul_f64 v[12:13], v[12:13], v[32:33]
	s_waitcnt vmcnt(1)
	v_fma_f64 v[10:11], v[10:11], v[34:35], -v[12:13]
	v_mul_f64 v[12:13], v[14:15], v[20:21]
	v_mul_f64 v[10:11], v[14:15], v[10:11]
	global_store_dwordx2 v[40:41], v[12:13], off
	global_store_dwordx2 v[44:45], v[10:11], off
	global_store_dword v[48:49], v37, off
	s_and_saveexec_b64 s[24:25], s[0:1]
	s_cbranch_execz .LBB169_16
; %bb.15:                               ;   in Loop: Header=BB169_5 Depth=1
	v_mul_f64 v[10:11], v[8:9], v[22:23]
	v_fma_f64 v[10:11], v[6:7], v[24:25], -v[10:11]
	v_mul_f64 v[10:11], v[14:15], v[10:11]
	global_store_dwordx2 v[28:29], v[10:11], off
	v_mul_f64 v[10:11], v[8:9], v[34:35]
	v_fma_f64 v[10:11], v[6:7], v[32:33], -v[10:11]
	v_mul_f64 v[10:11], v[14:15], v[10:11]
	global_store_dwordx2 v[30:31], v[10:11], off
	v_mul_f64 v[10:11], v[6:7], v[16:17]
	v_mul_f64 v[10:11], v[14:15], v[10:11]
	v_lshl_add_u64 v[12:13], v[26:27], 3, s[14:15]
	global_store_dwordx2 v[12:13], v[10:11], off
	v_lshl_add_u64 v[10:11], v[26:27], 2, s[6:7]
	global_store_dword v[10:11], v37, off
.LBB169_16:                             ;   in Loop: Header=BB169_5 Depth=1
	s_or_b64 exec, exec, s[24:25]
	v_mov_b64_e32 v[10:11], 0
	s_and_saveexec_b64 s[24:25], s[2:3]
	s_cbranch_execz .LBB169_18
; %bb.17:                               ;   in Loop: Header=BB169_5 Depth=1
	v_add_u32_e32 v10, v1, v4
	v_ashrrev_i32_e32 v11, 31, v10
	v_lshlrev_b64 v[10:11], 3, v[10:11]
	v_lshl_add_u64 v[12:13], s[10:11], 0, v[10:11]
	v_lshl_add_u64 v[10:11], s[18:19], 0, v[10:11]
	global_load_dwordx2 v[20:21], v[12:13], off
	v_mul_f64 v[6:7], v[6:7], v[18:19]
	global_load_dwordx2 v[10:11], v[10:11], off
	v_mul_f64 v[8:9], v[18:19], v[8:9]
	v_mul_f64 v[18:19], v[14:15], v[6:7]
	;; [unrolled: 1-line block ×5, first 2 shown]
	v_fma_f64 v[8:9], v[8:9], v[22:23], -v[16:17]
	s_waitcnt vmcnt(1)
	v_add_f64 v[8:9], v[8:9], v[20:21]
	global_store_dwordx2 v[12:13], v[8:9], off
	s_waitcnt vmcnt(1)
	v_fma_f64 v[10:11], -v[14:15], v[6:7], v[10:11]
.LBB169_18:                             ;   in Loop: Header=BB169_5 Depth=1
	s_or_b64 exec, exec, s[24:25]
	v_mov_b64_e32 v[6:7], v[10:11]
                                        ; implicit-def: $vgpr20_vgpr21
                                        ; implicit-def: $vgpr10_vgpr11
                                        ; implicit-def: $vgpr12_vgpr13
                                        ; implicit-def: $vgpr14_vgpr15
                                        ; implicit-def: $vgpr8_vgpr9
.LBB169_19:                             ;   in Loop: Header=BB169_5 Depth=1
	s_or_saveexec_b64 s[2:3], s[4:5]
	v_mov_b32_e32 v5, s30
	s_xor_b64 exec, exec, s[2:3]
	s_cbranch_execz .LBB169_4
; %bb.20:                               ;   in Loop: Header=BB169_5 Depth=1
	v_ashrrev_i32_e32 v5, 31, v4
	v_lshl_add_u64 v[18:19], v[4:5], 3, v[2:3]
	v_lshlrev_b64 v[22:23], 3, v[14:15]
	global_load_dwordx2 v[16:17], v[18:19], off
	v_lshl_add_u64 v[24:25], s[12:13], 0, v[22:23]
	global_load_dwordx2 v[26:27], v[24:25], off
	v_div_scale_f64 v[28:29], s[4:5], v[6:7], v[6:7], 1.0
	v_rcp_f64_e32 v[30:31], v[28:29]
	v_div_scale_f64 v[32:33], vcc, 1.0, v[6:7], 1.0
	v_lshl_add_u64 v[22:23], s[14:15], 0, v[22:23]
	v_fma_f64 v[34:35], -v[28:29], v[30:31], 1.0
	v_fmac_f64_e32 v[30:31], v[30:31], v[34:35]
	v_fma_f64 v[34:35], -v[28:29], v[30:31], 1.0
	v_fmac_f64_e32 v[30:31], v[30:31], v[34:35]
	v_mul_f64 v[34:35], v[32:33], v[30:31]
	v_fma_f64 v[28:29], -v[28:29], v[34:35], v[32:33]
	v_div_fmas_f64 v[28:29], v[28:29], v[30:31], v[34:35]
	v_div_fixup_f64 v[6:7], v[28:29], v[6:7], 1.0
	v_mul_f64 v[12:13], v[6:7], v[12:13]
	global_store_dwordx2 v[22:23], v[12:13], off
	v_lshl_add_u64 v[14:15], v[14:15], 2, s[6:7]
	s_waitcnt vmcnt(2)
	v_mul_f64 v[12:13], v[6:7], v[16:17]
	s_waitcnt vmcnt(1)
	v_mul_f64 v[22:23], v[6:7], v[26:27]
	global_store_dwordx2 v[18:19], v[12:13], off
	global_store_dwordx2 v[24:25], v[22:23], off
	global_store_dword v[14:15], v38, off
	s_and_saveexec_b64 s[4:5], s[0:1]
	s_cbranch_execz .LBB169_3
; %bb.21:                               ;   in Loop: Header=BB169_5 Depth=1
	v_add_u32_e32 v12, v36, v4
	v_ashrrev_i32_e32 v13, 31, v12
	v_lshl_add_u64 v[12:13], v[12:13], 3, s[10:11]
	global_load_dwordx2 v[14:15], v[12:13], off
	v_mul_f64 v[8:9], v[8:9], v[6:7]
	s_waitcnt vmcnt(0)
	v_fma_f64 v[8:9], -v[8:9], v[16:17], v[14:15]
	global_store_dwordx2 v[12:13], v[8:9], off
	s_branch .LBB169_3
.LBB169_22:
	s_or_b64 exec, exec, s[20:21]
.LBB169_23:
	v_subrev_u32_e32 v1, s26, v4
	v_add_u32_e32 v4, v1, v0
	v_ashrrev_i32_e32 v5, 31, v4
	s_waitcnt lgkmcnt(0)
	v_lshl_add_u64 v[4:5], v[4:5], 2, s[6:7]
	buffer_wbl2 sc1
	s_waitcnt vmcnt(0)
	buffer_inv sc1
	global_load_dword v4, v[4:5], off
	s_waitcnt vmcnt(0)
	v_mul_lo_u32 v4, v4, s26
	v_sub_u32_e32 v4, v1, v4
	v_cmp_lt_i32_e32 vcc, -1, v4
	s_and_b64 exec, exec, vcc
	s_cbranch_execz .LBB169_30
; %bb.24:
	v_subrev_u32_e32 v1, s26, v0
	s_lshl_b32 s4, s26, 1
	s_mov_b64 s[0:1], 0
	s_branch .LBB169_26
.LBB169_25:                             ;   in Loop: Header=BB169_26 Depth=1
	s_or_b64 exec, exec, s[2:3]
	v_sub_u32_e32 v4, v4, v5
	v_cmp_gt_i32_e32 vcc, 0, v4
	s_or_b64 s[0:1], vcc, s[0:1]
	s_andn2_b64 exec, exec, s[0:1]
	s_cbranch_execz .LBB169_30
.LBB169_26:                             ; =>This Inner Loop Header: Depth=1
	v_add_u32_e32 v8, v4, v0
	v_ashrrev_i32_e32 v9, 31, v8
	s_waitcnt vmcnt(0)
	v_lshl_add_u64 v[6:7], v[8:9], 2, s[6:7]
	global_load_dword v5, v[6:7], off
	v_lshl_add_u64 v[6:7], v[8:9], 3, s[14:15]
	global_load_dwordx2 v[6:7], v[6:7], off
	s_waitcnt vmcnt(1)
	v_cmp_ne_u32_e32 vcc, 1, v5
	s_and_saveexec_b64 s[2:3], vcc
	s_xor_b64 s[2:3], exec, s[2:3]
	s_cbranch_execz .LBB169_28
; %bb.27:                               ;   in Loop: Header=BB169_26 Depth=1
	v_add_u32_e32 v10, v36, v4
	v_ashrrev_i32_e32 v11, 31, v10
	v_lshlrev_b64 v[10:11], 3, v[10:11]
	v_lshl_add_u64 v[12:13], s[10:11], 0, v[10:11]
	v_ashrrev_i32_e32 v5, 31, v4
	v_lshl_add_u64 v[14:15], v[4:5], 3, v[2:3]
	global_load_dwordx2 v[16:17], v[12:13], off
	global_load_dwordx2 v[18:19], v[14:15], off
	v_lshl_add_u64 v[10:11], s[12:13], 0, v[10:11]
	v_lshl_add_u64 v[8:9], v[8:9], 3, s[12:13]
	global_load_dwordx2 v[20:21], v[10:11], off
	global_load_dwordx2 v[22:23], v[8:9], off
	v_add_u32_e32 v24, v1, v4
	v_ashrrev_i32_e32 v25, 31, v24
	v_lshlrev_b64 v[24:25], 3, v[24:25]
	v_lshl_add_u64 v[26:27], s[14:15], 0, v[24:25]
	global_load_dwordx2 v[26:27], v[26:27], off
	v_lshl_add_u64 v[28:29], s[10:11], 0, v[24:25]
	v_lshl_add_u64 v[24:25], s[12:13], 0, v[24:25]
	s_waitcnt vmcnt(3)
	v_fma_f64 v[16:17], -v[6:7], v[16:17], v[18:19]
	s_waitcnt vmcnt(1)
	v_fma_f64 v[6:7], -v[6:7], v[20:21], v[22:23]
	global_store_dwordx2 v[14:15], v[16:17], off
	global_store_dwordx2 v[8:9], v[6:7], off
	global_load_dwordx2 v[6:7], v[12:13], off
	s_nop 0
	global_load_dwordx2 v[8:9], v[28:29], off
	global_load_dwordx2 v[14:15], v[10:11], off
	;; [unrolled: 1-line block ×3, first 2 shown]
	s_waitcnt vmcnt(2)
	v_fma_f64 v[6:7], -v[26:27], v[6:7], v[8:9]
	s_waitcnt vmcnt(0)
	v_fma_f64 v[8:9], -v[26:27], v[14:15], v[16:17]
	global_store_dwordx2 v[28:29], v[6:7], off
	global_store_dwordx2 v[24:25], v[8:9], off
                                        ; implicit-def: $vgpr6_vgpr7
                                        ; implicit-def: $vgpr8_vgpr9
.LBB169_28:                             ;   in Loop: Header=BB169_26 Depth=1
	s_or_saveexec_b64 s[2:3], s[2:3]
	v_mov_b32_e32 v5, s4
	s_xor_b64 exec, exec, s[2:3]
	s_cbranch_execz .LBB169_25
; %bb.29:                               ;   in Loop: Header=BB169_26 Depth=1
	v_add_u32_e32 v10, v36, v4
	v_ashrrev_i32_e32 v11, 31, v10
	v_lshlrev_b64 v[10:11], 3, v[10:11]
	v_lshl_add_u64 v[12:13], s[10:11], 0, v[10:11]
	v_ashrrev_i32_e32 v5, 31, v4
	v_lshl_add_u64 v[14:15], v[4:5], 3, v[2:3]
	global_load_dwordx2 v[16:17], v[12:13], off
	global_load_dwordx2 v[18:19], v[14:15], off
	v_lshl_add_u64 v[10:11], s[12:13], 0, v[10:11]
	v_lshl_add_u64 v[8:9], v[8:9], 3, s[12:13]
	global_load_dwordx2 v[12:13], v[10:11], off
	global_load_dwordx2 v[20:21], v[8:9], off
	v_mov_b32_e32 v5, s26
	s_waitcnt vmcnt(2)
	v_fma_f64 v[10:11], -v[6:7], v[16:17], v[18:19]
	s_waitcnt vmcnt(0)
	v_fma_f64 v[6:7], -v[6:7], v[12:13], v[20:21]
	global_store_dwordx2 v[14:15], v[10:11], off
	global_store_dwordx2 v[8:9], v[6:7], off
	s_branch .LBB169_25
.LBB169_30:
	s_endpgm
	.section	.rodata,"a",@progbits
	.p2align	6, 0x0
	.amdhsa_kernel _ZN9rocsparseL18gtsv_LBM_wv_kernelILj256ELj256EdEEviiiPKT1_S3_S3_PS1_S4_S4_Pi
		.amdhsa_group_segment_fixed_size 0
		.amdhsa_private_segment_fixed_size 0
		.amdhsa_kernarg_size 72
		.amdhsa_user_sgpr_count 2
		.amdhsa_user_sgpr_dispatch_ptr 0
		.amdhsa_user_sgpr_queue_ptr 0
		.amdhsa_user_sgpr_kernarg_segment_ptr 1
		.amdhsa_user_sgpr_dispatch_id 0
		.amdhsa_user_sgpr_kernarg_preload_length 0
		.amdhsa_user_sgpr_kernarg_preload_offset 0
		.amdhsa_user_sgpr_private_segment_size 0
		.amdhsa_uses_dynamic_stack 0
		.amdhsa_enable_private_segment 0
		.amdhsa_system_sgpr_workgroup_id_x 1
		.amdhsa_system_sgpr_workgroup_id_y 0
		.amdhsa_system_sgpr_workgroup_id_z 0
		.amdhsa_system_sgpr_workgroup_info 0
		.amdhsa_system_vgpr_workitem_id 0
		.amdhsa_next_free_vgpr 56
		.amdhsa_next_free_sgpr 31
		.amdhsa_accum_offset 56
		.amdhsa_reserve_vcc 1
		.amdhsa_float_round_mode_32 0
		.amdhsa_float_round_mode_16_64 0
		.amdhsa_float_denorm_mode_32 3
		.amdhsa_float_denorm_mode_16_64 3
		.amdhsa_dx10_clamp 1
		.amdhsa_ieee_mode 1
		.amdhsa_fp16_overflow 0
		.amdhsa_tg_split 0
		.amdhsa_exception_fp_ieee_invalid_op 0
		.amdhsa_exception_fp_denorm_src 0
		.amdhsa_exception_fp_ieee_div_zero 0
		.amdhsa_exception_fp_ieee_overflow 0
		.amdhsa_exception_fp_ieee_underflow 0
		.amdhsa_exception_fp_ieee_inexact 0
		.amdhsa_exception_int_div_zero 0
	.end_amdhsa_kernel
	.section	.text._ZN9rocsparseL18gtsv_LBM_wv_kernelILj256ELj256EdEEviiiPKT1_S3_S3_PS1_S4_S4_Pi,"axG",@progbits,_ZN9rocsparseL18gtsv_LBM_wv_kernelILj256ELj256EdEEviiiPKT1_S3_S3_PS1_S4_S4_Pi,comdat
.Lfunc_end169:
	.size	_ZN9rocsparseL18gtsv_LBM_wv_kernelILj256ELj256EdEEviiiPKT1_S3_S3_PS1_S4_S4_Pi, .Lfunc_end169-_ZN9rocsparseL18gtsv_LBM_wv_kernelILj256ELj256EdEEviiiPKT1_S3_S3_PS1_S4_S4_Pi
                                        ; -- End function
	.set _ZN9rocsparseL18gtsv_LBM_wv_kernelILj256ELj256EdEEviiiPKT1_S3_S3_PS1_S4_S4_Pi.num_vgpr, 56
	.set _ZN9rocsparseL18gtsv_LBM_wv_kernelILj256ELj256EdEEviiiPKT1_S3_S3_PS1_S4_S4_Pi.num_agpr, 0
	.set _ZN9rocsparseL18gtsv_LBM_wv_kernelILj256ELj256EdEEviiiPKT1_S3_S3_PS1_S4_S4_Pi.numbered_sgpr, 31
	.set _ZN9rocsparseL18gtsv_LBM_wv_kernelILj256ELj256EdEEviiiPKT1_S3_S3_PS1_S4_S4_Pi.num_named_barrier, 0
	.set _ZN9rocsparseL18gtsv_LBM_wv_kernelILj256ELj256EdEEviiiPKT1_S3_S3_PS1_S4_S4_Pi.private_seg_size, 0
	.set _ZN9rocsparseL18gtsv_LBM_wv_kernelILj256ELj256EdEEviiiPKT1_S3_S3_PS1_S4_S4_Pi.uses_vcc, 1
	.set _ZN9rocsparseL18gtsv_LBM_wv_kernelILj256ELj256EdEEviiiPKT1_S3_S3_PS1_S4_S4_Pi.uses_flat_scratch, 0
	.set _ZN9rocsparseL18gtsv_LBM_wv_kernelILj256ELj256EdEEviiiPKT1_S3_S3_PS1_S4_S4_Pi.has_dyn_sized_stack, 0
	.set _ZN9rocsparseL18gtsv_LBM_wv_kernelILj256ELj256EdEEviiiPKT1_S3_S3_PS1_S4_S4_Pi.has_recursion, 0
	.set _ZN9rocsparseL18gtsv_LBM_wv_kernelILj256ELj256EdEEviiiPKT1_S3_S3_PS1_S4_S4_Pi.has_indirect_call, 0
	.section	.AMDGPU.csdata,"",@progbits
; Kernel info:
; codeLenInByte = 2228
; TotalNumSgprs: 37
; NumVgprs: 56
; NumAgprs: 0
; TotalNumVgprs: 56
; ScratchSize: 0
; MemoryBound: 1
; FloatMode: 240
; IeeeMode: 1
; LDSByteSize: 0 bytes/workgroup (compile time only)
; SGPRBlocks: 4
; VGPRBlocks: 6
; NumSGPRsForWavesPerEU: 37
; NumVGPRsForWavesPerEU: 56
; AccumOffset: 56
; Occupancy: 8
; WaveLimiterHint : 0
; COMPUTE_PGM_RSRC2:SCRATCH_EN: 0
; COMPUTE_PGM_RSRC2:USER_SGPR: 2
; COMPUTE_PGM_RSRC2:TRAP_HANDLER: 0
; COMPUTE_PGM_RSRC2:TGID_X_EN: 1
; COMPUTE_PGM_RSRC2:TGID_Y_EN: 0
; COMPUTE_PGM_RSRC2:TGID_Z_EN: 0
; COMPUTE_PGM_RSRC2:TIDIG_COMP_CNT: 0
; COMPUTE_PGM_RSRC3_GFX90A:ACCUM_OFFSET: 13
; COMPUTE_PGM_RSRC3_GFX90A:TG_SPLIT: 0
	.section	.text._ZN9rocsparseL19gtsv_LBM_rhs_kernelILj256ELj256ELj8EdEEviiiPKT2_S3_S3_PS1_S3_PKi,"axG",@progbits,_ZN9rocsparseL19gtsv_LBM_rhs_kernelILj256ELj256ELj8EdEEviiiPKT2_S3_S3_PS1_S3_PKi,comdat
	.globl	_ZN9rocsparseL19gtsv_LBM_rhs_kernelILj256ELj256ELj8EdEEviiiPKT2_S3_S3_PS1_S3_PKi ; -- Begin function _ZN9rocsparseL19gtsv_LBM_rhs_kernelILj256ELj256ELj8EdEEviiiPKT2_S3_S3_PS1_S3_PKi
	.p2align	8
	.type	_ZN9rocsparseL19gtsv_LBM_rhs_kernelILj256ELj256ELj8EdEEviiiPKT2_S3_S3_PS1_S3_PKi,@function
_ZN9rocsparseL19gtsv_LBM_rhs_kernelILj256ELj256ELj8EdEEviiiPKT2_S3_S3_PS1_S3_PKi: ; @_ZN9rocsparseL19gtsv_LBM_rhs_kernelILj256ELj256ELj8EdEEviiiPKT2_S3_S3_PS1_S3_PKi
; %bb.0:
	s_load_dword s23, s[0:1], 0x0
	v_lshl_or_b32 v0, s2, 8, v0
	s_waitcnt lgkmcnt(0)
	s_lshr_b32 s22, s23, 8
	v_cmp_gt_i32_e32 vcc, s22, v0
	s_and_saveexec_b64 s[4:5], vcc
	s_cbranch_execz .LBB170_29
; %bb.1:
	s_load_dwordx4 s[8:11], s[0:1], 0x28
	s_load_dwordx2 s[6:7], s[0:1], 0x38
	s_cmp_lt_i32 s23, 1
	v_add_u32_e32 v60, s22, v0
	s_mul_i32 s24, s3, s23
	s_cbranch_scc1 .LBB170_21
; %bb.2:
	s_load_dwordx4 s[12:15], s[0:1], 0x10
	s_load_dwordx2 s[16:17], s[0:1], 0x20
	v_ashrrev_i32_e32 v1, 31, v0
	s_lshl_b32 s28, s24, 3
	s_add_i32 s29, s28, s23
	s_waitcnt lgkmcnt(0)
	v_lshl_add_u64 v[2:3], v[0:1], 3, s[14:15]
	global_load_dwordx2 v[6:7], v[2:3], off
	s_add_i32 s30, s29, s23
	s_add_i32 s31, s30, s23
	;; [unrolled: 1-line block ×5, first 2 shown]
	s_mul_i32 s25, s22, 0xff
	s_mul_i32 s26, s22, 0xfe
	s_lshl_b32 s27, s22, 1
	v_add_u32_e32 v1, s22, v60
	s_add_i32 s36, s35, s23
	v_mov_b32_e32 v3, 0
	s_mov_b64 s[18:19], 0
	v_mov_b32_e32 v61, 0
	s_branch .LBB170_5
.LBB170_3:                              ;   in Loop: Header=BB170_5 Depth=1
	s_or_b64 exec, exec, s[4:5]
	v_fma_f64 v[6:7], -v[6:7], v[22:23], v[8:9]
	v_mov_b32_e32 v2, s22
.LBB170_4:                              ;   in Loop: Header=BB170_5 Depth=1
	s_or_b64 exec, exec, s[2:3]
	v_add_u32_e32 v61, v2, v61
	v_cmp_le_i32_e32 vcc, s23, v61
	s_or_b64 s[18:19], vcc, s[18:19]
	s_andn2_b64 exec, exec, s[18:19]
	s_cbranch_execz .LBB170_20
.LBB170_5:                              ; =>This Inner Loop Header: Depth=1
	v_add_u32_e32 v16, v61, v0
	v_ashrrev_i32_e32 v17, 31, v16
	v_lshl_add_u64 v[4:5], v[16:17], 3, s[16:17]
	global_load_dwordx2 v[14:15], v[4:5], off
	v_cmp_gt_u32_e64 s[0:1], s25, v61
	v_mov_b64_e32 v[8:9], 0
	v_mov_b64_e32 v[4:5], 0
	s_and_saveexec_b64 s[2:3], s[0:1]
	s_cbranch_execz .LBB170_7
; %bb.6:                                ;   in Loop: Header=BB170_5 Depth=1
	v_add_u32_e32 v4, v60, v61
	v_ashrrev_i32_e32 v5, 31, v4
	v_lshl_add_u64 v[4:5], v[4:5], 3, s[12:13]
	global_load_dwordx2 v[4:5], v[4:5], off
.LBB170_7:                              ;   in Loop: Header=BB170_5 Depth=1
	s_or_b64 exec, exec, s[2:3]
	s_and_saveexec_b64 s[2:3], s[0:1]
	s_cbranch_execz .LBB170_9
; %bb.8:                                ;   in Loop: Header=BB170_5 Depth=1
	v_add_u32_e32 v8, v60, v61
	v_ashrrev_i32_e32 v9, 31, v8
	v_lshl_add_u64 v[8:9], v[8:9], 3, s[14:15]
	global_load_dwordx2 v[8:9], v[8:9], off
.LBB170_9:                              ;   in Loop: Header=BB170_5 Depth=1
	s_or_b64 exec, exec, s[2:3]
	v_mov_b64_e32 v[12:13], 0
	v_mov_b64_e32 v[10:11], 0
	s_and_saveexec_b64 s[2:3], s[0:1]
	s_cbranch_execz .LBB170_11
; %bb.10:                               ;   in Loop: Header=BB170_5 Depth=1
	v_add_u32_e32 v10, v60, v61
	v_ashrrev_i32_e32 v11, 31, v10
	v_lshl_add_u64 v[10:11], v[10:11], 3, s[16:17]
	global_load_dwordx2 v[10:11], v[10:11], off
.LBB170_11:                             ;   in Loop: Header=BB170_5 Depth=1
	s_or_b64 exec, exec, s[2:3]
	v_cmp_gt_u32_e64 s[2:3], s26, v61
	s_and_saveexec_b64 s[4:5], s[2:3]
	s_cbranch_execz .LBB170_13
; %bb.12:                               ;   in Loop: Header=BB170_5 Depth=1
	v_add_u32_e32 v12, v1, v61
	v_ashrrev_i32_e32 v13, 31, v12
	v_lshl_add_u64 v[12:13], v[12:13], 3, s[12:13]
	global_load_dwordx2 v[12:13], v[12:13], off
.LBB170_13:                             ;   in Loop: Header=BB170_5 Depth=1
	s_or_b64 exec, exec, s[4:5]
	v_add_u32_e32 v2, s28, v16
	v_lshl_add_u64 v[38:39], v[2:3], 3, s[8:9]
	v_add_u32_e32 v2, s29, v16
	v_lshl_add_u64 v[30:31], v[2:3], 3, s[8:9]
	;; [unrolled: 2-line block ×6, first 2 shown]
	v_lshl_add_u64 v[20:21], v[2:3], 3, s[8:9]
	v_add_u32_e32 v2, s35, v16
	global_load_dword v22, v[18:19], off
	v_lshl_add_u64 v[18:19], v[2:3], 3, s[8:9]
	v_add_u32_e32 v2, s36, v16
	global_load_dwordx2 v[50:51], v[38:39], off
	global_load_dwordx2 v[46:47], v[30:31], off
	;; [unrolled: 1-line block ×4, first 2 shown]
	v_lshl_add_u64 v[16:17], v[2:3], 3, s[8:9]
	global_load_dwordx2 v[44:45], v[26:27], off
	global_load_dwordx2 v[40:41], v[20:21], off
	;; [unrolled: 1-line block ×4, first 2 shown]
	v_cmp_ne_u32_e64 s[4:5], s25, v61
	s_waitcnt vmcnt(8)
	v_cmp_ne_u32_e32 vcc, 1, v22
	s_and_b64 s[4:5], s[4:5], vcc
	v_mul_f64 v[22:23], v[14:15], v[4:5]
	s_and_saveexec_b64 s[20:21], s[4:5]
	s_xor_b64 s[4:5], exec, s[20:21]
	s_cbranch_execz .LBB170_17
; %bb.14:                               ;   in Loop: Header=BB170_5 Depth=1
	v_add_u32_e32 v78, v60, v61
	v_add_u32_e32 v2, s28, v78
	v_fma_f64 v[22:23], v[6:7], v[8:9], -v[22:23]
	v_lshl_add_u64 v[48:49], v[2:3], 3, s[8:9]
	v_div_scale_f64 v[54:55], s[20:21], v[22:23], v[22:23], 1.0
	global_load_dwordx2 v[52:53], v[48:49], off
	v_rcp_f64_e32 v[58:59], v[54:55]
	v_add_u32_e32 v2, s29, v78
	v_lshl_add_u64 v[62:63], v[2:3], 3, s[8:9]
	v_add_u32_e32 v2, s30, v78
	global_load_dwordx2 v[66:67], v[62:63], off
	v_lshl_add_u64 v[64:65], v[2:3], 3, s[8:9]
	v_fma_f64 v[72:73], -v[54:55], v[58:59], 1.0
	global_load_dwordx2 v[70:71], v[64:65], off
	v_fmac_f64_e32 v[58:59], v[58:59], v[72:73]
	v_fma_f64 v[72:73], -v[54:55], v[58:59], 1.0
	v_div_scale_f64 v[56:57], vcc, 1.0, v[22:23], 1.0
	v_add_u32_e32 v2, s31, v78
	v_fmac_f64_e32 v[58:59], v[58:59], v[72:73]
	v_lshl_add_u64 v[68:69], v[2:3], 3, s[8:9]
	v_add_u32_e32 v2, s33, v78
	v_mul_f64 v[72:73], v[56:57], v[58:59]
	v_fma_f64 v[54:55], -v[54:55], v[72:73], v[56:57]
	v_lshl_add_u64 v[74:75], v[2:3], 3, s[8:9]
	v_add_u32_e32 v2, s34, v78
	v_div_fmas_f64 v[54:55], v[54:55], v[58:59], v[72:73]
	v_lshl_add_u64 v[72:73], v[2:3], 3, s[8:9]
	v_add_u32_e32 v2, s35, v78
	v_lshl_add_u64 v[76:77], v[2:3], 3, s[8:9]
	v_add_u32_e32 v2, s36, v78
	global_load_dwordx2 v[78:79], v[68:69], off
	global_load_dwordx2 v[80:81], v[74:75], off
	;; [unrolled: 1-line block ×4, first 2 shown]
	v_lshl_add_u64 v[86:87], v[2:3], 3, s[8:9]
	global_load_dwordx2 v[88:89], v[86:87], off
	v_div_fixup_f64 v[22:23], v[54:55], v[22:23], 1.0
	s_waitcnt vmcnt(15)
	v_mul_f64 v[50:51], v[22:23], v[50:51]
	s_waitcnt vmcnt(14)
	v_mul_f64 v[46:47], v[22:23], v[46:47]
	;; [unrolled: 2-line block ×4, first 2 shown]
	v_mul_f64 v[54:55], v[14:15], v[52:53]
	v_fma_f64 v[54:55], v[8:9], v[50:51], -v[54:55]
	global_store_dwordx2 v[38:39], v[54:55], off
	s_waitcnt vmcnt(7)
	v_mul_f64 v[54:55], v[22:23], v[66:67]
	v_mul_f64 v[38:39], v[14:15], v[54:55]
	v_fma_f64 v[38:39], v[8:9], v[46:47], -v[38:39]
	s_waitcnt vmcnt(6)
	v_mul_f64 v[58:59], v[22:23], v[70:71]
	global_store_dwordx2 v[30:31], v[38:39], off
	v_mul_f64 v[30:31], v[14:15], v[58:59]
	v_fma_f64 v[30:31], v[8:9], v[56:57], -v[30:31]
	global_store_dwordx2 v[28:29], v[30:31], off
	v_mul_f64 v[28:29], v[22:23], v[36:37]
	v_mul_f64 v[38:39], v[22:23], v[44:45]
	s_waitcnt vmcnt(7)
	v_mul_f64 v[30:31], v[22:23], v[78:79]
	v_mul_f64 v[36:37], v[14:15], v[30:31]
	v_fma_f64 v[36:37], v[8:9], v[28:29], -v[36:37]
	s_waitcnt vmcnt(6)
	v_mul_f64 v[42:43], v[22:23], v[80:81]
	global_store_dwordx2 v[24:25], v[36:37], off
	v_mul_f64 v[24:25], v[14:15], v[42:43]
	v_fma_f64 v[24:25], v[8:9], v[38:39], -v[24:25]
	s_waitcnt vmcnt(6)
	v_mul_f64 v[36:37], v[22:23], v[82:83]
	global_store_dwordx2 v[26:27], v[24:25], off
	v_mul_f64 v[26:27], v[22:23], v[40:41]
	v_mul_f64 v[24:25], v[14:15], v[36:37]
	v_fma_f64 v[24:25], v[8:9], v[26:27], -v[24:25]
	global_store_dwordx2 v[20:21], v[24:25], off
	v_mul_f64 v[20:21], v[22:23], v[32:33]
	s_waitcnt vmcnt(7)
	v_mul_f64 v[32:33], v[22:23], v[84:85]
	v_mul_f64 v[24:25], v[22:23], v[34:35]
	;; [unrolled: 1-line block ×3, first 2 shown]
	v_fma_f64 v[34:35], v[8:9], v[24:25], -v[34:35]
	global_store_dwordx2 v[18:19], v[34:35], off
	s_waitcnt vmcnt(7)
	v_mul_f64 v[18:19], v[22:23], v[88:89]
	v_mul_f64 v[14:15], v[14:15], v[18:19]
	v_fma_f64 v[8:9], v[8:9], v[20:21], -v[14:15]
	v_mul_f64 v[34:35], v[4:5], v[50:51]
	global_store_dwordx2 v[16:17], v[8:9], off
	v_mul_f64 v[8:9], v[4:5], v[28:29]
	v_mul_f64 v[40:41], v[4:5], v[46:47]
	;; [unrolled: 1-line block ×4, first 2 shown]
	v_fma_f64 v[34:35], v[6:7], v[52:53], -v[34:35]
	v_fma_f64 v[8:9], v[6:7], v[30:31], -v[8:9]
	;; [unrolled: 1-line block ×5, first 2 shown]
	global_store_dwordx2 v[48:49], v[34:35], off
	global_store_dwordx2 v[62:63], v[40:41], off
	;; [unrolled: 1-line block ×5, first 2 shown]
	v_mul_f64 v[8:9], v[4:5], v[26:27]
	v_fma_f64 v[8:9], v[6:7], v[36:37], -v[8:9]
	global_store_dwordx2 v[72:73], v[8:9], off
	v_mul_f64 v[8:9], v[4:5], v[24:25]
	v_fma_f64 v[8:9], v[6:7], v[32:33], -v[8:9]
	global_store_dwordx2 v[76:77], v[8:9], off
	;; [unrolled: 3-line block ×3, first 2 shown]
	v_mov_b64_e32 v[8:9], 0
	s_and_saveexec_b64 s[20:21], s[2:3]
	s_cbranch_execz .LBB170_16
; %bb.15:                               ;   in Loop: Header=BB170_5 Depth=1
	v_add_u32_e32 v8, v1, v61
	v_add_u32_e32 v2, s28, v8
	v_lshl_add_u64 v[14:15], v[2:3], 3, s[8:9]
	global_load_dwordx2 v[16:17], v[14:15], off
	v_mul_f64 v[6:7], v[6:7], v[12:13]
	v_mul_f64 v[4:5], v[4:5], v[12:13]
	;; [unrolled: 1-line block ×3, first 2 shown]
	v_add_u32_e32 v2, s29, v8
	v_fma_f64 v[12:13], v[4:5], v[50:51], -v[12:13]
	v_lshl_add_u64 v[34:35], v[2:3], 3, s[8:9]
	v_add_u32_e32 v2, s30, v8
	global_load_dwordx2 v[40:41], v[34:35], off
	v_lshl_add_u64 v[44:45], v[2:3], 3, s[8:9]
	v_add_u32_e32 v2, s31, v8
	v_ashrrev_i32_e32 v9, 31, v8
	s_waitcnt vmcnt(1)
	v_add_f64 v[12:13], v[12:13], v[16:17]
	global_store_dwordx2 v[14:15], v[12:13], off
	global_load_dwordx2 v[12:13], v[44:45], off
	v_mul_f64 v[14:15], v[6:7], v[54:55]
	v_fma_f64 v[14:15], v[4:5], v[46:47], -v[14:15]
	v_mul_f64 v[16:17], v[6:7], v[58:59]
	v_fma_f64 v[16:17], v[4:5], v[56:57], -v[16:17]
	v_lshl_add_u64 v[46:47], v[2:3], 3, s[8:9]
	s_waitcnt vmcnt(2)
	v_add_f64 v[14:15], v[14:15], v[40:41]
	global_store_dwordx2 v[34:35], v[14:15], off
	v_add_u32_e32 v2, s33, v8
	global_load_dwordx2 v[14:15], v[46:47], off
	v_lshl_add_u64 v[48:49], v[2:3], 3, s[8:9]
	v_add_u32_e32 v2, s34, v8
	s_waitcnt vmcnt(2)
	v_add_f64 v[12:13], v[16:17], v[12:13]
	global_store_dwordx2 v[44:45], v[12:13], off
	global_load_dwordx2 v[12:13], v[48:49], off
	v_mul_f64 v[16:17], v[6:7], v[30:31]
	v_mul_f64 v[30:31], v[6:7], v[42:43]
	v_fma_f64 v[16:17], v[4:5], v[28:29], -v[16:17]
	v_fma_f64 v[28:29], v[4:5], v[38:39], -v[30:31]
	v_lshl_add_u64 v[30:31], v[2:3], 3, s[8:9]
	v_add_u32_e32 v2, s35, v8
	s_waitcnt vmcnt(2)
	v_add_f64 v[14:15], v[16:17], v[14:15]
	global_store_dwordx2 v[46:47], v[14:15], off
	v_mul_f64 v[14:15], v[6:7], v[36:37]
	v_fma_f64 v[14:15], v[4:5], v[26:27], -v[14:15]
	v_lshl_add_u64 v[16:17], v[2:3], 3, s[8:9]
	v_add_u32_e32 v2, s36, v8
	v_lshl_add_u64 v[8:9], v[8:9], 3, s[14:15]
	global_load_dwordx2 v[8:9], v[8:9], off
	s_waitcnt vmcnt(2)
	v_add_f64 v[12:13], v[28:29], v[12:13]
	global_store_dwordx2 v[48:49], v[12:13], off
	global_load_dwordx2 v[12:13], v[30:31], off
	s_waitcnt vmcnt(0)
	v_add_f64 v[12:13], v[14:15], v[12:13]
	global_store_dwordx2 v[30:31], v[12:13], off
	global_load_dwordx2 v[12:13], v[16:17], off
	v_mul_f64 v[14:15], v[6:7], v[32:33]
	v_fma_f64 v[14:15], v[4:5], v[24:25], -v[14:15]
	v_lshl_add_u64 v[24:25], v[2:3], 3, s[8:9]
	s_waitcnt vmcnt(0)
	v_add_f64 v[12:13], v[14:15], v[12:13]
	global_store_dwordx2 v[16:17], v[12:13], off
	global_load_dwordx2 v[12:13], v[24:25], off
	v_mul_f64 v[14:15], v[6:7], v[18:19]
	v_mul_f64 v[6:7], v[10:11], v[6:7]
	v_fma_f64 v[4:5], v[4:5], v[20:21], -v[14:15]
	v_fma_f64 v[8:9], -v[22:23], v[6:7], v[8:9]
	s_waitcnt vmcnt(0)
	v_add_f64 v[4:5], v[4:5], v[12:13]
	global_store_dwordx2 v[24:25], v[4:5], off
.LBB170_16:                             ;   in Loop: Header=BB170_5 Depth=1
	s_or_b64 exec, exec, s[20:21]
	v_mov_b64_e32 v[6:7], v[8:9]
                                        ; implicit-def: $vgpr4_vgpr5
                                        ; implicit-def: $vgpr8_vgpr9
                                        ; implicit-def: $vgpr22_vgpr23
                                        ; implicit-def: $vgpr38_vgpr39
                                        ; implicit-def: $vgpr50_vgpr51
                                        ; implicit-def: $vgpr30_vgpr31
                                        ; implicit-def: $vgpr46_vgpr47
                                        ; implicit-def: $vgpr28_vgpr29
                                        ; implicit-def: $vgpr42_vgpr43
                                        ; implicit-def: $vgpr24_vgpr25
                                        ; implicit-def: $vgpr36_vgpr37
                                        ; implicit-def: $vgpr26_vgpr27
                                        ; implicit-def: $vgpr44_vgpr45
                                        ; implicit-def: $vgpr20_vgpr21
                                        ; implicit-def: $vgpr40_vgpr41
                                        ; implicit-def: $vgpr18_vgpr19
                                        ; implicit-def: $vgpr34_vgpr35
                                        ; implicit-def: $vgpr16_vgpr17
                                        ; implicit-def: $vgpr32_vgpr33
.LBB170_17:                             ;   in Loop: Header=BB170_5 Depth=1
	s_or_saveexec_b64 s[2:3], s[4:5]
	v_mov_b32_e32 v2, s27
	s_xor_b64 exec, exec, s[2:3]
	s_cbranch_execz .LBB170_4
; %bb.18:                               ;   in Loop: Header=BB170_5 Depth=1
	v_div_scale_f64 v[10:11], s[4:5], v[6:7], v[6:7], 1.0
	v_rcp_f64_e32 v[12:13], v[10:11]
	v_div_scale_f64 v[14:15], vcc, 1.0, v[6:7], 1.0
	v_fma_f64 v[48:49], -v[10:11], v[12:13], 1.0
	v_fmac_f64_e32 v[12:13], v[12:13], v[48:49]
	v_fma_f64 v[48:49], -v[10:11], v[12:13], 1.0
	v_fmac_f64_e32 v[12:13], v[12:13], v[48:49]
	v_mul_f64 v[48:49], v[14:15], v[12:13]
	v_fma_f64 v[10:11], -v[10:11], v[48:49], v[14:15]
	v_div_fmas_f64 v[10:11], v[10:11], v[12:13], v[48:49]
	v_div_fixup_f64 v[6:7], v[10:11], v[6:7], 1.0
	s_waitcnt vmcnt(7)
	v_mul_f64 v[50:51], v[6:7], v[50:51]
	s_waitcnt vmcnt(6)
	v_mul_f64 v[48:49], v[6:7], v[46:47]
	s_waitcnt vmcnt(5)
	v_mul_f64 v[46:47], v[6:7], v[42:43]
	s_waitcnt vmcnt(4)
	v_mul_f64 v[42:43], v[6:7], v[36:37]
	s_waitcnt vmcnt(3)
	v_mul_f64 v[36:37], v[6:7], v[44:45]
	s_waitcnt vmcnt(2)
	v_mul_f64 v[14:15], v[6:7], v[40:41]
	s_waitcnt vmcnt(1)
	v_mul_f64 v[12:13], v[6:7], v[34:35]
	s_waitcnt vmcnt(0)
	v_mul_f64 v[10:11], v[6:7], v[32:33]
	global_store_dwordx2 v[38:39], v[50:51], off
	global_store_dwordx2 v[30:31], v[48:49], off
	;; [unrolled: 1-line block ×8, first 2 shown]
	s_and_saveexec_b64 s[4:5], s[0:1]
	s_cbranch_execz .LBB170_3
; %bb.19:                               ;   in Loop: Header=BB170_5 Depth=1
	v_add_u32_e32 v30, v60, v61
	v_add_u32_e32 v2, s28, v30
	v_lshl_add_u64 v[16:17], v[2:3], 3, s[8:9]
	global_load_dwordx2 v[18:19], v[16:17], off
	v_add_u32_e32 v2, s29, v30
	v_lshl_add_u64 v[20:21], v[2:3], 3, s[8:9]
	v_add_u32_e32 v2, s30, v30
	global_load_dwordx2 v[24:25], v[20:21], off
	v_lshl_add_u64 v[26:27], v[2:3], 3, s[8:9]
	v_add_u32_e32 v2, s31, v30
	s_waitcnt vmcnt(1)
	v_fma_f64 v[18:19], -v[4:5], v[50:51], v[18:19]
	global_store_dwordx2 v[16:17], v[18:19], off
	global_load_dwordx2 v[16:17], v[26:27], off
	v_lshl_add_u64 v[18:19], v[2:3], 3, s[8:9]
	s_waitcnt vmcnt(2)
	v_fma_f64 v[24:25], -v[4:5], v[48:49], v[24:25]
	global_store_dwordx2 v[20:21], v[24:25], off
	v_add_u32_e32 v2, s33, v30
	global_load_dwordx2 v[20:21], v[18:19], off
	v_lshl_add_u64 v[28:29], v[2:3], 3, s[8:9]
	v_add_u32_e32 v2, s34, v30
	v_lshl_add_u64 v[24:25], v[2:3], 3, s[8:9]
	v_add_u32_e32 v2, s35, v30
	s_waitcnt vmcnt(2)
	v_fma_f64 v[16:17], -v[4:5], v[46:47], v[16:17]
	global_store_dwordx2 v[26:27], v[16:17], off
	global_load_dwordx2 v[16:17], v[28:29], off
	s_waitcnt vmcnt(2)
	v_fma_f64 v[20:21], -v[4:5], v[42:43], v[20:21]
	global_store_dwordx2 v[18:19], v[20:21], off
	v_lshl_add_u64 v[18:19], v[2:3], 3, s[8:9]
	v_add_u32_e32 v2, s36, v30
	s_waitcnt vmcnt(1)
	v_fma_f64 v[16:17], -v[4:5], v[36:37], v[16:17]
	global_store_dwordx2 v[28:29], v[16:17], off
	global_load_dwordx2 v[16:17], v[24:25], off
	s_waitcnt vmcnt(0)
	v_fma_f64 v[14:15], -v[4:5], v[14:15], v[16:17]
	global_store_dwordx2 v[24:25], v[14:15], off
	global_load_dwordx2 v[14:15], v[18:19], off
	s_waitcnt vmcnt(0)
	v_fma_f64 v[12:13], -v[4:5], v[12:13], v[14:15]
	global_store_dwordx2 v[18:19], v[12:13], off
	v_lshl_add_u64 v[12:13], v[2:3], 3, s[8:9]
	global_load_dwordx2 v[14:15], v[12:13], off
	s_waitcnt vmcnt(0)
	v_fma_f64 v[4:5], -v[4:5], v[10:11], v[14:15]
	global_store_dwordx2 v[12:13], v[4:5], off
	s_branch .LBB170_3
.LBB170_20:
	s_or_b64 exec, exec, s[18:19]
	s_branch .LBB170_22
.LBB170_21:
	v_mov_b32_e32 v61, 0
.LBB170_22:
	v_subrev_u32_e32 v1, s22, v61
	v_add_u32_e32 v2, v1, v0
	v_ashrrev_i32_e32 v3, 31, v2
	s_waitcnt lgkmcnt(0)
	v_lshl_add_u64 v[2:3], v[2:3], 2, s[6:7]
	buffer_wbl2 sc1
	s_waitcnt vmcnt(0)
	buffer_inv sc1
	global_load_dword v2, v[2:3], off
	s_waitcnt vmcnt(0)
	v_mul_lo_u32 v2, v2, s22
	v_sub_u32_e32 v1, v1, v2
	v_cmp_lt_i32_e32 vcc, -1, v1
	s_and_b64 exec, exec, vcc
	s_cbranch_execz .LBB170_29
; %bb.23:
	s_lshl_b32 s4, s24, 3
	s_add_i32 s5, s4, s23
	s_add_i32 s12, s5, s23
	s_add_i32 s13, s12, s23
	s_add_i32 s14, s13, s23
	s_add_i32 s15, s14, s23
	s_add_i32 s16, s15, s23
	s_add_i32 s17, s16, s23
	s_lshl_b32 s18, s22, 1
	s_mov_b64 s[0:1], 0
	v_mov_b32_e32 v3, 0
	s_branch .LBB170_25
.LBB170_24:                             ;   in Loop: Header=BB170_25 Depth=1
	s_or_b64 exec, exec, s[2:3]
	v_sub_u32_e32 v1, v1, v2
	v_cmp_gt_i32_e32 vcc, 0, v1
	s_or_b64 s[0:1], vcc, s[0:1]
	s_andn2_b64 exec, exec, s[0:1]
	s_cbranch_execz .LBB170_29
.LBB170_25:                             ; =>This Inner Loop Header: Depth=1
	v_add_u32_e32 v6, v1, v0
	v_ashrrev_i32_e32 v7, 31, v6
	s_waitcnt vmcnt(0)
	v_lshl_add_u64 v[4:5], v[6:7], 2, s[6:7]
	global_load_dword v2, v[4:5], off
	v_lshl_add_u64 v[4:5], v[6:7], 3, s[10:11]
	global_load_dwordx2 v[4:5], v[4:5], off
	s_waitcnt vmcnt(1)
	v_cmp_ne_u32_e32 vcc, 1, v2
	s_and_saveexec_b64 s[2:3], vcc
	s_xor_b64 s[2:3], exec, s[2:3]
	s_cbranch_execz .LBB170_27
; %bb.26:                               ;   in Loop: Header=BB170_25 Depth=1
	v_add_u32_e32 v7, v60, v1
	v_add_u32_e32 v2, s4, v7
	v_lshl_add_u64 v[8:9], v[2:3], 3, s[8:9]
	v_add_u32_e32 v2, s5, v7
	v_lshl_add_u64 v[10:11], v[2:3], 3, s[8:9]
	;; [unrolled: 2-line block ×9, first 2 shown]
	global_load_dwordx2 v[26:27], v[24:25], off
	global_load_dwordx2 v[28:29], v[8:9], off
	;; [unrolled: 1-line block ×9, first 2 shown]
	v_add_u32_e32 v2, s5, v6
	v_lshl_add_u64 v[8:9], v[2:3], 3, s[8:9]
	v_add_u32_e32 v2, s12, v6
	v_lshl_add_u64 v[12:13], v[2:3], 3, s[8:9]
	v_add_u32_e32 v2, s13, v6
	s_waitcnt vmcnt(7)
	v_fma_f64 v[10:11], -v[4:5], v[28:29], v[26:27]
	global_store_dwordx2 v[24:25], v[10:11], off
	global_load_dwordx2 v[10:11], v[8:9], off
	s_waitcnt vmcnt(0)
	v_fma_f64 v[10:11], -v[4:5], v[30:31], v[10:11]
	global_store_dwordx2 v[8:9], v[10:11], off
	global_load_dwordx2 v[8:9], v[12:13], off
	v_lshl_add_u64 v[10:11], v[2:3], 3, s[8:9]
	v_add_u32_e32 v2, s14, v6
	s_waitcnt vmcnt(0)
	v_fma_f64 v[8:9], -v[4:5], v[32:33], v[8:9]
	global_store_dwordx2 v[12:13], v[8:9], off
	global_load_dwordx2 v[8:9], v[10:11], off
	v_lshl_add_u64 v[12:13], v[2:3], 3, s[8:9]
	v_add_u32_e32 v2, s15, v6
	;; [unrolled: 6-line block ×4, first 2 shown]
	v_lshl_add_u64 v[6:7], v[2:3], 3, s[8:9]
	v_subrev_u32_e32 v2, s22, v1
	s_waitcnt vmcnt(0)
	v_fma_f64 v[8:9], -v[4:5], v[38:39], v[8:9]
	global_store_dwordx2 v[10:11], v[8:9], off
	global_load_dwordx2 v[8:9], v[12:13], off
	v_add_u32_e32 v10, v2, v0
	v_ashrrev_i32_e32 v11, 31, v10
	v_add_u32_e32 v2, s4, v10
	v_lshl_add_u64 v[14:15], v[2:3], 3, s[8:9]
	v_add_u32_e32 v2, s5, v10
	s_waitcnt vmcnt(0)
	v_fma_f64 v[8:9], -v[4:5], v[40:41], v[8:9]
	global_store_dwordx2 v[12:13], v[8:9], off
	global_load_dwordx2 v[8:9], v[6:7], off
	v_lshl_add_u64 v[12:13], v[10:11], 3, s[10:11]
	global_load_dwordx2 v[12:13], v[12:13], off
	s_waitcnt vmcnt(1)
	v_fma_f64 v[4:5], -v[4:5], v[42:43], v[8:9]
	global_store_dwordx2 v[6:7], v[4:5], off
	global_load_dwordx2 v[4:5], v[14:15], off
	v_lshl_add_u64 v[6:7], v[2:3], 3, s[8:9]
	v_add_u32_e32 v2, s12, v10
	v_lshl_add_u64 v[8:9], v[2:3], 3, s[8:9]
	v_add_u32_e32 v2, s13, v10
	s_waitcnt vmcnt(0)
	v_fma_f64 v[4:5], -v[12:13], v[28:29], v[4:5]
	global_store_dwordx2 v[14:15], v[4:5], off
	global_load_dwordx2 v[4:5], v[6:7], off
	s_waitcnt vmcnt(0)
	v_fma_f64 v[4:5], -v[12:13], v[30:31], v[4:5]
	global_store_dwordx2 v[6:7], v[4:5], off
	global_load_dwordx2 v[4:5], v[8:9], off
	v_lshl_add_u64 v[6:7], v[2:3], 3, s[8:9]
	v_add_u32_e32 v2, s14, v10
	s_waitcnt vmcnt(0)
	v_fma_f64 v[4:5], -v[12:13], v[32:33], v[4:5]
	global_store_dwordx2 v[8:9], v[4:5], off
	global_load_dwordx2 v[4:5], v[6:7], off
	v_lshl_add_u64 v[8:9], v[2:3], 3, s[8:9]
	v_add_u32_e32 v2, s15, v10
	s_waitcnt vmcnt(0)
	v_fma_f64 v[4:5], -v[12:13], v[34:35], v[4:5]
	global_store_dwordx2 v[6:7], v[4:5], off
	global_load_dwordx2 v[4:5], v[8:9], off
	v_lshl_add_u64 v[6:7], v[2:3], 3, s[8:9]
	v_add_u32_e32 v2, s16, v10
	s_waitcnt vmcnt(0)
	v_fma_f64 v[4:5], -v[12:13], v[36:37], v[4:5]
	global_store_dwordx2 v[8:9], v[4:5], off
	global_load_dwordx2 v[4:5], v[6:7], off
	v_lshl_add_u64 v[8:9], v[2:3], 3, s[8:9]
	v_add_u32_e32 v2, s17, v10
	s_waitcnt vmcnt(0)
	v_fma_f64 v[4:5], -v[12:13], v[38:39], v[4:5]
	global_store_dwordx2 v[6:7], v[4:5], off
	global_load_dwordx2 v[4:5], v[8:9], off
	s_waitcnt vmcnt(0)
	v_fma_f64 v[4:5], -v[12:13], v[40:41], v[4:5]
	global_store_dwordx2 v[8:9], v[4:5], off
	v_lshl_add_u64 v[4:5], v[2:3], 3, s[8:9]
	global_load_dwordx2 v[6:7], v[4:5], off
	s_waitcnt vmcnt(0)
	v_fma_f64 v[6:7], -v[12:13], v[42:43], v[6:7]
	global_store_dwordx2 v[4:5], v[6:7], off
                                        ; implicit-def: $vgpr6
                                        ; implicit-def: $vgpr4_vgpr5
.LBB170_27:                             ;   in Loop: Header=BB170_25 Depth=1
	s_or_saveexec_b64 s[2:3], s[2:3]
	v_mov_b32_e32 v2, s18
	s_xor_b64 exec, exec, s[2:3]
	s_cbranch_execz .LBB170_24
; %bb.28:                               ;   in Loop: Header=BB170_25 Depth=1
	v_add_u32_e32 v7, v60, v1
	v_add_u32_e32 v2, s4, v7
	v_lshl_add_u64 v[8:9], v[2:3], 3, s[8:9]
	v_add_u32_e32 v2, s4, v6
	v_lshl_add_u64 v[10:11], v[2:3], 3, s[8:9]
	global_load_dwordx2 v[12:13], v[8:9], off
	global_load_dwordx2 v[14:15], v[10:11], off
	v_add_u32_e32 v2, s5, v7
	v_lshl_add_u64 v[8:9], v[2:3], 3, s[8:9]
	v_add_u32_e32 v2, s5, v6
	v_lshl_add_u64 v[16:17], v[2:3], 3, s[8:9]
	v_add_u32_e32 v2, s12, v7
	s_waitcnt vmcnt(0)
	v_fma_f64 v[12:13], -v[4:5], v[12:13], v[14:15]
	global_store_dwordx2 v[10:11], v[12:13], off
	global_load_dwordx2 v[10:11], v[8:9], off
	s_nop 0
	global_load_dwordx2 v[12:13], v[16:17], off
	v_lshl_add_u64 v[8:9], v[2:3], 3, s[8:9]
	v_add_u32_e32 v2, s12, v6
	v_lshl_add_u64 v[14:15], v[2:3], 3, s[8:9]
	v_add_u32_e32 v2, s13, v7
	s_waitcnt vmcnt(0)
	v_fma_f64 v[10:11], -v[4:5], v[10:11], v[12:13]
	global_store_dwordx2 v[16:17], v[10:11], off
	global_load_dwordx2 v[10:11], v[8:9], off
	s_nop 0
	global_load_dwordx2 v[12:13], v[14:15], off
	;; [unrolled: 10-line block ×6, first 2 shown]
	v_lshl_add_u64 v[8:9], v[2:3], 3, s[8:9]
	v_add_u32_e32 v2, s17, v6
	v_lshl_add_u64 v[6:7], v[2:3], 3, s[8:9]
	v_mov_b32_e32 v2, s22
	s_waitcnt vmcnt(0)
	v_fma_f64 v[10:11], -v[4:5], v[10:11], v[12:13]
	global_store_dwordx2 v[14:15], v[10:11], off
	global_load_dwordx2 v[10:11], v[8:9], off
	s_nop 0
	global_load_dwordx2 v[12:13], v[6:7], off
	s_waitcnt vmcnt(0)
	v_fma_f64 v[4:5], -v[4:5], v[10:11], v[12:13]
	global_store_dwordx2 v[6:7], v[4:5], off
	s_branch .LBB170_24
.LBB170_29:
	s_endpgm
	.section	.rodata,"a",@progbits
	.p2align	6, 0x0
	.amdhsa_kernel _ZN9rocsparseL19gtsv_LBM_rhs_kernelILj256ELj256ELj8EdEEviiiPKT2_S3_S3_PS1_S3_PKi
		.amdhsa_group_segment_fixed_size 0
		.amdhsa_private_segment_fixed_size 0
		.amdhsa_kernarg_size 64
		.amdhsa_user_sgpr_count 2
		.amdhsa_user_sgpr_dispatch_ptr 0
		.amdhsa_user_sgpr_queue_ptr 0
		.amdhsa_user_sgpr_kernarg_segment_ptr 1
		.amdhsa_user_sgpr_dispatch_id 0
		.amdhsa_user_sgpr_kernarg_preload_length 0
		.amdhsa_user_sgpr_kernarg_preload_offset 0
		.amdhsa_user_sgpr_private_segment_size 0
		.amdhsa_uses_dynamic_stack 0
		.amdhsa_enable_private_segment 0
		.amdhsa_system_sgpr_workgroup_id_x 1
		.amdhsa_system_sgpr_workgroup_id_y 1
		.amdhsa_system_sgpr_workgroup_id_z 0
		.amdhsa_system_sgpr_workgroup_info 0
		.amdhsa_system_vgpr_workitem_id 0
		.amdhsa_next_free_vgpr 90
		.amdhsa_next_free_sgpr 37
		.amdhsa_accum_offset 92
		.amdhsa_reserve_vcc 1
		.amdhsa_float_round_mode_32 0
		.amdhsa_float_round_mode_16_64 0
		.amdhsa_float_denorm_mode_32 3
		.amdhsa_float_denorm_mode_16_64 3
		.amdhsa_dx10_clamp 1
		.amdhsa_ieee_mode 1
		.amdhsa_fp16_overflow 0
		.amdhsa_tg_split 0
		.amdhsa_exception_fp_ieee_invalid_op 0
		.amdhsa_exception_fp_denorm_src 0
		.amdhsa_exception_fp_ieee_div_zero 0
		.amdhsa_exception_fp_ieee_overflow 0
		.amdhsa_exception_fp_ieee_underflow 0
		.amdhsa_exception_fp_ieee_inexact 0
		.amdhsa_exception_int_div_zero 0
	.end_amdhsa_kernel
	.section	.text._ZN9rocsparseL19gtsv_LBM_rhs_kernelILj256ELj256ELj8EdEEviiiPKT2_S3_S3_PS1_S3_PKi,"axG",@progbits,_ZN9rocsparseL19gtsv_LBM_rhs_kernelILj256ELj256ELj8EdEEviiiPKT2_S3_S3_PS1_S3_PKi,comdat
.Lfunc_end170:
	.size	_ZN9rocsparseL19gtsv_LBM_rhs_kernelILj256ELj256ELj8EdEEviiiPKT2_S3_S3_PS1_S3_PKi, .Lfunc_end170-_ZN9rocsparseL19gtsv_LBM_rhs_kernelILj256ELj256ELj8EdEEviiiPKT2_S3_S3_PS1_S3_PKi
                                        ; -- End function
	.set _ZN9rocsparseL19gtsv_LBM_rhs_kernelILj256ELj256ELj8EdEEviiiPKT2_S3_S3_PS1_S3_PKi.num_vgpr, 90
	.set _ZN9rocsparseL19gtsv_LBM_rhs_kernelILj256ELj256ELj8EdEEviiiPKT2_S3_S3_PS1_S3_PKi.num_agpr, 0
	.set _ZN9rocsparseL19gtsv_LBM_rhs_kernelILj256ELj256ELj8EdEEviiiPKT2_S3_S3_PS1_S3_PKi.numbered_sgpr, 37
	.set _ZN9rocsparseL19gtsv_LBM_rhs_kernelILj256ELj256ELj8EdEEviiiPKT2_S3_S3_PS1_S3_PKi.num_named_barrier, 0
	.set _ZN9rocsparseL19gtsv_LBM_rhs_kernelILj256ELj256ELj8EdEEviiiPKT2_S3_S3_PS1_S3_PKi.private_seg_size, 0
	.set _ZN9rocsparseL19gtsv_LBM_rhs_kernelILj256ELj256ELj8EdEEviiiPKT2_S3_S3_PS1_S3_PKi.uses_vcc, 1
	.set _ZN9rocsparseL19gtsv_LBM_rhs_kernelILj256ELj256ELj8EdEEviiiPKT2_S3_S3_PS1_S3_PKi.uses_flat_scratch, 0
	.set _ZN9rocsparseL19gtsv_LBM_rhs_kernelILj256ELj256ELj8EdEEviiiPKT2_S3_S3_PS1_S3_PKi.has_dyn_sized_stack, 0
	.set _ZN9rocsparseL19gtsv_LBM_rhs_kernelILj256ELj256ELj8EdEEviiiPKT2_S3_S3_PS1_S3_PKi.has_recursion, 0
	.set _ZN9rocsparseL19gtsv_LBM_rhs_kernelILj256ELj256ELj8EdEEviiiPKT2_S3_S3_PS1_S3_PKi.has_indirect_call, 0
	.section	.AMDGPU.csdata,"",@progbits
; Kernel info:
; codeLenInByte = 4152
; TotalNumSgprs: 43
; NumVgprs: 90
; NumAgprs: 0
; TotalNumVgprs: 90
; ScratchSize: 0
; MemoryBound: 0
; FloatMode: 240
; IeeeMode: 1
; LDSByteSize: 0 bytes/workgroup (compile time only)
; SGPRBlocks: 5
; VGPRBlocks: 11
; NumSGPRsForWavesPerEU: 43
; NumVGPRsForWavesPerEU: 90
; AccumOffset: 92
; Occupancy: 5
; WaveLimiterHint : 0
; COMPUTE_PGM_RSRC2:SCRATCH_EN: 0
; COMPUTE_PGM_RSRC2:USER_SGPR: 2
; COMPUTE_PGM_RSRC2:TRAP_HANDLER: 0
; COMPUTE_PGM_RSRC2:TGID_X_EN: 1
; COMPUTE_PGM_RSRC2:TGID_Y_EN: 1
; COMPUTE_PGM_RSRC2:TGID_Z_EN: 0
; COMPUTE_PGM_RSRC2:TIDIG_COMP_CNT: 0
; COMPUTE_PGM_RSRC3_GFX90A:ACCUM_OFFSET: 22
; COMPUTE_PGM_RSRC3_GFX90A:TG_SPLIT: 0
	.section	.text._ZN9rocsparseL19gtsv_LBM_rhs_kernelILj256ELj256ELj4EdEEviiiPKT2_S3_S3_PS1_S3_PKi,"axG",@progbits,_ZN9rocsparseL19gtsv_LBM_rhs_kernelILj256ELj256ELj4EdEEviiiPKT2_S3_S3_PS1_S3_PKi,comdat
	.globl	_ZN9rocsparseL19gtsv_LBM_rhs_kernelILj256ELj256ELj4EdEEviiiPKT2_S3_S3_PS1_S3_PKi ; -- Begin function _ZN9rocsparseL19gtsv_LBM_rhs_kernelILj256ELj256ELj4EdEEviiiPKT2_S3_S3_PS1_S3_PKi
	.p2align	8
	.type	_ZN9rocsparseL19gtsv_LBM_rhs_kernelILj256ELj256ELj4EdEEviiiPKT2_S3_S3_PS1_S3_PKi,@function
_ZN9rocsparseL19gtsv_LBM_rhs_kernelILj256ELj256ELj4EdEEviiiPKT2_S3_S3_PS1_S3_PKi: ; @_ZN9rocsparseL19gtsv_LBM_rhs_kernelILj256ELj256ELj4EdEEviiiPKT2_S3_S3_PS1_S3_PKi
; %bb.0:
	s_load_dword s23, s[0:1], 0x0
	v_lshl_or_b32 v0, s2, 8, v0
	s_waitcnt lgkmcnt(0)
	s_lshr_b32 s22, s23, 8
	v_cmp_gt_i32_e32 vcc, s22, v0
	s_and_saveexec_b64 s[4:5], vcc
	s_cbranch_execz .LBB171_29
; %bb.1:
	s_load_dwordx4 s[8:11], s[0:1], 0x28
	s_load_dwordx2 s[6:7], s[0:1], 0x38
	s_cmp_lt_i32 s23, 1
	v_add_u32_e32 v42, s22, v0
	s_mul_i32 s24, s3, s23
	s_cbranch_scc1 .LBB171_21
; %bb.2:
	s_load_dwordx4 s[12:15], s[0:1], 0x10
	s_load_dwordx2 s[16:17], s[0:1], 0x20
	v_ashrrev_i32_e32 v1, 31, v0
	s_lshl_b32 s28, s24, 2
	s_add_i32 s29, s28, s23
	s_waitcnt lgkmcnt(0)
	v_lshl_add_u64 v[2:3], v[0:1], 3, s[14:15]
	global_load_dwordx2 v[4:5], v[2:3], off
	s_add_i32 s30, s29, s23
	s_mul_i32 s25, s22, 0xff
	s_mul_i32 s26, s22, 0xfe
	s_lshl_b32 s27, s22, 1
	v_add_u32_e32 v43, s22, v42
	s_add_i32 s31, s30, s23
	v_mov_b32_e32 v3, 0
	s_mov_b64 s[18:19], 0
	v_mov_b32_e32 v1, 0
	s_branch .LBB171_5
.LBB171_3:                              ;   in Loop: Header=BB171_5 Depth=1
	s_or_b64 exec, exec, s[4:5]
	v_fma_f64 v[4:5], -v[4:5], v[14:15], v[8:9]
	v_mov_b32_e32 v2, s22
.LBB171_4:                              ;   in Loop: Header=BB171_5 Depth=1
	s_or_b64 exec, exec, s[2:3]
	v_add_u32_e32 v1, v2, v1
	v_cmp_le_i32_e32 vcc, s23, v1
	s_or_b64 s[18:19], vcc, s[18:19]
	s_andn2_b64 exec, exec, s[18:19]
	s_cbranch_execz .LBB171_20
.LBB171_5:                              ; =>This Inner Loop Header: Depth=1
	v_add_u32_e32 v14, v1, v0
	v_ashrrev_i32_e32 v15, 31, v14
	v_lshl_add_u64 v[6:7], v[14:15], 3, s[16:17]
	global_load_dwordx2 v[20:21], v[6:7], off
	v_cmp_gt_u32_e64 s[0:1], s25, v1
	v_mov_b64_e32 v[8:9], 0
	v_mov_b64_e32 v[6:7], 0
	s_and_saveexec_b64 s[2:3], s[0:1]
	s_cbranch_execz .LBB171_7
; %bb.6:                                ;   in Loop: Header=BB171_5 Depth=1
	v_add_u32_e32 v6, v42, v1
	v_ashrrev_i32_e32 v7, 31, v6
	v_lshl_add_u64 v[6:7], v[6:7], 3, s[12:13]
	global_load_dwordx2 v[6:7], v[6:7], off
.LBB171_7:                              ;   in Loop: Header=BB171_5 Depth=1
	s_or_b64 exec, exec, s[2:3]
	s_and_saveexec_b64 s[2:3], s[0:1]
	s_cbranch_execz .LBB171_9
; %bb.8:                                ;   in Loop: Header=BB171_5 Depth=1
	v_add_u32_e32 v8, v42, v1
	v_ashrrev_i32_e32 v9, 31, v8
	v_lshl_add_u64 v[8:9], v[8:9], 3, s[14:15]
	global_load_dwordx2 v[8:9], v[8:9], off
.LBB171_9:                              ;   in Loop: Header=BB171_5 Depth=1
	s_or_b64 exec, exec, s[2:3]
	v_mov_b64_e32 v[12:13], 0
	v_mov_b64_e32 v[10:11], 0
	s_and_saveexec_b64 s[2:3], s[0:1]
	s_cbranch_execz .LBB171_11
; %bb.10:                               ;   in Loop: Header=BB171_5 Depth=1
	v_add_u32_e32 v10, v42, v1
	v_ashrrev_i32_e32 v11, 31, v10
	v_lshl_add_u64 v[10:11], v[10:11], 3, s[16:17]
	global_load_dwordx2 v[10:11], v[10:11], off
.LBB171_11:                             ;   in Loop: Header=BB171_5 Depth=1
	s_or_b64 exec, exec, s[2:3]
	v_cmp_gt_u32_e64 s[2:3], s26, v1
	s_and_saveexec_b64 s[4:5], s[2:3]
	s_cbranch_execz .LBB171_13
; %bb.12:                               ;   in Loop: Header=BB171_5 Depth=1
	v_add_u32_e32 v12, v43, v1
	v_ashrrev_i32_e32 v13, 31, v12
	v_lshl_add_u64 v[12:13], v[12:13], 3, s[12:13]
	global_load_dwordx2 v[12:13], v[12:13], off
.LBB171_13:                             ;   in Loop: Header=BB171_5 Depth=1
	s_or_b64 exec, exec, s[4:5]
	v_add_u32_e32 v2, s28, v14
	v_lshl_add_u64 v[26:27], v[2:3], 3, s[8:9]
	v_add_u32_e32 v2, s29, v14
	v_lshl_add_u64 v[28:29], v[2:3], 3, s[8:9]
	v_add_u32_e32 v2, s30, v14
	s_waitcnt vmcnt(4)
	v_lshl_add_u64 v[16:17], v[14:15], 2, s[6:7]
	v_lshl_add_u64 v[30:31], v[2:3], 3, s[8:9]
	v_add_u32_e32 v2, s31, v14
	global_load_dword v15, v[16:17], off
	v_lshl_add_u64 v[34:35], v[2:3], 3, s[8:9]
	global_load_dwordx2 v[16:17], v[26:27], off
	global_load_dwordx2 v[18:19], v[28:29], off
	;; [unrolled: 1-line block ×4, first 2 shown]
	v_cmp_ne_u32_e64 s[4:5], s25, v1
	s_waitcnt vmcnt(4)
	v_cmp_ne_u32_e32 vcc, 1, v15
	s_and_b64 s[4:5], s[4:5], vcc
	v_mul_f64 v[14:15], v[20:21], v[6:7]
	s_and_saveexec_b64 s[20:21], s[4:5]
	s_xor_b64 s[4:5], exec, s[20:21]
	s_cbranch_execz .LBB171_17
; %bb.14:                               ;   in Loop: Header=BB171_5 Depth=1
	v_fma_f64 v[14:15], v[4:5], v[8:9], -v[14:15]
	v_div_scale_f64 v[22:23], s[20:21], v[14:15], v[14:15], 1.0
	v_rcp_f64_e32 v[24:25], v[22:23]
	s_nop 0
	v_fma_f64 v[38:39], -v[22:23], v[24:25], 1.0
	v_fmac_f64_e32 v[24:25], v[24:25], v[38:39]
	v_fma_f64 v[38:39], -v[22:23], v[24:25], 1.0
	v_fmac_f64_e32 v[24:25], v[24:25], v[38:39]
	v_div_scale_f64 v[38:39], vcc, 1.0, v[14:15], 1.0
	v_mul_f64 v[40:41], v[38:39], v[24:25]
	v_fma_f64 v[22:23], -v[22:23], v[40:41], v[38:39]
	s_nop 1
	v_div_fmas_f64 v[22:23], v[22:23], v[24:25], v[40:41]
	v_div_fixup_f64 v[14:15], v[22:23], v[14:15], 1.0
	s_waitcnt vmcnt(2)
	v_mul_f64 v[24:25], v[14:15], v[18:19]
	s_waitcnt vmcnt(0)
	v_mul_f64 v[18:19], v[14:15], v[36:37]
	v_add_u32_e32 v36, v42, v1
	v_add_u32_e32 v2, s28, v36
	v_lshl_add_u64 v[44:45], v[2:3], 3, s[8:9]
	v_mul_f64 v[22:23], v[14:15], v[16:17]
	v_mul_f64 v[16:17], v[14:15], v[32:33]
	global_load_dwordx2 v[32:33], v[44:45], off
	v_add_u32_e32 v2, s29, v36
	v_lshl_add_u64 v[46:47], v[2:3], 3, s[8:9]
	v_add_u32_e32 v2, s30, v36
	v_lshl_add_u64 v[48:49], v[2:3], 3, s[8:9]
	;; [unrolled: 2-line block ×3, first 2 shown]
	global_load_dwordx2 v[36:37], v[50:51], off
	s_waitcnt vmcnt(1)
	v_mul_f64 v[38:39], v[14:15], v[32:33]
	global_load_dwordx2 v[32:33], v[46:47], off
	v_mul_f64 v[52:53], v[20:21], v[38:39]
	v_fma_f64 v[52:53], v[8:9], v[22:23], -v[52:53]
	s_waitcnt vmcnt(1)
	v_mul_f64 v[36:37], v[14:15], v[36:37]
	s_waitcnt vmcnt(0)
	v_mul_f64 v[40:41], v[14:15], v[32:33]
	global_load_dwordx2 v[32:33], v[48:49], off
	s_waitcnt vmcnt(0)
	v_mul_f64 v[32:33], v[14:15], v[32:33]
	global_store_dwordx2 v[26:27], v[52:53], off
	v_mul_f64 v[26:27], v[20:21], v[40:41]
	v_fma_f64 v[26:27], v[8:9], v[24:25], -v[26:27]
	global_store_dwordx2 v[28:29], v[26:27], off
	v_mul_f64 v[26:27], v[20:21], v[32:33]
	v_mul_f64 v[20:21], v[20:21], v[36:37]
	v_fma_f64 v[26:27], v[8:9], v[16:17], -v[26:27]
	v_fma_f64 v[8:9], v[8:9], v[18:19], -v[20:21]
	global_store_dwordx2 v[30:31], v[26:27], off
	global_store_dwordx2 v[34:35], v[8:9], off
	v_mul_f64 v[8:9], v[6:7], v[22:23]
	v_fma_f64 v[8:9], v[4:5], v[38:39], -v[8:9]
	global_store_dwordx2 v[44:45], v[8:9], off
	v_mul_f64 v[8:9], v[6:7], v[24:25]
	v_fma_f64 v[8:9], v[4:5], v[40:41], -v[8:9]
	global_store_dwordx2 v[46:47], v[8:9], off
	v_mul_f64 v[8:9], v[6:7], v[16:17]
	v_fma_f64 v[8:9], v[4:5], v[32:33], -v[8:9]
	global_store_dwordx2 v[48:49], v[8:9], off
	v_mul_f64 v[8:9], v[6:7], v[18:19]
	v_fma_f64 v[8:9], v[4:5], v[36:37], -v[8:9]
	global_store_dwordx2 v[50:51], v[8:9], off
	v_mov_b64_e32 v[8:9], 0
	s_and_saveexec_b64 s[20:21], s[2:3]
	s_cbranch_execz .LBB171_16
; %bb.15:                               ;   in Loop: Header=BB171_5 Depth=1
	v_add_u32_e32 v8, v43, v1
	v_add_u32_e32 v2, s28, v8
	v_lshl_add_u64 v[20:21], v[2:3], 3, s[8:9]
	v_add_u32_e32 v2, s29, v8
	global_load_dwordx2 v[26:27], v[20:21], off
	v_lshl_add_u64 v[28:29], v[2:3], 3, s[8:9]
	global_load_dwordx2 v[30:31], v[28:29], off
	v_mul_f64 v[4:5], v[4:5], v[12:13]
	v_mul_f64 v[6:7], v[6:7], v[12:13]
	;; [unrolled: 1-line block ×4, first 2 shown]
	v_fma_f64 v[12:13], v[6:7], v[22:23], -v[12:13]
	v_fma_f64 v[22:23], v[6:7], v[24:25], -v[34:35]
	v_add_u32_e32 v2, s30, v8
	v_ashrrev_i32_e32 v9, 31, v8
	v_lshl_add_u64 v[24:25], v[2:3], 3, s[8:9]
	v_add_u32_e32 v2, s31, v8
	v_lshl_add_u64 v[34:35], v[2:3], 3, s[8:9]
	v_lshl_add_u64 v[8:9], v[8:9], 3, s[14:15]
	global_load_dwordx2 v[8:9], v[8:9], off
	s_waitcnt vmcnt(2)
	v_add_f64 v[12:13], v[12:13], v[26:27]
	global_store_dwordx2 v[20:21], v[12:13], off
	s_waitcnt vmcnt(2)
	v_add_f64 v[12:13], v[22:23], v[30:31]
	global_store_dwordx2 v[28:29], v[12:13], off
	global_load_dwordx2 v[20:21], v[24:25], off
	v_mul_f64 v[22:23], v[4:5], v[32:33]
	global_load_dwordx2 v[12:13], v[34:35], off
	v_mul_f64 v[26:27], v[4:5], v[36:37]
	v_mul_f64 v[4:5], v[10:11], v[4:5]
	v_fma_f64 v[10:11], v[6:7], v[16:17], -v[22:23]
	v_fma_f64 v[6:7], v[6:7], v[18:19], -v[26:27]
	s_waitcnt vmcnt(4)
	v_fma_f64 v[8:9], -v[14:15], v[4:5], v[8:9]
	s_waitcnt vmcnt(1)
	v_add_f64 v[10:11], v[10:11], v[20:21]
	global_store_dwordx2 v[24:25], v[10:11], off
	s_waitcnt vmcnt(1)
	v_add_f64 v[6:7], v[6:7], v[12:13]
	global_store_dwordx2 v[34:35], v[6:7], off
.LBB171_16:                             ;   in Loop: Header=BB171_5 Depth=1
	s_or_b64 exec, exec, s[20:21]
	v_mov_b64_e32 v[4:5], v[8:9]
                                        ; implicit-def: $vgpr6_vgpr7
                                        ; implicit-def: $vgpr8_vgpr9
                                        ; implicit-def: $vgpr14_vgpr15
                                        ; implicit-def: $vgpr26_vgpr27
                                        ; implicit-def: $vgpr16_vgpr17
                                        ; implicit-def: $vgpr28_vgpr29
                                        ; implicit-def: $vgpr18_vgpr19
                                        ; implicit-def: $vgpr30_vgpr31
                                        ; implicit-def: $vgpr32_vgpr33
                                        ; implicit-def: $vgpr34_vgpr35
                                        ; implicit-def: $vgpr36_vgpr37
.LBB171_17:                             ;   in Loop: Header=BB171_5 Depth=1
	s_or_saveexec_b64 s[2:3], s[4:5]
	v_mov_b32_e32 v2, s27
	s_xor_b64 exec, exec, s[2:3]
	s_cbranch_execz .LBB171_4
; %bb.18:                               ;   in Loop: Header=BB171_5 Depth=1
	v_div_scale_f64 v[10:11], s[4:5], v[4:5], v[4:5], 1.0
	v_rcp_f64_e32 v[12:13], v[10:11]
	v_div_scale_f64 v[20:21], vcc, 1.0, v[4:5], 1.0
	v_fma_f64 v[22:23], -v[10:11], v[12:13], 1.0
	v_fmac_f64_e32 v[12:13], v[12:13], v[22:23]
	v_fma_f64 v[22:23], -v[10:11], v[12:13], 1.0
	v_fmac_f64_e32 v[12:13], v[12:13], v[22:23]
	v_mul_f64 v[22:23], v[20:21], v[12:13]
	v_fma_f64 v[10:11], -v[10:11], v[22:23], v[20:21]
	v_div_fmas_f64 v[10:11], v[10:11], v[12:13], v[22:23]
	v_div_fixup_f64 v[4:5], v[10:11], v[4:5], 1.0
	s_waitcnt vmcnt(3)
	v_mul_f64 v[20:21], v[4:5], v[16:17]
	s_waitcnt vmcnt(2)
	v_mul_f64 v[16:17], v[4:5], v[18:19]
	;; [unrolled: 2-line block ×4, first 2 shown]
	global_store_dwordx2 v[26:27], v[20:21], off
	global_store_dwordx2 v[28:29], v[16:17], off
	global_store_dwordx2 v[30:31], v[12:13], off
	global_store_dwordx2 v[34:35], v[10:11], off
	s_and_saveexec_b64 s[4:5], s[0:1]
	s_cbranch_execz .LBB171_3
; %bb.19:                               ;   in Loop: Header=BB171_5 Depth=1
	v_add_u32_e32 v30, v42, v1
	v_add_u32_e32 v2, s28, v30
	v_lshl_add_u64 v[18:19], v[2:3], 3, s[8:9]
	v_add_u32_e32 v2, s29, v30
	v_lshl_add_u64 v[24:25], v[2:3], 3, s[8:9]
	global_load_dwordx2 v[22:23], v[18:19], off
	global_load_dwordx2 v[26:27], v[24:25], off
	v_add_u32_e32 v2, s30, v30
	v_lshl_add_u64 v[28:29], v[2:3], 3, s[8:9]
	v_add_u32_e32 v2, s31, v30
	v_lshl_add_u64 v[30:31], v[2:3], 3, s[8:9]
	s_waitcnt vmcnt(1)
	v_fma_f64 v[20:21], -v[6:7], v[20:21], v[22:23]
	s_waitcnt vmcnt(0)
	v_fma_f64 v[16:17], -v[6:7], v[16:17], v[26:27]
	global_store_dwordx2 v[18:19], v[20:21], off
	global_store_dwordx2 v[24:25], v[16:17], off
	global_load_dwordx2 v[18:19], v[28:29], off
	s_nop 0
	global_load_dwordx2 v[16:17], v[30:31], off
	s_waitcnt vmcnt(1)
	v_fma_f64 v[12:13], -v[6:7], v[12:13], v[18:19]
	global_store_dwordx2 v[28:29], v[12:13], off
	s_waitcnt vmcnt(1)
	v_fma_f64 v[6:7], -v[6:7], v[10:11], v[16:17]
	global_store_dwordx2 v[30:31], v[6:7], off
	s_branch .LBB171_3
.LBB171_20:
	s_or_b64 exec, exec, s[18:19]
	s_branch .LBB171_22
.LBB171_21:
	v_mov_b32_e32 v1, 0
.LBB171_22:
	v_subrev_u32_e32 v1, s22, v1
	v_add_u32_e32 v2, v1, v0
	v_ashrrev_i32_e32 v3, 31, v2
	s_waitcnt lgkmcnt(0)
	v_lshl_add_u64 v[2:3], v[2:3], 2, s[6:7]
	buffer_wbl2 sc1
	s_waitcnt vmcnt(0)
	buffer_inv sc1
	global_load_dword v2, v[2:3], off
	s_waitcnt vmcnt(0)
	v_mul_lo_u32 v2, v2, s22
	v_sub_u32_e32 v1, v1, v2
	v_cmp_lt_i32_e32 vcc, -1, v1
	s_and_b64 exec, exec, vcc
	s_cbranch_execz .LBB171_29
; %bb.23:
	s_lshl_b32 s4, s24, 2
	s_add_i32 s5, s4, s23
	s_add_i32 s12, s5, s23
	;; [unrolled: 1-line block ×3, first 2 shown]
	s_lshl_b32 s14, s22, 1
	s_mov_b64 s[0:1], 0
	v_mov_b32_e32 v3, 0
	s_branch .LBB171_25
.LBB171_24:                             ;   in Loop: Header=BB171_25 Depth=1
	s_or_b64 exec, exec, s[2:3]
	v_sub_u32_e32 v1, v1, v2
	v_cmp_gt_i32_e32 vcc, 0, v1
	s_or_b64 s[0:1], vcc, s[0:1]
	s_andn2_b64 exec, exec, s[0:1]
	s_cbranch_execz .LBB171_29
.LBB171_25:                             ; =>This Inner Loop Header: Depth=1
	v_add_u32_e32 v6, v1, v0
	v_ashrrev_i32_e32 v7, 31, v6
	s_waitcnt vmcnt(0)
	v_lshl_add_u64 v[4:5], v[6:7], 2, s[6:7]
	global_load_dword v2, v[4:5], off
	v_lshl_add_u64 v[4:5], v[6:7], 3, s[10:11]
	global_load_dwordx2 v[4:5], v[4:5], off
	s_waitcnt vmcnt(1)
	v_cmp_ne_u32_e32 vcc, 1, v2
	s_and_saveexec_b64 s[2:3], vcc
	s_xor_b64 s[2:3], exec, s[2:3]
	s_cbranch_execz .LBB171_27
; %bb.26:                               ;   in Loop: Header=BB171_25 Depth=1
	v_add_u32_e32 v7, v42, v1
	v_add_u32_e32 v2, s4, v7
	v_lshl_add_u64 v[8:9], v[2:3], 3, s[8:9]
	v_add_u32_e32 v2, s5, v7
	v_lshl_add_u64 v[10:11], v[2:3], 3, s[8:9]
	;; [unrolled: 2-line block ×5, first 2 shown]
	global_load_dwordx2 v[18:19], v[16:17], off
	global_load_dwordx2 v[20:21], v[8:9], off
	;; [unrolled: 1-line block ×5, first 2 shown]
	v_add_u32_e32 v2, s5, v6
	v_lshl_add_u64 v[8:9], v[2:3], 3, s[8:9]
	v_add_u32_e32 v2, s12, v6
	v_lshl_add_u64 v[12:13], v[2:3], 3, s[8:9]
	;; [unrolled: 2-line block ×3, first 2 shown]
	v_subrev_u32_e32 v2, s22, v1
	s_waitcnt vmcnt(3)
	v_fma_f64 v[10:11], -v[4:5], v[20:21], v[18:19]
	global_store_dwordx2 v[16:17], v[10:11], off
	global_load_dwordx2 v[10:11], v[8:9], off
	s_waitcnt vmcnt(0)
	v_fma_f64 v[10:11], -v[4:5], v[22:23], v[10:11]
	global_store_dwordx2 v[8:9], v[10:11], off
	global_load_dwordx2 v[8:9], v[12:13], off
	v_add_u32_e32 v10, v2, v0
	v_ashrrev_i32_e32 v11, 31, v10
	v_add_u32_e32 v2, s4, v10
	v_lshl_add_u64 v[14:15], v[2:3], 3, s[8:9]
	v_add_u32_e32 v2, s5, v10
	s_waitcnt vmcnt(0)
	v_fma_f64 v[8:9], -v[4:5], v[24:25], v[8:9]
	global_store_dwordx2 v[12:13], v[8:9], off
	global_load_dwordx2 v[8:9], v[6:7], off
	v_lshl_add_u64 v[12:13], v[10:11], 3, s[10:11]
	global_load_dwordx2 v[12:13], v[12:13], off
	s_waitcnt vmcnt(1)
	v_fma_f64 v[4:5], -v[4:5], v[26:27], v[8:9]
	global_store_dwordx2 v[6:7], v[4:5], off
	global_load_dwordx2 v[4:5], v[14:15], off
	v_lshl_add_u64 v[6:7], v[2:3], 3, s[8:9]
	v_add_u32_e32 v2, s12, v10
	v_lshl_add_u64 v[8:9], v[2:3], 3, s[8:9]
	v_add_u32_e32 v2, s13, v10
	s_waitcnt vmcnt(0)
	v_fma_f64 v[4:5], -v[12:13], v[20:21], v[4:5]
	global_store_dwordx2 v[14:15], v[4:5], off
	global_load_dwordx2 v[4:5], v[6:7], off
	s_waitcnt vmcnt(0)
	v_fma_f64 v[4:5], -v[12:13], v[22:23], v[4:5]
	global_store_dwordx2 v[6:7], v[4:5], off
	global_load_dwordx2 v[4:5], v[8:9], off
	s_waitcnt vmcnt(0)
	v_fma_f64 v[4:5], -v[12:13], v[24:25], v[4:5]
	global_store_dwordx2 v[8:9], v[4:5], off
	v_lshl_add_u64 v[4:5], v[2:3], 3, s[8:9]
	global_load_dwordx2 v[6:7], v[4:5], off
	s_waitcnt vmcnt(0)
	v_fma_f64 v[6:7], -v[12:13], v[26:27], v[6:7]
	global_store_dwordx2 v[4:5], v[6:7], off
                                        ; implicit-def: $vgpr6
                                        ; implicit-def: $vgpr4_vgpr5
.LBB171_27:                             ;   in Loop: Header=BB171_25 Depth=1
	s_or_saveexec_b64 s[2:3], s[2:3]
	v_mov_b32_e32 v2, s14
	s_xor_b64 exec, exec, s[2:3]
	s_cbranch_execz .LBB171_24
; %bb.28:                               ;   in Loop: Header=BB171_25 Depth=1
	v_add_u32_e32 v7, v42, v1
	v_add_u32_e32 v2, s4, v7
	v_lshl_add_u64 v[8:9], v[2:3], 3, s[8:9]
	v_add_u32_e32 v2, s4, v6
	v_lshl_add_u64 v[10:11], v[2:3], 3, s[8:9]
	global_load_dwordx2 v[12:13], v[8:9], off
	global_load_dwordx2 v[14:15], v[10:11], off
	v_add_u32_e32 v2, s5, v7
	v_lshl_add_u64 v[8:9], v[2:3], 3, s[8:9]
	v_add_u32_e32 v2, s5, v6
	v_lshl_add_u64 v[16:17], v[2:3], 3, s[8:9]
	v_add_u32_e32 v2, s12, v7
	s_waitcnt vmcnt(0)
	v_fma_f64 v[12:13], -v[4:5], v[12:13], v[14:15]
	global_store_dwordx2 v[10:11], v[12:13], off
	global_load_dwordx2 v[10:11], v[8:9], off
	s_nop 0
	global_load_dwordx2 v[12:13], v[16:17], off
	v_lshl_add_u64 v[8:9], v[2:3], 3, s[8:9]
	v_add_u32_e32 v2, s12, v6
	v_lshl_add_u64 v[14:15], v[2:3], 3, s[8:9]
	v_add_u32_e32 v2, s13, v7
	s_waitcnt vmcnt(0)
	v_fma_f64 v[10:11], -v[4:5], v[10:11], v[12:13]
	global_store_dwordx2 v[16:17], v[10:11], off
	global_load_dwordx2 v[10:11], v[8:9], off
	s_nop 0
	global_load_dwordx2 v[12:13], v[14:15], off
	v_lshl_add_u64 v[8:9], v[2:3], 3, s[8:9]
	v_add_u32_e32 v2, s13, v6
	v_lshl_add_u64 v[6:7], v[2:3], 3, s[8:9]
	v_mov_b32_e32 v2, s22
	s_waitcnt vmcnt(0)
	v_fma_f64 v[10:11], -v[4:5], v[10:11], v[12:13]
	global_store_dwordx2 v[14:15], v[10:11], off
	global_load_dwordx2 v[10:11], v[8:9], off
	s_nop 0
	global_load_dwordx2 v[12:13], v[6:7], off
	s_waitcnt vmcnt(0)
	v_fma_f64 v[4:5], -v[4:5], v[10:11], v[12:13]
	global_store_dwordx2 v[6:7], v[4:5], off
	s_branch .LBB171_24
.LBB171_29:
	s_endpgm
	.section	.rodata,"a",@progbits
	.p2align	6, 0x0
	.amdhsa_kernel _ZN9rocsparseL19gtsv_LBM_rhs_kernelILj256ELj256ELj4EdEEviiiPKT2_S3_S3_PS1_S3_PKi
		.amdhsa_group_segment_fixed_size 0
		.amdhsa_private_segment_fixed_size 0
		.amdhsa_kernarg_size 64
		.amdhsa_user_sgpr_count 2
		.amdhsa_user_sgpr_dispatch_ptr 0
		.amdhsa_user_sgpr_queue_ptr 0
		.amdhsa_user_sgpr_kernarg_segment_ptr 1
		.amdhsa_user_sgpr_dispatch_id 0
		.amdhsa_user_sgpr_kernarg_preload_length 0
		.amdhsa_user_sgpr_kernarg_preload_offset 0
		.amdhsa_user_sgpr_private_segment_size 0
		.amdhsa_uses_dynamic_stack 0
		.amdhsa_enable_private_segment 0
		.amdhsa_system_sgpr_workgroup_id_x 1
		.amdhsa_system_sgpr_workgroup_id_y 1
		.amdhsa_system_sgpr_workgroup_id_z 0
		.amdhsa_system_sgpr_workgroup_info 0
		.amdhsa_system_vgpr_workitem_id 0
		.amdhsa_next_free_vgpr 54
		.amdhsa_next_free_sgpr 32
		.amdhsa_accum_offset 56
		.amdhsa_reserve_vcc 1
		.amdhsa_float_round_mode_32 0
		.amdhsa_float_round_mode_16_64 0
		.amdhsa_float_denorm_mode_32 3
		.amdhsa_float_denorm_mode_16_64 3
		.amdhsa_dx10_clamp 1
		.amdhsa_ieee_mode 1
		.amdhsa_fp16_overflow 0
		.amdhsa_tg_split 0
		.amdhsa_exception_fp_ieee_invalid_op 0
		.amdhsa_exception_fp_denorm_src 0
		.amdhsa_exception_fp_ieee_div_zero 0
		.amdhsa_exception_fp_ieee_overflow 0
		.amdhsa_exception_fp_ieee_underflow 0
		.amdhsa_exception_fp_ieee_inexact 0
		.amdhsa_exception_int_div_zero 0
	.end_amdhsa_kernel
	.section	.text._ZN9rocsparseL19gtsv_LBM_rhs_kernelILj256ELj256ELj4EdEEviiiPKT2_S3_S3_PS1_S3_PKi,"axG",@progbits,_ZN9rocsparseL19gtsv_LBM_rhs_kernelILj256ELj256ELj4EdEEviiiPKT2_S3_S3_PS1_S3_PKi,comdat
.Lfunc_end171:
	.size	_ZN9rocsparseL19gtsv_LBM_rhs_kernelILj256ELj256ELj4EdEEviiiPKT2_S3_S3_PS1_S3_PKi, .Lfunc_end171-_ZN9rocsparseL19gtsv_LBM_rhs_kernelILj256ELj256ELj4EdEEviiiPKT2_S3_S3_PS1_S3_PKi
                                        ; -- End function
	.set _ZN9rocsparseL19gtsv_LBM_rhs_kernelILj256ELj256ELj4EdEEviiiPKT2_S3_S3_PS1_S3_PKi.num_vgpr, 54
	.set _ZN9rocsparseL19gtsv_LBM_rhs_kernelILj256ELj256ELj4EdEEviiiPKT2_S3_S3_PS1_S3_PKi.num_agpr, 0
	.set _ZN9rocsparseL19gtsv_LBM_rhs_kernelILj256ELj256ELj4EdEEviiiPKT2_S3_S3_PS1_S3_PKi.numbered_sgpr, 32
	.set _ZN9rocsparseL19gtsv_LBM_rhs_kernelILj256ELj256ELj4EdEEviiiPKT2_S3_S3_PS1_S3_PKi.num_named_barrier, 0
	.set _ZN9rocsparseL19gtsv_LBM_rhs_kernelILj256ELj256ELj4EdEEviiiPKT2_S3_S3_PS1_S3_PKi.private_seg_size, 0
	.set _ZN9rocsparseL19gtsv_LBM_rhs_kernelILj256ELj256ELj4EdEEviiiPKT2_S3_S3_PS1_S3_PKi.uses_vcc, 1
	.set _ZN9rocsparseL19gtsv_LBM_rhs_kernelILj256ELj256ELj4EdEEviiiPKT2_S3_S3_PS1_S3_PKi.uses_flat_scratch, 0
	.set _ZN9rocsparseL19gtsv_LBM_rhs_kernelILj256ELj256ELj4EdEEviiiPKT2_S3_S3_PS1_S3_PKi.has_dyn_sized_stack, 0
	.set _ZN9rocsparseL19gtsv_LBM_rhs_kernelILj256ELj256ELj4EdEEviiiPKT2_S3_S3_PS1_S3_PKi.has_recursion, 0
	.set _ZN9rocsparseL19gtsv_LBM_rhs_kernelILj256ELj256ELj4EdEEviiiPKT2_S3_S3_PS1_S3_PKi.has_indirect_call, 0
	.section	.AMDGPU.csdata,"",@progbits
; Kernel info:
; codeLenInByte = 2584
; TotalNumSgprs: 38
; NumVgprs: 54
; NumAgprs: 0
; TotalNumVgprs: 54
; ScratchSize: 0
; MemoryBound: 0
; FloatMode: 240
; IeeeMode: 1
; LDSByteSize: 0 bytes/workgroup (compile time only)
; SGPRBlocks: 4
; VGPRBlocks: 6
; NumSGPRsForWavesPerEU: 38
; NumVGPRsForWavesPerEU: 54
; AccumOffset: 56
; Occupancy: 8
; WaveLimiterHint : 0
; COMPUTE_PGM_RSRC2:SCRATCH_EN: 0
; COMPUTE_PGM_RSRC2:USER_SGPR: 2
; COMPUTE_PGM_RSRC2:TRAP_HANDLER: 0
; COMPUTE_PGM_RSRC2:TGID_X_EN: 1
; COMPUTE_PGM_RSRC2:TGID_Y_EN: 1
; COMPUTE_PGM_RSRC2:TGID_Z_EN: 0
; COMPUTE_PGM_RSRC2:TIDIG_COMP_CNT: 0
; COMPUTE_PGM_RSRC3_GFX90A:ACCUM_OFFSET: 13
; COMPUTE_PGM_RSRC3_GFX90A:TG_SPLIT: 0
	.section	.text._ZN9rocsparseL19gtsv_LBM_rhs_kernelILj256ELj256ELj2EdEEviiiPKT2_S3_S3_PS1_S3_PKi,"axG",@progbits,_ZN9rocsparseL19gtsv_LBM_rhs_kernelILj256ELj256ELj2EdEEviiiPKT2_S3_S3_PS1_S3_PKi,comdat
	.globl	_ZN9rocsparseL19gtsv_LBM_rhs_kernelILj256ELj256ELj2EdEEviiiPKT2_S3_S3_PS1_S3_PKi ; -- Begin function _ZN9rocsparseL19gtsv_LBM_rhs_kernelILj256ELj256ELj2EdEEviiiPKT2_S3_S3_PS1_S3_PKi
	.p2align	8
	.type	_ZN9rocsparseL19gtsv_LBM_rhs_kernelILj256ELj256ELj2EdEEviiiPKT2_S3_S3_PS1_S3_PKi,@function
_ZN9rocsparseL19gtsv_LBM_rhs_kernelILj256ELj256ELj2EdEEviiiPKT2_S3_S3_PS1_S3_PKi: ; @_ZN9rocsparseL19gtsv_LBM_rhs_kernelILj256ELj256ELj2EdEEviiiPKT2_S3_S3_PS1_S3_PKi
; %bb.0:
	s_load_dword s23, s[0:1], 0x0
	v_lshl_or_b32 v0, s2, 8, v0
	s_waitcnt lgkmcnt(0)
	s_lshr_b32 s22, s23, 8
	v_cmp_gt_i32_e32 vcc, s22, v0
	s_and_saveexec_b64 s[4:5], vcc
	s_cbranch_execz .LBB172_29
; %bb.1:
	s_load_dwordx4 s[8:11], s[0:1], 0x28
	s_load_dwordx2 s[6:7], s[0:1], 0x38
	s_cmp_lt_i32 s23, 1
	v_add_u32_e32 v30, s22, v0
	s_mul_i32 s24, s3, s23
	s_cbranch_scc1 .LBB172_21
; %bb.2:
	s_load_dwordx4 s[12:15], s[0:1], 0x10
	s_load_dwordx2 s[16:17], s[0:1], 0x20
	v_ashrrev_i32_e32 v1, 31, v0
	s_lshl_b32 s28, s24, 1
	s_mul_i32 s25, s22, 0xff
	s_waitcnt lgkmcnt(0)
	v_lshl_add_u64 v[2:3], v[0:1], 3, s[14:15]
	global_load_dwordx2 v[4:5], v[2:3], off
	s_mul_i32 s26, s22, 0xfe
	s_lshl_b32 s27, s22, 1
	v_add_u32_e32 v31, s22, v30
	s_add_i32 s29, s28, s23
	v_mov_b32_e32 v3, 0
	s_mov_b64 s[18:19], 0
	v_mov_b32_e32 v1, 0
	s_branch .LBB172_5
.LBB172_3:                              ;   in Loop: Header=BB172_5 Depth=1
	s_or_b64 exec, exec, s[4:5]
	v_fma_f64 v[4:5], -v[4:5], v[20:21], v[8:9]
	v_mov_b32_e32 v2, s22
.LBB172_4:                              ;   in Loop: Header=BB172_5 Depth=1
	s_or_b64 exec, exec, s[2:3]
	v_add_u32_e32 v1, v2, v1
	v_cmp_le_i32_e32 vcc, s23, v1
	s_or_b64 s[18:19], vcc, s[18:19]
	s_andn2_b64 exec, exec, s[18:19]
	s_cbranch_execz .LBB172_20
.LBB172_5:                              ; =>This Inner Loop Header: Depth=1
	v_add_u32_e32 v18, v1, v0
	v_ashrrev_i32_e32 v19, 31, v18
	v_lshl_add_u64 v[6:7], v[18:19], 3, s[16:17]
	global_load_dwordx2 v[12:13], v[6:7], off
	v_cmp_gt_u32_e64 s[0:1], s25, v1
	v_mov_b64_e32 v[8:9], 0
	v_mov_b64_e32 v[6:7], 0
	s_and_saveexec_b64 s[2:3], s[0:1]
	s_cbranch_execz .LBB172_7
; %bb.6:                                ;   in Loop: Header=BB172_5 Depth=1
	v_add_u32_e32 v6, v30, v1
	v_ashrrev_i32_e32 v7, 31, v6
	v_lshl_add_u64 v[6:7], v[6:7], 3, s[12:13]
	global_load_dwordx2 v[6:7], v[6:7], off
.LBB172_7:                              ;   in Loop: Header=BB172_5 Depth=1
	s_or_b64 exec, exec, s[2:3]
	s_and_saveexec_b64 s[2:3], s[0:1]
	s_cbranch_execz .LBB172_9
; %bb.8:                                ;   in Loop: Header=BB172_5 Depth=1
	v_add_u32_e32 v8, v30, v1
	v_ashrrev_i32_e32 v9, 31, v8
	v_lshl_add_u64 v[8:9], v[8:9], 3, s[14:15]
	global_load_dwordx2 v[8:9], v[8:9], off
.LBB172_9:                              ;   in Loop: Header=BB172_5 Depth=1
	s_or_b64 exec, exec, s[2:3]
	v_mov_b64_e32 v[14:15], 0
	v_mov_b64_e32 v[10:11], 0
	s_and_saveexec_b64 s[2:3], s[0:1]
	s_cbranch_execz .LBB172_11
; %bb.10:                               ;   in Loop: Header=BB172_5 Depth=1
	v_add_u32_e32 v10, v30, v1
	v_ashrrev_i32_e32 v11, 31, v10
	v_lshl_add_u64 v[10:11], v[10:11], 3, s[16:17]
	global_load_dwordx2 v[10:11], v[10:11], off
.LBB172_11:                             ;   in Loop: Header=BB172_5 Depth=1
	s_or_b64 exec, exec, s[2:3]
	v_cmp_gt_u32_e64 s[2:3], s26, v1
	s_and_saveexec_b64 s[4:5], s[2:3]
	s_cbranch_execz .LBB172_13
; %bb.12:                               ;   in Loop: Header=BB172_5 Depth=1
	v_add_u32_e32 v14, v31, v1
	v_ashrrev_i32_e32 v15, 31, v14
	v_lshl_add_u64 v[14:15], v[14:15], 3, s[12:13]
	global_load_dwordx2 v[14:15], v[14:15], off
.LBB172_13:                             ;   in Loop: Header=BB172_5 Depth=1
	s_or_b64 exec, exec, s[4:5]
	v_lshl_add_u64 v[16:17], v[18:19], 2, s[6:7]
	global_load_dword v20, v[16:17], off
	v_add_u32_e32 v2, s28, v18
	v_lshl_add_u64 v[16:17], v[2:3], 3, s[8:9]
	v_add_u32_e32 v2, s29, v18
	v_lshl_add_u64 v[18:19], v[2:3], 3, s[8:9]
	global_load_dwordx2 v[22:23], v[16:17], off
	global_load_dwordx2 v[24:25], v[18:19], off
	v_cmp_ne_u32_e32 vcc, s25, v1
	s_waitcnt vmcnt(2)
	v_cmp_ne_u32_e64 s[4:5], 1, v20
	s_and_b64 s[4:5], vcc, s[4:5]
	v_mul_f64 v[20:21], v[12:13], v[6:7]
	s_and_saveexec_b64 s[20:21], s[4:5]
	s_xor_b64 s[4:5], exec, s[20:21]
	s_cbranch_execz .LBB172_17
; %bb.14:                               ;   in Loop: Header=BB172_5 Depth=1
	v_add_u32_e32 v26, v30, v1
	v_add_u32_e32 v2, s28, v26
	v_lshl_add_u64 v[32:33], v[2:3], 3, s[8:9]
	v_add_u32_e32 v2, s29, v26
	v_lshl_add_u64 v[34:35], v[2:3], 3, s[8:9]
	global_load_dwordx2 v[26:27], v[32:33], off
	global_load_dwordx2 v[28:29], v[34:35], off
	v_fma_f64 v[20:21], v[4:5], v[8:9], -v[20:21]
	v_div_scale_f64 v[36:37], s[20:21], v[20:21], v[20:21], 1.0
	v_rcp_f64_e32 v[38:39], v[36:37]
	v_div_scale_f64 v[40:41], vcc, 1.0, v[20:21], 1.0
	v_fma_f64 v[42:43], -v[36:37], v[38:39], 1.0
	v_fmac_f64_e32 v[38:39], v[38:39], v[42:43]
	v_fma_f64 v[42:43], -v[36:37], v[38:39], 1.0
	v_fmac_f64_e32 v[38:39], v[38:39], v[42:43]
	v_mul_f64 v[42:43], v[40:41], v[38:39]
	v_fma_f64 v[36:37], -v[36:37], v[42:43], v[40:41]
	v_div_fmas_f64 v[36:37], v[36:37], v[38:39], v[42:43]
	v_div_fixup_f64 v[20:21], v[36:37], v[20:21], 1.0
	s_waitcnt vmcnt(3)
	v_mul_f64 v[22:23], v[20:21], v[22:23]
	s_waitcnt vmcnt(2)
	v_mul_f64 v[24:25], v[20:21], v[24:25]
	v_mul_f64 v[36:37], v[6:7], v[22:23]
	;; [unrolled: 1-line block ×3, first 2 shown]
	s_waitcnt vmcnt(1)
	v_mul_f64 v[26:27], v[20:21], v[26:27]
	s_waitcnt vmcnt(0)
	v_mul_f64 v[28:29], v[20:21], v[28:29]
	v_mul_f64 v[40:41], v[12:13], v[26:27]
	;; [unrolled: 1-line block ×3, first 2 shown]
	v_fma_f64 v[40:41], v[8:9], v[22:23], -v[40:41]
	v_fma_f64 v[8:9], v[8:9], v[24:25], -v[12:13]
	;; [unrolled: 1-line block ×4, first 2 shown]
	global_store_dwordx2 v[16:17], v[40:41], off
	global_store_dwordx2 v[18:19], v[8:9], off
	;; [unrolled: 1-line block ×4, first 2 shown]
	v_mov_b64_e32 v[8:9], 0
	s_and_saveexec_b64 s[20:21], s[2:3]
	s_cbranch_execz .LBB172_16
; %bb.15:                               ;   in Loop: Header=BB172_5 Depth=1
	v_add_u32_e32 v8, v31, v1
	v_add_u32_e32 v2, s28, v8
	v_ashrrev_i32_e32 v9, 31, v8
	v_lshl_add_u64 v[12:13], v[2:3], 3, s[8:9]
	v_add_u32_e32 v2, s29, v8
	v_lshl_add_u64 v[8:9], v[8:9], 3, s[14:15]
	v_lshl_add_u64 v[16:17], v[2:3], 3, s[8:9]
	global_load_dwordx2 v[18:19], v[12:13], off
	global_load_dwordx2 v[32:33], v[16:17], off
	v_mul_f64 v[4:5], v[4:5], v[14:15]
	global_load_dwordx2 v[8:9], v[8:9], off
	v_mul_f64 v[6:7], v[6:7], v[14:15]
	v_mul_f64 v[14:15], v[4:5], v[26:27]
	;; [unrolled: 1-line block ×4, first 2 shown]
	v_fma_f64 v[10:11], v[6:7], v[22:23], -v[14:15]
	v_fma_f64 v[6:7], v[6:7], v[24:25], -v[26:27]
	s_waitcnt vmcnt(2)
	v_add_f64 v[10:11], v[10:11], v[18:19]
	s_waitcnt vmcnt(1)
	v_add_f64 v[6:7], v[6:7], v[32:33]
	global_store_dwordx2 v[12:13], v[10:11], off
	s_waitcnt vmcnt(1)
	v_fma_f64 v[8:9], -v[20:21], v[4:5], v[8:9]
	global_store_dwordx2 v[16:17], v[6:7], off
.LBB172_16:                             ;   in Loop: Header=BB172_5 Depth=1
	s_or_b64 exec, exec, s[20:21]
	v_mov_b64_e32 v[4:5], v[8:9]
                                        ; implicit-def: $vgpr20_vgpr21
                                        ; implicit-def: $vgpr8_vgpr9
                                        ; implicit-def: $vgpr22_vgpr23
                                        ; implicit-def: $vgpr24_vgpr25
                                        ; implicit-def: $vgpr16_vgpr17
                                        ; implicit-def: $vgpr18_vgpr19
                                        ; implicit-def: $vgpr6_vgpr7
.LBB172_17:                             ;   in Loop: Header=BB172_5 Depth=1
	s_or_saveexec_b64 s[2:3], s[4:5]
	v_mov_b32_e32 v2, s27
	s_xor_b64 exec, exec, s[2:3]
	s_cbranch_execz .LBB172_4
; %bb.18:                               ;   in Loop: Header=BB172_5 Depth=1
	v_div_scale_f64 v[10:11], s[4:5], v[4:5], v[4:5], 1.0
	v_rcp_f64_e32 v[12:13], v[10:11]
	v_div_scale_f64 v[14:15], vcc, 1.0, v[4:5], 1.0
	v_fma_f64 v[26:27], -v[10:11], v[12:13], 1.0
	v_fmac_f64_e32 v[12:13], v[12:13], v[26:27]
	v_fma_f64 v[26:27], -v[10:11], v[12:13], 1.0
	v_fmac_f64_e32 v[12:13], v[12:13], v[26:27]
	v_mul_f64 v[26:27], v[14:15], v[12:13]
	v_fma_f64 v[10:11], -v[10:11], v[26:27], v[14:15]
	v_div_fmas_f64 v[10:11], v[10:11], v[12:13], v[26:27]
	v_div_fixup_f64 v[4:5], v[10:11], v[4:5], 1.0
	s_waitcnt vmcnt(1)
	v_mul_f64 v[12:13], v[4:5], v[22:23]
	s_waitcnt vmcnt(0)
	v_mul_f64 v[10:11], v[4:5], v[24:25]
	global_store_dwordx2 v[16:17], v[12:13], off
	global_store_dwordx2 v[18:19], v[10:11], off
	s_and_saveexec_b64 s[4:5], s[0:1]
	s_cbranch_execz .LBB172_3
; %bb.19:                               ;   in Loop: Header=BB172_5 Depth=1
	v_add_u32_e32 v18, v30, v1
	v_add_u32_e32 v2, s28, v18
	v_lshl_add_u64 v[14:15], v[2:3], 3, s[8:9]
	v_add_u32_e32 v2, s29, v18
	v_lshl_add_u64 v[18:19], v[2:3], 3, s[8:9]
	global_load_dwordx2 v[16:17], v[14:15], off
	global_load_dwordx2 v[22:23], v[18:19], off
	s_waitcnt vmcnt(1)
	v_fma_f64 v[12:13], -v[6:7], v[12:13], v[16:17]
	s_waitcnt vmcnt(0)
	v_fma_f64 v[6:7], -v[6:7], v[10:11], v[22:23]
	global_store_dwordx2 v[14:15], v[12:13], off
	global_store_dwordx2 v[18:19], v[6:7], off
	s_branch .LBB172_3
.LBB172_20:
	s_or_b64 exec, exec, s[18:19]
	s_branch .LBB172_22
.LBB172_21:
	v_mov_b32_e32 v1, 0
.LBB172_22:
	v_subrev_u32_e32 v1, s22, v1
	v_add_u32_e32 v2, v1, v0
	v_ashrrev_i32_e32 v3, 31, v2
	s_waitcnt lgkmcnt(0)
	v_lshl_add_u64 v[2:3], v[2:3], 2, s[6:7]
	buffer_wbl2 sc1
	s_waitcnt vmcnt(0)
	buffer_inv sc1
	global_load_dword v2, v[2:3], off
	s_waitcnt vmcnt(0)
	v_mul_lo_u32 v2, v2, s22
	v_sub_u32_e32 v1, v1, v2
	v_cmp_lt_i32_e32 vcc, -1, v1
	s_and_b64 exec, exec, vcc
	s_cbranch_execz .LBB172_29
; %bb.23:
	s_lshl_b32 s4, s24, 1
	s_add_i32 s5, s4, s23
	s_lshl_b32 s12, s22, 1
	s_mov_b64 s[0:1], 0
	v_mov_b32_e32 v3, 0
	s_branch .LBB172_25
.LBB172_24:                             ;   in Loop: Header=BB172_25 Depth=1
	s_or_b64 exec, exec, s[2:3]
	v_sub_u32_e32 v1, v1, v2
	v_cmp_gt_i32_e32 vcc, 0, v1
	s_or_b64 s[0:1], vcc, s[0:1]
	s_andn2_b64 exec, exec, s[0:1]
	s_cbranch_execz .LBB172_29
.LBB172_25:                             ; =>This Inner Loop Header: Depth=1
	v_add_u32_e32 v6, v1, v0
	v_ashrrev_i32_e32 v7, 31, v6
	s_waitcnt vmcnt(0)
	v_lshl_add_u64 v[4:5], v[6:7], 2, s[6:7]
	global_load_dword v2, v[4:5], off
	v_lshl_add_u64 v[4:5], v[6:7], 3, s[10:11]
	global_load_dwordx2 v[4:5], v[4:5], off
	s_waitcnt vmcnt(1)
	v_cmp_ne_u32_e32 vcc, 1, v2
	s_and_saveexec_b64 s[2:3], vcc
	s_xor_b64 s[2:3], exec, s[2:3]
	s_cbranch_execz .LBB172_27
; %bb.26:                               ;   in Loop: Header=BB172_25 Depth=1
	v_add_u32_e32 v7, v30, v1
	v_add_u32_e32 v2, s4, v7
	v_lshl_add_u64 v[8:9], v[2:3], 3, s[8:9]
	v_add_u32_e32 v2, s5, v7
	v_lshl_add_u64 v[10:11], v[2:3], 3, s[8:9]
	;; [unrolled: 2-line block ×3, first 2 shown]
	global_load_dwordx2 v[14:15], v[8:9], off
	global_load_dwordx2 v[16:17], v[12:13], off
	;; [unrolled: 1-line block ×3, first 2 shown]
	v_add_u32_e32 v2, s5, v6
	v_lshl_add_u64 v[6:7], v[2:3], 3, s[8:9]
	v_subrev_u32_e32 v2, s22, v1
	v_add_u32_e32 v10, v2, v0
	v_ashrrev_i32_e32 v11, 31, v10
	v_add_u32_e32 v2, s4, v10
	s_waitcnt vmcnt(1)
	v_fma_f64 v[8:9], -v[4:5], v[14:15], v[16:17]
	global_store_dwordx2 v[12:13], v[8:9], off
	global_load_dwordx2 v[8:9], v[6:7], off
	v_lshl_add_u64 v[12:13], v[10:11], 3, s[10:11]
	v_lshl_add_u64 v[16:17], v[2:3], 3, s[8:9]
	global_load_dwordx2 v[12:13], v[12:13], off
	v_add_u32_e32 v2, s5, v10
	s_waitcnt vmcnt(1)
	v_fma_f64 v[4:5], -v[4:5], v[18:19], v[8:9]
	global_store_dwordx2 v[6:7], v[4:5], off
	global_load_dwordx2 v[4:5], v[16:17], off
	s_waitcnt vmcnt(0)
	v_fma_f64 v[4:5], -v[12:13], v[14:15], v[4:5]
	global_store_dwordx2 v[16:17], v[4:5], off
	v_lshl_add_u64 v[4:5], v[2:3], 3, s[8:9]
	global_load_dwordx2 v[6:7], v[4:5], off
	s_waitcnt vmcnt(0)
	v_fma_f64 v[6:7], -v[12:13], v[18:19], v[6:7]
	global_store_dwordx2 v[4:5], v[6:7], off
                                        ; implicit-def: $vgpr6
                                        ; implicit-def: $vgpr4_vgpr5
.LBB172_27:                             ;   in Loop: Header=BB172_25 Depth=1
	s_or_saveexec_b64 s[2:3], s[2:3]
	v_mov_b32_e32 v2, s12
	s_xor_b64 exec, exec, s[2:3]
	s_cbranch_execz .LBB172_24
; %bb.28:                               ;   in Loop: Header=BB172_25 Depth=1
	v_add_u32_e32 v7, v30, v1
	v_add_u32_e32 v2, s4, v7
	v_lshl_add_u64 v[8:9], v[2:3], 3, s[8:9]
	v_add_u32_e32 v2, s4, v6
	v_lshl_add_u64 v[10:11], v[2:3], 3, s[8:9]
	global_load_dwordx2 v[12:13], v[8:9], off
	global_load_dwordx2 v[14:15], v[10:11], off
	v_add_u32_e32 v2, s5, v7
	v_lshl_add_u64 v[8:9], v[2:3], 3, s[8:9]
	v_add_u32_e32 v2, s5, v6
	v_lshl_add_u64 v[6:7], v[2:3], 3, s[8:9]
	v_mov_b32_e32 v2, s22
	s_waitcnt vmcnt(0)
	v_fma_f64 v[12:13], -v[4:5], v[12:13], v[14:15]
	global_store_dwordx2 v[10:11], v[12:13], off
	global_load_dwordx2 v[10:11], v[8:9], off
	s_nop 0
	global_load_dwordx2 v[12:13], v[6:7], off
	s_waitcnt vmcnt(0)
	v_fma_f64 v[4:5], -v[4:5], v[10:11], v[12:13]
	global_store_dwordx2 v[6:7], v[4:5], off
	s_branch .LBB172_24
.LBB172_29:
	s_endpgm
	.section	.rodata,"a",@progbits
	.p2align	6, 0x0
	.amdhsa_kernel _ZN9rocsparseL19gtsv_LBM_rhs_kernelILj256ELj256ELj2EdEEviiiPKT2_S3_S3_PS1_S3_PKi
		.amdhsa_group_segment_fixed_size 0
		.amdhsa_private_segment_fixed_size 0
		.amdhsa_kernarg_size 64
		.amdhsa_user_sgpr_count 2
		.amdhsa_user_sgpr_dispatch_ptr 0
		.amdhsa_user_sgpr_queue_ptr 0
		.amdhsa_user_sgpr_kernarg_segment_ptr 1
		.amdhsa_user_sgpr_dispatch_id 0
		.amdhsa_user_sgpr_kernarg_preload_length 0
		.amdhsa_user_sgpr_kernarg_preload_offset 0
		.amdhsa_user_sgpr_private_segment_size 0
		.amdhsa_uses_dynamic_stack 0
		.amdhsa_enable_private_segment 0
		.amdhsa_system_sgpr_workgroup_id_x 1
		.amdhsa_system_sgpr_workgroup_id_y 1
		.amdhsa_system_sgpr_workgroup_id_z 0
		.amdhsa_system_sgpr_workgroup_info 0
		.amdhsa_system_vgpr_workitem_id 0
		.amdhsa_next_free_vgpr 44
		.amdhsa_next_free_sgpr 30
		.amdhsa_accum_offset 44
		.amdhsa_reserve_vcc 1
		.amdhsa_float_round_mode_32 0
		.amdhsa_float_round_mode_16_64 0
		.amdhsa_float_denorm_mode_32 3
		.amdhsa_float_denorm_mode_16_64 3
		.amdhsa_dx10_clamp 1
		.amdhsa_ieee_mode 1
		.amdhsa_fp16_overflow 0
		.amdhsa_tg_split 0
		.amdhsa_exception_fp_ieee_invalid_op 0
		.amdhsa_exception_fp_denorm_src 0
		.amdhsa_exception_fp_ieee_div_zero 0
		.amdhsa_exception_fp_ieee_overflow 0
		.amdhsa_exception_fp_ieee_underflow 0
		.amdhsa_exception_fp_ieee_inexact 0
		.amdhsa_exception_int_div_zero 0
	.end_amdhsa_kernel
	.section	.text._ZN9rocsparseL19gtsv_LBM_rhs_kernelILj256ELj256ELj2EdEEviiiPKT2_S3_S3_PS1_S3_PKi,"axG",@progbits,_ZN9rocsparseL19gtsv_LBM_rhs_kernelILj256ELj256ELj2EdEEviiiPKT2_S3_S3_PS1_S3_PKi,comdat
.Lfunc_end172:
	.size	_ZN9rocsparseL19gtsv_LBM_rhs_kernelILj256ELj256ELj2EdEEviiiPKT2_S3_S3_PS1_S3_PKi, .Lfunc_end172-_ZN9rocsparseL19gtsv_LBM_rhs_kernelILj256ELj256ELj2EdEEviiiPKT2_S3_S3_PS1_S3_PKi
                                        ; -- End function
	.set _ZN9rocsparseL19gtsv_LBM_rhs_kernelILj256ELj256ELj2EdEEviiiPKT2_S3_S3_PS1_S3_PKi.num_vgpr, 44
	.set _ZN9rocsparseL19gtsv_LBM_rhs_kernelILj256ELj256ELj2EdEEviiiPKT2_S3_S3_PS1_S3_PKi.num_agpr, 0
	.set _ZN9rocsparseL19gtsv_LBM_rhs_kernelILj256ELj256ELj2EdEEviiiPKT2_S3_S3_PS1_S3_PKi.numbered_sgpr, 30
	.set _ZN9rocsparseL19gtsv_LBM_rhs_kernelILj256ELj256ELj2EdEEviiiPKT2_S3_S3_PS1_S3_PKi.num_named_barrier, 0
	.set _ZN9rocsparseL19gtsv_LBM_rhs_kernelILj256ELj256ELj2EdEEviiiPKT2_S3_S3_PS1_S3_PKi.private_seg_size, 0
	.set _ZN9rocsparseL19gtsv_LBM_rhs_kernelILj256ELj256ELj2EdEEviiiPKT2_S3_S3_PS1_S3_PKi.uses_vcc, 1
	.set _ZN9rocsparseL19gtsv_LBM_rhs_kernelILj256ELj256ELj2EdEEviiiPKT2_S3_S3_PS1_S3_PKi.uses_flat_scratch, 0
	.set _ZN9rocsparseL19gtsv_LBM_rhs_kernelILj256ELj256ELj2EdEEviiiPKT2_S3_S3_PS1_S3_PKi.has_dyn_sized_stack, 0
	.set _ZN9rocsparseL19gtsv_LBM_rhs_kernelILj256ELj256ELj2EdEEviiiPKT2_S3_S3_PS1_S3_PKi.has_recursion, 0
	.set _ZN9rocsparseL19gtsv_LBM_rhs_kernelILj256ELj256ELj2EdEEviiiPKT2_S3_S3_PS1_S3_PKi.has_indirect_call, 0
	.section	.AMDGPU.csdata,"",@progbits
; Kernel info:
; codeLenInByte = 1776
; TotalNumSgprs: 36
; NumVgprs: 44
; NumAgprs: 0
; TotalNumVgprs: 44
; ScratchSize: 0
; MemoryBound: 0
; FloatMode: 240
; IeeeMode: 1
; LDSByteSize: 0 bytes/workgroup (compile time only)
; SGPRBlocks: 4
; VGPRBlocks: 5
; NumSGPRsForWavesPerEU: 36
; NumVGPRsForWavesPerEU: 44
; AccumOffset: 44
; Occupancy: 8
; WaveLimiterHint : 0
; COMPUTE_PGM_RSRC2:SCRATCH_EN: 0
; COMPUTE_PGM_RSRC2:USER_SGPR: 2
; COMPUTE_PGM_RSRC2:TRAP_HANDLER: 0
; COMPUTE_PGM_RSRC2:TGID_X_EN: 1
; COMPUTE_PGM_RSRC2:TGID_Y_EN: 1
; COMPUTE_PGM_RSRC2:TGID_Z_EN: 0
; COMPUTE_PGM_RSRC2:TIDIG_COMP_CNT: 0
; COMPUTE_PGM_RSRC3_GFX90A:ACCUM_OFFSET: 10
; COMPUTE_PGM_RSRC3_GFX90A:TG_SPLIT: 0
	.section	.text._ZN9rocsparseL19gtsv_LBM_rhs_kernelILj256ELj256ELj1EdEEviiiPKT2_S3_S3_PS1_S3_PKi,"axG",@progbits,_ZN9rocsparseL19gtsv_LBM_rhs_kernelILj256ELj256ELj1EdEEviiiPKT2_S3_S3_PS1_S3_PKi,comdat
	.globl	_ZN9rocsparseL19gtsv_LBM_rhs_kernelILj256ELj256ELj1EdEEviiiPKT2_S3_S3_PS1_S3_PKi ; -- Begin function _ZN9rocsparseL19gtsv_LBM_rhs_kernelILj256ELj256ELj1EdEEviiiPKT2_S3_S3_PS1_S3_PKi
	.p2align	8
	.type	_ZN9rocsparseL19gtsv_LBM_rhs_kernelILj256ELj256ELj1EdEEviiiPKT2_S3_S3_PS1_S3_PKi,@function
_ZN9rocsparseL19gtsv_LBM_rhs_kernelILj256ELj256ELj1EdEEviiiPKT2_S3_S3_PS1_S3_PKi: ; @_ZN9rocsparseL19gtsv_LBM_rhs_kernelILj256ELj256ELj1EdEEviiiPKT2_S3_S3_PS1_S3_PKi
; %bb.0:
	s_load_dword s24, s[0:1], 0x0
	v_lshl_or_b32 v0, s2, 8, v0
	s_waitcnt lgkmcnt(0)
	s_lshr_b32 s22, s24, 8
	v_cmp_gt_i32_e32 vcc, s22, v0
	s_and_saveexec_b64 s[4:5], vcc
	s_cbranch_execz .LBB173_29
; %bb.1:
	s_load_dwordx4 s[8:11], s[0:1], 0x28
	s_load_dwordx2 s[6:7], s[0:1], 0x38
	s_cmp_lt_i32 s24, 1
	s_mul_i32 s23, s24, s3
	s_cbranch_scc1 .LBB173_21
; %bb.2:
	s_load_dwordx4 s[12:15], s[0:1], 0x10
	s_load_dwordx2 s[16:17], s[0:1], 0x20
	v_ashrrev_i32_e32 v1, 31, v0
	v_add_u32_e32 v24, s22, v0
	s_mul_i32 s25, s22, 0xff
	s_waitcnt lgkmcnt(0)
	v_lshl_add_u64 v[2:3], v[0:1], 3, s[14:15]
	global_load_dwordx2 v[4:5], v[2:3], off
	s_mul_i32 s26, s22, 0xfe
	s_lshl_b32 s27, s22, 1
	v_add_u32_e32 v25, s22, v24
	v_add_u32_e32 v26, s23, v24
	v_mov_b32_e32 v3, 0
	s_mov_b64 s[18:19], 0
	v_mov_b32_e32 v1, 0
	s_branch .LBB173_5
.LBB173_3:                              ;   in Loop: Header=BB173_5 Depth=1
	s_or_b64 exec, exec, s[4:5]
	v_fma_f64 v[4:5], -v[4:5], v[18:19], v[8:9]
	v_mov_b32_e32 v2, s22
.LBB173_4:                              ;   in Loop: Header=BB173_5 Depth=1
	s_or_b64 exec, exec, s[2:3]
	v_add_u32_e32 v1, v2, v1
	v_cmp_le_i32_e32 vcc, s24, v1
	s_or_b64 s[18:19], vcc, s[18:19]
	s_andn2_b64 exec, exec, s[18:19]
	s_cbranch_execz .LBB173_20
.LBB173_5:                              ; =>This Inner Loop Header: Depth=1
	v_add_u32_e32 v16, v1, v0
	v_ashrrev_i32_e32 v17, 31, v16
	v_lshl_add_u64 v[6:7], v[16:17], 3, s[16:17]
	global_load_dwordx2 v[10:11], v[6:7], off
	v_cmp_gt_u32_e64 s[0:1], s25, v1
	v_mov_b64_e32 v[8:9], 0
	v_add_u32_e32 v18, v24, v1
	v_mov_b64_e32 v[6:7], 0
	s_and_saveexec_b64 s[2:3], s[0:1]
	s_cbranch_execz .LBB173_7
; %bb.6:                                ;   in Loop: Header=BB173_5 Depth=1
	v_ashrrev_i32_e32 v19, 31, v18
	v_lshl_add_u64 v[6:7], v[18:19], 3, s[12:13]
	global_load_dwordx2 v[6:7], v[6:7], off
.LBB173_7:                              ;   in Loop: Header=BB173_5 Depth=1
	s_or_b64 exec, exec, s[2:3]
	s_and_saveexec_b64 s[2:3], s[0:1]
	s_cbranch_execz .LBB173_9
; %bb.8:                                ;   in Loop: Header=BB173_5 Depth=1
	v_ashrrev_i32_e32 v19, 31, v18
	v_lshl_add_u64 v[8:9], v[18:19], 3, s[14:15]
	global_load_dwordx2 v[8:9], v[8:9], off
.LBB173_9:                              ;   in Loop: Header=BB173_5 Depth=1
	s_or_b64 exec, exec, s[2:3]
	v_mov_b64_e32 v[14:15], 0
	v_mov_b64_e32 v[12:13], 0
	s_and_saveexec_b64 s[2:3], s[0:1]
	s_cbranch_execz .LBB173_11
; %bb.10:                               ;   in Loop: Header=BB173_5 Depth=1
	v_ashrrev_i32_e32 v19, 31, v18
	v_lshl_add_u64 v[12:13], v[18:19], 3, s[16:17]
	global_load_dwordx2 v[12:13], v[12:13], off
.LBB173_11:                             ;   in Loop: Header=BB173_5 Depth=1
	s_or_b64 exec, exec, s[2:3]
	v_cmp_gt_u32_e64 s[2:3], s26, v1
	s_and_saveexec_b64 s[4:5], s[2:3]
	s_cbranch_execz .LBB173_13
; %bb.12:                               ;   in Loop: Header=BB173_5 Depth=1
	v_add_u32_e32 v14, v25, v1
	v_ashrrev_i32_e32 v15, 31, v14
	v_lshl_add_u64 v[14:15], v[14:15], 3, s[12:13]
	global_load_dwordx2 v[14:15], v[14:15], off
.LBB173_13:                             ;   in Loop: Header=BB173_5 Depth=1
	s_or_b64 exec, exec, s[4:5]
	v_lshl_add_u64 v[18:19], v[16:17], 2, s[6:7]
	global_load_dword v18, v[18:19], off
	v_add_u32_e32 v2, s23, v16
	v_lshl_add_u64 v[16:17], v[2:3], 3, s[8:9]
	global_load_dwordx2 v[20:21], v[16:17], off
	v_cmp_ne_u32_e32 vcc, s25, v1
	s_waitcnt vmcnt(1)
	v_cmp_ne_u32_e64 s[4:5], 1, v18
	s_and_b64 s[4:5], vcc, s[4:5]
	v_mul_f64 v[18:19], v[10:11], v[6:7]
	s_and_saveexec_b64 s[20:21], s[4:5]
	s_xor_b64 s[4:5], exec, s[20:21]
	s_cbranch_execz .LBB173_17
; %bb.14:                               ;   in Loop: Header=BB173_5 Depth=1
	v_add_u32_e32 v2, v26, v1
	v_lshl_add_u64 v[28:29], v[2:3], 3, s[8:9]
	global_load_dwordx2 v[22:23], v[28:29], off
	v_fma_f64 v[18:19], v[4:5], v[8:9], -v[18:19]
	v_div_scale_f64 v[30:31], s[20:21], v[18:19], v[18:19], 1.0
	v_rcp_f64_e32 v[32:33], v[30:31]
	v_div_scale_f64 v[34:35], vcc, 1.0, v[18:19], 1.0
	v_fma_f64 v[36:37], -v[30:31], v[32:33], 1.0
	v_fmac_f64_e32 v[32:33], v[32:33], v[36:37]
	v_fma_f64 v[36:37], -v[30:31], v[32:33], 1.0
	v_fmac_f64_e32 v[32:33], v[32:33], v[36:37]
	v_mul_f64 v[36:37], v[34:35], v[32:33]
	v_fma_f64 v[30:31], -v[30:31], v[36:37], v[34:35]
	v_div_fmas_f64 v[30:31], v[30:31], v[32:33], v[36:37]
	v_div_fixup_f64 v[18:19], v[30:31], v[18:19], 1.0
	s_waitcnt vmcnt(1)
	v_mul_f64 v[20:21], v[18:19], v[20:21]
	v_mul_f64 v[30:31], v[6:7], v[20:21]
	s_waitcnt vmcnt(0)
	v_mul_f64 v[22:23], v[18:19], v[22:23]
	v_mul_f64 v[10:11], v[10:11], v[22:23]
	v_fma_f64 v[8:9], v[8:9], v[20:21], -v[10:11]
	v_fma_f64 v[30:31], v[4:5], v[22:23], -v[30:31]
	global_store_dwordx2 v[16:17], v[8:9], off
	global_store_dwordx2 v[28:29], v[30:31], off
	v_mov_b64_e32 v[8:9], 0
	s_and_saveexec_b64 s[20:21], s[2:3]
	s_cbranch_execz .LBB173_16
; %bb.15:                               ;   in Loop: Header=BB173_5 Depth=1
	v_add_u32_e32 v8, v25, v1
	v_add_u32_e32 v2, s23, v8
	v_ashrrev_i32_e32 v9, 31, v8
	v_lshl_add_u64 v[10:11], v[2:3], 3, s[8:9]
	v_lshl_add_u64 v[8:9], v[8:9], 3, s[14:15]
	global_load_dwordx2 v[16:17], v[10:11], off
	v_mul_f64 v[4:5], v[4:5], v[14:15]
	global_load_dwordx2 v[8:9], v[8:9], off
	v_mul_f64 v[6:7], v[6:7], v[14:15]
	v_mul_f64 v[14:15], v[4:5], v[22:23]
	;; [unrolled: 1-line block ×3, first 2 shown]
	v_fma_f64 v[6:7], v[6:7], v[20:21], -v[14:15]
	s_waitcnt vmcnt(1)
	v_add_f64 v[6:7], v[6:7], v[16:17]
	global_store_dwordx2 v[10:11], v[6:7], off
	s_waitcnt vmcnt(1)
	v_fma_f64 v[8:9], -v[18:19], v[4:5], v[8:9]
.LBB173_16:                             ;   in Loop: Header=BB173_5 Depth=1
	s_or_b64 exec, exec, s[20:21]
	v_mov_b64_e32 v[4:5], v[8:9]
                                        ; implicit-def: $vgpr18_vgpr19
                                        ; implicit-def: $vgpr8_vgpr9
                                        ; implicit-def: $vgpr20_vgpr21
                                        ; implicit-def: $vgpr16_vgpr17
                                        ; implicit-def: $vgpr6_vgpr7
.LBB173_17:                             ;   in Loop: Header=BB173_5 Depth=1
	s_or_saveexec_b64 s[2:3], s[4:5]
	v_mov_b32_e32 v2, s27
	s_xor_b64 exec, exec, s[2:3]
	s_cbranch_execz .LBB173_4
; %bb.18:                               ;   in Loop: Header=BB173_5 Depth=1
	v_div_scale_f64 v[10:11], s[4:5], v[4:5], v[4:5], 1.0
	v_rcp_f64_e32 v[12:13], v[10:11]
	v_div_scale_f64 v[14:15], vcc, 1.0, v[4:5], 1.0
	v_fma_f64 v[22:23], -v[10:11], v[12:13], 1.0
	v_fmac_f64_e32 v[12:13], v[12:13], v[22:23]
	v_fma_f64 v[22:23], -v[10:11], v[12:13], 1.0
	v_fmac_f64_e32 v[12:13], v[12:13], v[22:23]
	v_mul_f64 v[22:23], v[14:15], v[12:13]
	v_fma_f64 v[10:11], -v[10:11], v[22:23], v[14:15]
	v_div_fmas_f64 v[10:11], v[10:11], v[12:13], v[22:23]
	v_div_fixup_f64 v[4:5], v[10:11], v[4:5], 1.0
	s_waitcnt vmcnt(0)
	v_mul_f64 v[10:11], v[4:5], v[20:21]
	global_store_dwordx2 v[16:17], v[10:11], off
	s_and_saveexec_b64 s[4:5], s[0:1]
	s_cbranch_execz .LBB173_3
; %bb.19:                               ;   in Loop: Header=BB173_5 Depth=1
	v_add_u32_e32 v2, v26, v1
	v_lshl_add_u64 v[12:13], v[2:3], 3, s[8:9]
	global_load_dwordx2 v[14:15], v[12:13], off
	s_waitcnt vmcnt(0)
	v_fma_f64 v[6:7], -v[6:7], v[10:11], v[14:15]
	global_store_dwordx2 v[12:13], v[6:7], off
	s_branch .LBB173_3
.LBB173_20:
	s_or_b64 exec, exec, s[18:19]
	s_branch .LBB173_22
.LBB173_21:
	v_mov_b32_e32 v1, 0
.LBB173_22:
	v_subrev_u32_e32 v1, s22, v1
	v_add_u32_e32 v2, v1, v0
	v_ashrrev_i32_e32 v3, 31, v2
	s_waitcnt lgkmcnt(0)
	v_lshl_add_u64 v[2:3], v[2:3], 2, s[6:7]
	buffer_wbl2 sc1
	s_waitcnt vmcnt(0)
	buffer_inv sc1
	global_load_dword v2, v[2:3], off
	s_waitcnt vmcnt(0)
	v_mul_lo_u32 v2, v2, s22
	v_sub_u32_e32 v1, v1, v2
	v_cmp_lt_i32_e32 vcc, -1, v1
	s_and_b64 exec, exec, vcc
	s_cbranch_execz .LBB173_29
; %bb.23:
	s_add_i32 s0, s23, s22
	v_add_u32_e32 v8, s0, v0
	s_lshl_b32 s4, s22, 1
	s_mov_b64 s[0:1], 0
	v_mov_b32_e32 v3, 0
	s_branch .LBB173_25
.LBB173_24:                             ;   in Loop: Header=BB173_25 Depth=1
	s_or_b64 exec, exec, s[2:3]
	v_sub_u32_e32 v1, v1, v2
	v_cmp_gt_i32_e32 vcc, 0, v1
	s_or_b64 s[0:1], vcc, s[0:1]
	s_andn2_b64 exec, exec, s[0:1]
	s_cbranch_execz .LBB173_29
.LBB173_25:                             ; =>This Inner Loop Header: Depth=1
	v_add_u32_e32 v6, v1, v0
	v_ashrrev_i32_e32 v7, 31, v6
	s_waitcnt vmcnt(0)
	v_lshl_add_u64 v[4:5], v[6:7], 2, s[6:7]
	global_load_dword v2, v[4:5], off
	v_lshl_add_u64 v[4:5], v[6:7], 3, s[10:11]
	global_load_dwordx2 v[4:5], v[4:5], off
	s_waitcnt vmcnt(1)
	v_cmp_ne_u32_e32 vcc, 1, v2
	s_and_saveexec_b64 s[2:3], vcc
	s_xor_b64 s[2:3], exec, s[2:3]
	s_cbranch_execz .LBB173_27
; %bb.26:                               ;   in Loop: Header=BB173_25 Depth=1
	v_add_u32_e32 v2, v8, v1
	v_lshl_add_u64 v[10:11], v[2:3], 3, s[8:9]
	v_add_u32_e32 v2, s23, v6
	v_lshl_add_u64 v[6:7], v[2:3], 3, s[8:9]
	global_load_dwordx2 v[12:13], v[10:11], off
	global_load_dwordx2 v[14:15], v[6:7], off
	v_subrev_u32_e32 v2, s22, v1
	v_add_u32_e32 v10, v2, v0
	v_ashrrev_i32_e32 v11, 31, v10
	v_add_u32_e32 v2, s23, v10
	v_lshl_add_u64 v[10:11], v[10:11], 3, s[10:11]
	global_load_dwordx2 v[10:11], v[10:11], off
	s_waitcnt vmcnt(1)
	v_fma_f64 v[4:5], -v[4:5], v[12:13], v[14:15]
	global_store_dwordx2 v[6:7], v[4:5], off
	v_lshl_add_u64 v[4:5], v[2:3], 3, s[8:9]
	global_load_dwordx2 v[6:7], v[4:5], off
	s_waitcnt vmcnt(0)
	v_fma_f64 v[6:7], -v[10:11], v[12:13], v[6:7]
	global_store_dwordx2 v[4:5], v[6:7], off
                                        ; implicit-def: $vgpr6
                                        ; implicit-def: $vgpr4_vgpr5
.LBB173_27:                             ;   in Loop: Header=BB173_25 Depth=1
	s_or_saveexec_b64 s[2:3], s[2:3]
	v_mov_b32_e32 v2, s4
	s_xor_b64 exec, exec, s[2:3]
	s_cbranch_execz .LBB173_24
; %bb.28:                               ;   in Loop: Header=BB173_25 Depth=1
	v_add_u32_e32 v2, v8, v1
	v_lshl_add_u64 v[10:11], v[2:3], 3, s[8:9]
	v_add_u32_e32 v2, s23, v6
	v_lshl_add_u64 v[6:7], v[2:3], 3, s[8:9]
	global_load_dwordx2 v[12:13], v[10:11], off
	global_load_dwordx2 v[14:15], v[6:7], off
	v_mov_b32_e32 v2, s22
	s_waitcnt vmcnt(0)
	v_fma_f64 v[4:5], -v[4:5], v[12:13], v[14:15]
	global_store_dwordx2 v[6:7], v[4:5], off
	s_branch .LBB173_24
.LBB173_29:
	s_endpgm
	.section	.rodata,"a",@progbits
	.p2align	6, 0x0
	.amdhsa_kernel _ZN9rocsparseL19gtsv_LBM_rhs_kernelILj256ELj256ELj1EdEEviiiPKT2_S3_S3_PS1_S3_PKi
		.amdhsa_group_segment_fixed_size 0
		.amdhsa_private_segment_fixed_size 0
		.amdhsa_kernarg_size 64
		.amdhsa_user_sgpr_count 2
		.amdhsa_user_sgpr_dispatch_ptr 0
		.amdhsa_user_sgpr_queue_ptr 0
		.amdhsa_user_sgpr_kernarg_segment_ptr 1
		.amdhsa_user_sgpr_dispatch_id 0
		.amdhsa_user_sgpr_kernarg_preload_length 0
		.amdhsa_user_sgpr_kernarg_preload_offset 0
		.amdhsa_user_sgpr_private_segment_size 0
		.amdhsa_uses_dynamic_stack 0
		.amdhsa_enable_private_segment 0
		.amdhsa_system_sgpr_workgroup_id_x 1
		.amdhsa_system_sgpr_workgroup_id_y 1
		.amdhsa_system_sgpr_workgroup_id_z 0
		.amdhsa_system_sgpr_workgroup_info 0
		.amdhsa_system_vgpr_workitem_id 0
		.amdhsa_next_free_vgpr 38
		.amdhsa_next_free_sgpr 28
		.amdhsa_accum_offset 40
		.amdhsa_reserve_vcc 1
		.amdhsa_float_round_mode_32 0
		.amdhsa_float_round_mode_16_64 0
		.amdhsa_float_denorm_mode_32 3
		.amdhsa_float_denorm_mode_16_64 3
		.amdhsa_dx10_clamp 1
		.amdhsa_ieee_mode 1
		.amdhsa_fp16_overflow 0
		.amdhsa_tg_split 0
		.amdhsa_exception_fp_ieee_invalid_op 0
		.amdhsa_exception_fp_denorm_src 0
		.amdhsa_exception_fp_ieee_div_zero 0
		.amdhsa_exception_fp_ieee_overflow 0
		.amdhsa_exception_fp_ieee_underflow 0
		.amdhsa_exception_fp_ieee_inexact 0
		.amdhsa_exception_int_div_zero 0
	.end_amdhsa_kernel
	.section	.text._ZN9rocsparseL19gtsv_LBM_rhs_kernelILj256ELj256ELj1EdEEviiiPKT2_S3_S3_PS1_S3_PKi,"axG",@progbits,_ZN9rocsparseL19gtsv_LBM_rhs_kernelILj256ELj256ELj1EdEEviiiPKT2_S3_S3_PS1_S3_PKi,comdat
.Lfunc_end173:
	.size	_ZN9rocsparseL19gtsv_LBM_rhs_kernelILj256ELj256ELj1EdEEviiiPKT2_S3_S3_PS1_S3_PKi, .Lfunc_end173-_ZN9rocsparseL19gtsv_LBM_rhs_kernelILj256ELj256ELj1EdEEviiiPKT2_S3_S3_PS1_S3_PKi
                                        ; -- End function
	.set _ZN9rocsparseL19gtsv_LBM_rhs_kernelILj256ELj256ELj1EdEEviiiPKT2_S3_S3_PS1_S3_PKi.num_vgpr, 38
	.set _ZN9rocsparseL19gtsv_LBM_rhs_kernelILj256ELj256ELj1EdEEviiiPKT2_S3_S3_PS1_S3_PKi.num_agpr, 0
	.set _ZN9rocsparseL19gtsv_LBM_rhs_kernelILj256ELj256ELj1EdEEviiiPKT2_S3_S3_PS1_S3_PKi.numbered_sgpr, 28
	.set _ZN9rocsparseL19gtsv_LBM_rhs_kernelILj256ELj256ELj1EdEEviiiPKT2_S3_S3_PS1_S3_PKi.num_named_barrier, 0
	.set _ZN9rocsparseL19gtsv_LBM_rhs_kernelILj256ELj256ELj1EdEEviiiPKT2_S3_S3_PS1_S3_PKi.private_seg_size, 0
	.set _ZN9rocsparseL19gtsv_LBM_rhs_kernelILj256ELj256ELj1EdEEviiiPKT2_S3_S3_PS1_S3_PKi.uses_vcc, 1
	.set _ZN9rocsparseL19gtsv_LBM_rhs_kernelILj256ELj256ELj1EdEEviiiPKT2_S3_S3_PS1_S3_PKi.uses_flat_scratch, 0
	.set _ZN9rocsparseL19gtsv_LBM_rhs_kernelILj256ELj256ELj1EdEEviiiPKT2_S3_S3_PS1_S3_PKi.has_dyn_sized_stack, 0
	.set _ZN9rocsparseL19gtsv_LBM_rhs_kernelILj256ELj256ELj1EdEEviiiPKT2_S3_S3_PS1_S3_PKi.has_recursion, 0
	.set _ZN9rocsparseL19gtsv_LBM_rhs_kernelILj256ELj256ELj1EdEEviiiPKT2_S3_S3_PS1_S3_PKi.has_indirect_call, 0
	.section	.AMDGPU.csdata,"",@progbits
; Kernel info:
; codeLenInByte = 1356
; TotalNumSgprs: 34
; NumVgprs: 38
; NumAgprs: 0
; TotalNumVgprs: 38
; ScratchSize: 0
; MemoryBound: 0
; FloatMode: 240
; IeeeMode: 1
; LDSByteSize: 0 bytes/workgroup (compile time only)
; SGPRBlocks: 4
; VGPRBlocks: 4
; NumSGPRsForWavesPerEU: 34
; NumVGPRsForWavesPerEU: 38
; AccumOffset: 40
; Occupancy: 8
; WaveLimiterHint : 0
; COMPUTE_PGM_RSRC2:SCRATCH_EN: 0
; COMPUTE_PGM_RSRC2:USER_SGPR: 2
; COMPUTE_PGM_RSRC2:TRAP_HANDLER: 0
; COMPUTE_PGM_RSRC2:TGID_X_EN: 1
; COMPUTE_PGM_RSRC2:TGID_Y_EN: 1
; COMPUTE_PGM_RSRC2:TGID_Z_EN: 0
; COMPUTE_PGM_RSRC2:TIDIG_COMP_CNT: 0
; COMPUTE_PGM_RSRC3_GFX90A:ACCUM_OFFSET: 9
; COMPUTE_PGM_RSRC3_GFX90A:TG_SPLIT: 0
	.section	.text._ZN9rocsparseL29gtsv_spike_block_level_kernelILj256ELj256EdEEviiiPT1_PKS1_S4_S2_S2_S2_S2_S2_,"axG",@progbits,_ZN9rocsparseL29gtsv_spike_block_level_kernelILj256ELj256EdEEviiiPT1_PKS1_S4_S2_S2_S2_S2_S2_,comdat
	.globl	_ZN9rocsparseL29gtsv_spike_block_level_kernelILj256ELj256EdEEviiiPT1_PKS1_S4_S2_S2_S2_S2_S2_ ; -- Begin function _ZN9rocsparseL29gtsv_spike_block_level_kernelILj256ELj256EdEEviiiPT1_PKS1_S4_S2_S2_S2_S2_S2_
	.p2align	8
	.type	_ZN9rocsparseL29gtsv_spike_block_level_kernelILj256ELj256EdEEviiiPT1_PKS1_S4_S2_S2_S2_S2_S2_,@function
_ZN9rocsparseL29gtsv_spike_block_level_kernelILj256ELj256EdEEviiiPT1_PKS1_S4_S2_S2_S2_S2_S2_: ; @_ZN9rocsparseL29gtsv_spike_block_level_kernelILj256ELj256EdEEviiiPT1_PKS1_S4_S2_S2_S2_S2_S2_
; %bb.0:
	s_load_dword s14, s[0:1], 0x0
	s_load_dwordx2 s[8:9], s[0:1], 0x18
	v_lshl_or_b32 v2, s2, 8, v0
	v_mov_b64_e32 v[4:5], 0
	v_mov_b64_e32 v[8:9], 0
	s_waitcnt lgkmcnt(0)
	s_lshr_b32 s19, s14, 8
	v_cmp_gt_i32_e64 s[4:5], s19, v2
	s_and_saveexec_b64 s[6:7], s[4:5]
	s_cbranch_execz .LBB174_2
; %bb.1:
	v_ashrrev_i32_e32 v3, 31, v2
	v_lshl_add_u64 v[6:7], v[2:3], 3, s[8:9]
	global_load_dwordx2 v[8:9], v[6:7], off
.LBB174_2:
	s_or_b64 exec, exec, s[6:7]
	s_load_dwordx2 s[6:7], s[0:1], 0x20
	v_lshlrev_b32_e32 v1, 3, v0
	v_or_b32_e32 v6, 0x1000, v1
	s_mul_i32 s18, s19, 0xff
	s_waitcnt vmcnt(0)
	ds_write_b64 v1, v[8:9] offset:4096
	s_and_saveexec_b64 s[10:11], s[4:5]
	s_cbranch_execz .LBB174_4
; %bb.3:
	s_mul_i32 s12, s19, 0xff
	v_add_u32_e32 v4, s12, v2
	v_mov_b32_e32 v5, 0
	v_lshl_add_u64 v[4:5], v[4:5], 3, s[8:9]
	global_load_dwordx2 v[4:5], v[4:5], off
.LBB174_4:
	s_or_b64 exec, exec, s[10:11]
	s_waitcnt vmcnt(0)
	ds_write_b64 v6, v[4:5] offset:2048
	v_mov_b64_e32 v[4:5], 0
	v_mov_b64_e32 v[8:9], 0
	s_and_saveexec_b64 s[8:9], s[4:5]
	s_cbranch_execz .LBB174_6
; %bb.5:
	v_ashrrev_i32_e32 v3, 31, v2
	s_waitcnt lgkmcnt(0)
	v_lshl_add_u64 v[8:9], v[2:3], 3, s[6:7]
	global_load_dwordx2 v[8:9], v[8:9], off
.LBB174_6:
	s_or_b64 exec, exec, s[8:9]
	s_load_dwordx2 s[12:13], s[0:1], 0x10
	s_waitcnt vmcnt(0)
	ds_write_b64 v1, v[8:9]
	s_and_saveexec_b64 s[8:9], s[4:5]
	s_cbranch_execz .LBB174_8
; %bb.7:
	s_mul_i32 s10, s19, 0xff
	v_add_u32_e32 v4, s10, v2
	v_mov_b32_e32 v5, 0
	s_waitcnt lgkmcnt(0)
	v_lshl_add_u64 v[4:5], v[4:5], 3, s[6:7]
	global_load_dwordx2 v[4:5], v[4:5], off
.LBB174_8:
	s_or_b64 exec, exec, s[8:9]
	s_mul_i32 s14, s14, s3
	s_waitcnt vmcnt(0)
	ds_write_b64 v1, v[4:5] offset:2048
	v_mov_b64_e32 v[8:9], 0
	v_add_u32_e32 v4, s14, v2
	v_mov_b64_e32 v[10:11], 0
	s_waitcnt lgkmcnt(0)
	s_and_saveexec_b64 s[6:7], s[4:5]
	s_cbranch_execz .LBB174_10
; %bb.9:
	v_ashrrev_i32_e32 v5, 31, v4
	v_lshl_add_u64 v[10:11], v[4:5], 3, s[12:13]
	global_load_dwordx2 v[10:11], v[10:11], off
.LBB174_10:
	s_or_b64 exec, exec, s[6:7]
	v_or_b32_e32 v5, 0x2000, v1
	s_waitcnt vmcnt(0)
	ds_write_b64 v1, v[10:11] offset:8192
	s_and_saveexec_b64 s[6:7], s[4:5]
	s_cbranch_execz .LBB174_12
; %bb.11:
	s_mul_i32 s8, s19, 0xff
	s_add_i32 s8, s8, s14
	v_add_u32_e32 v8, s8, v2
	v_mov_b32_e32 v9, 0
	v_lshl_add_u64 v[8:9], v[8:9], 3, s[12:13]
	global_load_dwordx2 v[8:9], v[8:9], off
.LBB174_12:
	s_or_b64 exec, exec, s[6:7]
	s_movk_i32 s6, 0x80
	v_cmp_gt_u32_e32 vcc, s6, v0
	s_waitcnt vmcnt(0)
	ds_write_b64 v5, v[8:9] offset:2048
	s_waitcnt lgkmcnt(0)
	s_barrier
	s_and_saveexec_b64 s[6:7], vcc
	s_cbranch_execz .LBB174_14
; %bb.13:
	v_add_u32_e32 v3, v6, v1
	ds_read_b128 v[8:11], v3
	v_add_u32_e32 v7, v1, v1
	ds_read_b128 v[12:15], v7 offset:2048
	ds_read_b128 v[16:19], v7
	ds_read_b128 v[20:23], v3 offset:2048
	v_add_u32_e32 v42, v5, v1
	s_waitcnt lgkmcnt(2)
	v_fma_f64 v[32:33], -v[10:11], v[12:13], 1.0
	v_div_scale_f64 v[34:35], s[8:9], v[32:33], v[32:33], 1.0
	v_rcp_f64_e32 v[36:37], v[34:35]
	v_div_scale_f64 v[38:39], vcc, 1.0, v[32:33], 1.0
	v_fma_f64 v[24:25], -v[34:35], v[36:37], 1.0
	v_fmac_f64_e32 v[36:37], v[36:37], v[24:25]
	v_fma_f64 v[24:25], -v[34:35], v[36:37], 1.0
	v_fmac_f64_e32 v[36:37], v[36:37], v[24:25]
	ds_read_b128 v[24:27], v42 offset:2048
	ds_read_b128 v[28:31], v42
	v_mul_f64 v[40:41], v[38:39], v[36:37]
	v_fma_f64 v[34:35], -v[34:35], v[40:41], v[38:39]
	v_div_fmas_f64 v[34:35], v[34:35], v[36:37], v[40:41]
	v_div_fixup_f64 v[36:37], v[34:35], v[32:33], 1.0
	s_waitcnt lgkmcnt(0)
	v_fma_f64 v[32:33], -v[12:13], v[30:31], v[24:25]
	v_fma_f64 v[24:25], -v[10:11], v[24:25], v[30:31]
	v_mul_f64 v[12:13], v[12:13], v[18:19]
	v_mul_f64 v[10:11], v[10:11], v[20:21]
	v_mul_f64 v[32:33], v[36:37], v[32:33]
	v_mul_f64 v[30:31], v[24:25], v[36:37]
	v_mul_f64 v[12:13], v[12:13], -v[36:37]
	v_mul_f64 v[18:19], v[36:37], v[18:19]
	v_mul_f64 v[10:11], v[10:11], -v[36:37]
	v_mul_f64 v[20:21], v[36:37], v[20:21]
	v_fma_f64 v[28:29], -v[30:31], v[16:17], v[28:29]
	v_fma_f64 v[34:35], -v[22:23], v[32:33], v[26:27]
	;; [unrolled: 1-line block ×3, first 2 shown]
	v_mul_f64 v[16:17], v[18:19], -v[16:17]
	v_fma_f64 v[14:15], -v[12:13], v[22:23], v[14:15]
	v_mul_f64 v[22:23], v[20:21], -v[22:23]
	ds_write_b128 v42, v[28:31]
	ds_write_b128 v42, v[32:35] offset:2048
	ds_write_b128 v3, v[8:11]
	ds_write_b128 v7, v[16:19]
	ds_write_b128 v7, v[12:15] offset:2048
	ds_write_b128 v3, v[20:23] offset:2048
.LBB174_14:
	s_or_b64 exec, exec, s[6:7]
	v_cmp_gt_u32_e32 vcc, 64, v0
	s_waitcnt lgkmcnt(0)
	s_barrier
	s_and_saveexec_b64 s[6:7], vcc
	s_cbranch_execz .LBB174_16
; %bb.15:
	v_lshlrev_b32_e32 v3, 5, v0
	v_add_u32_e32 v7, 0x1000, v3
	v_add_u32_e32 v36, 0x800, v3
	ds_read2_b64 v[8:11], v7 offset1:2
	ds_read2_b64 v[12:15], v36 offset0:1 offset1:3
	v_mad_u32_u24 v37, v0, 24, v5
	v_add_u32_e32 v38, 0x800, v37
	v_add_u32_e32 v39, 0x1800, v3
	s_waitcnt lgkmcnt(0)
	v_fma_f64 v[24:25], -v[10:11], v[12:13], 1.0
	v_div_scale_f64 v[26:27], s[8:9], v[24:25], v[24:25], 1.0
	v_rcp_f64_e32 v[28:29], v[26:27]
	v_div_scale_f64 v[30:31], vcc, 1.0, v[24:25], 1.0
	v_fma_f64 v[16:17], -v[26:27], v[28:29], 1.0
	v_fmac_f64_e32 v[28:29], v[28:29], v[16:17]
	v_fma_f64 v[16:17], -v[26:27], v[28:29], 1.0
	v_fmac_f64_e32 v[28:29], v[28:29], v[16:17]
	ds_read2_b64 v[16:19], v38 offset0:1 offset1:3
	ds_read2_b64 v[20:23], v37 offset1:2
	v_mul_f64 v[32:33], v[30:31], v[28:29]
	v_fma_f64 v[26:27], -v[26:27], v[32:33], v[30:31]
	v_div_fmas_f64 v[26:27], v[26:27], v[28:29], v[32:33]
	v_div_fixup_f64 v[32:33], v[26:27], v[24:25], 1.0
	s_waitcnt lgkmcnt(0)
	v_fma_f64 v[24:25], -v[12:13], v[22:23], v[16:17]
	v_mul_f64 v[34:35], v[32:33], v[24:25]
	ds_read2_b64 v[24:27], v3 offset1:2
	ds_read2_b64 v[28:31], v39 offset0:1 offset1:3
	v_fma_f64 v[16:17], -v[10:11], v[16:17], v[22:23]
	v_mul_f64 v[16:17], v[16:17], v[32:33]
	s_waitcnt lgkmcnt(1)
	v_fma_f64 v[20:21], -v[16:17], v[24:25], v[20:21]
	s_waitcnt lgkmcnt(0)
	v_mul_f64 v[10:11], v[10:11], v[28:29]
	ds_write2_b64 v37, v[20:21], v[16:17] offset1:2
	v_fma_f64 v[16:17], -v[30:31], v[34:35], v[18:19]
	v_mul_f64 v[10:11], v[10:11], -v[32:33]
	ds_write2_b64 v38, v[34:35], v[16:17] offset0:1 offset1:3
	v_mul_f64 v[12:13], v[12:13], v[26:27]
	v_mul_f64 v[16:17], v[32:33], v[26:27]
	v_fma_f64 v[8:9], -v[10:11], v[24:25], v[8:9]
	v_mul_f64 v[12:13], v[12:13], -v[32:33]
	ds_write2_b64 v7, v[8:9], v[10:11] offset1:2
	v_mul_f64 v[8:9], v[16:17], -v[24:25]
	v_mul_f64 v[18:19], v[32:33], v[28:29]
	ds_write2_b64 v3, v[8:9], v[16:17] offset1:2
	v_fma_f64 v[8:9], -v[12:13], v[30:31], v[14:15]
	ds_write2_b64 v36, v[12:13], v[8:9] offset0:1 offset1:3
	v_mul_f64 v[8:9], v[18:19], -v[30:31]
	ds_write2_b64 v39, v[18:19], v[8:9] offset0:1 offset1:3
.LBB174_16:
	s_or_b64 exec, exec, s[6:7]
	v_cmp_gt_u32_e32 vcc, 32, v0
	s_waitcnt lgkmcnt(0)
	s_barrier
	s_and_saveexec_b64 s[6:7], vcc
	s_cbranch_execz .LBB174_18
; %bb.17:
	v_lshlrev_b32_e32 v3, 6, v0
	v_add_u32_e32 v7, 0x1000, v3
	v_add_u32_e32 v36, 0x800, v3
	ds_read2_b64 v[8:11], v7 offset1:4
	ds_read2_b64 v[12:15], v36 offset0:3 offset1:7
	v_add_u32_e32 v37, 0x2800, v3
	v_add_u32_e32 v38, 0x2000, v3
	ds_read2_b64 v[16:19], v37 offset0:3 offset1:7
	v_add_u32_e32 v39, 0x1800, v3
	s_waitcnt lgkmcnt(1)
	v_fma_f64 v[24:25], -v[10:11], v[12:13], 1.0
	v_div_scale_f64 v[26:27], s[8:9], v[24:25], v[24:25], 1.0
	v_rcp_f64_e32 v[28:29], v[26:27]
	v_div_scale_f64 v[30:31], vcc, 1.0, v[24:25], 1.0
	v_fma_f64 v[20:21], -v[26:27], v[28:29], 1.0
	v_fmac_f64_e32 v[28:29], v[28:29], v[20:21]
	v_fma_f64 v[20:21], -v[26:27], v[28:29], 1.0
	v_fmac_f64_e32 v[28:29], v[28:29], v[20:21]
	ds_read2_b64 v[20:23], v38 offset1:4
	v_mul_f64 v[32:33], v[30:31], v[28:29]
	v_fma_f64 v[26:27], -v[26:27], v[32:33], v[30:31]
	v_div_fmas_f64 v[26:27], v[26:27], v[28:29], v[32:33]
	v_div_fixup_f64 v[32:33], v[26:27], v[24:25], 1.0
	s_waitcnt lgkmcnt(0)
	v_fma_f64 v[24:25], -v[12:13], v[22:23], v[16:17]
	v_mul_f64 v[34:35], v[32:33], v[24:25]
	ds_read2_b64 v[24:27], v3 offset1:4
	ds_read2_b64 v[28:31], v39 offset0:3 offset1:7
	v_fma_f64 v[16:17], -v[10:11], v[16:17], v[22:23]
	v_mul_f64 v[16:17], v[16:17], v[32:33]
	s_waitcnt lgkmcnt(1)
	v_fma_f64 v[20:21], -v[16:17], v[24:25], v[20:21]
	s_waitcnt lgkmcnt(0)
	v_mul_f64 v[10:11], v[10:11], v[28:29]
	ds_write2_b64 v38, v[20:21], v[16:17] offset1:4
	v_fma_f64 v[16:17], -v[30:31], v[34:35], v[18:19]
	v_mul_f64 v[10:11], v[10:11], -v[32:33]
	ds_write2_b64 v37, v[34:35], v[16:17] offset0:3 offset1:7
	v_mul_f64 v[12:13], v[12:13], v[26:27]
	v_mul_f64 v[16:17], v[32:33], v[26:27]
	v_fma_f64 v[8:9], -v[10:11], v[24:25], v[8:9]
	v_mul_f64 v[12:13], v[12:13], -v[32:33]
	ds_write2_b64 v7, v[8:9], v[10:11] offset1:4
	v_mul_f64 v[8:9], v[16:17], -v[24:25]
	v_mul_f64 v[18:19], v[32:33], v[28:29]
	ds_write2_b64 v3, v[8:9], v[16:17] offset1:4
	v_fma_f64 v[8:9], -v[12:13], v[30:31], v[14:15]
	ds_write2_b64 v36, v[12:13], v[8:9] offset0:3 offset1:7
	v_mul_f64 v[8:9], v[18:19], -v[30:31]
	ds_write2_b64 v39, v[18:19], v[8:9] offset0:3 offset1:7
.LBB174_18:
	s_or_b64 exec, exec, s[6:7]
	v_cmp_gt_u32_e32 vcc, 16, v0
	s_waitcnt lgkmcnt(0)
	s_barrier
	s_and_saveexec_b64 s[6:7], vcc
	s_cbranch_execz .LBB174_20
; %bb.19:
	v_lshlrev_b32_e32 v3, 7, v0
	v_add_u32_e32 v7, 0x1000, v3
	v_add_u32_e32 v36, 0x800, v3
	ds_read2_b64 v[8:11], v7 offset1:8
	ds_read2_b64 v[12:15], v36 offset0:7 offset1:15
	v_add_u32_e32 v37, 0x2800, v3
	v_add_u32_e32 v38, 0x2000, v3
	ds_read2_b64 v[16:19], v37 offset0:7 offset1:15
	v_add_u32_e32 v39, 0x1800, v3
	s_waitcnt lgkmcnt(1)
	v_fma_f64 v[24:25], -v[10:11], v[12:13], 1.0
	v_div_scale_f64 v[26:27], s[8:9], v[24:25], v[24:25], 1.0
	v_rcp_f64_e32 v[28:29], v[26:27]
	v_div_scale_f64 v[30:31], vcc, 1.0, v[24:25], 1.0
	v_fma_f64 v[20:21], -v[26:27], v[28:29], 1.0
	v_fmac_f64_e32 v[28:29], v[28:29], v[20:21]
	v_fma_f64 v[20:21], -v[26:27], v[28:29], 1.0
	v_fmac_f64_e32 v[28:29], v[28:29], v[20:21]
	ds_read2_b64 v[20:23], v38 offset1:8
	v_mul_f64 v[32:33], v[30:31], v[28:29]
	v_fma_f64 v[26:27], -v[26:27], v[32:33], v[30:31]
	v_div_fmas_f64 v[26:27], v[26:27], v[28:29], v[32:33]
	v_div_fixup_f64 v[32:33], v[26:27], v[24:25], 1.0
	s_waitcnt lgkmcnt(0)
	v_fma_f64 v[24:25], -v[12:13], v[22:23], v[16:17]
	v_mul_f64 v[34:35], v[32:33], v[24:25]
	ds_read2_b64 v[24:27], v3 offset1:8
	ds_read2_b64 v[28:31], v39 offset0:7 offset1:15
	v_fma_f64 v[16:17], -v[10:11], v[16:17], v[22:23]
	v_mul_f64 v[16:17], v[16:17], v[32:33]
	s_waitcnt lgkmcnt(1)
	v_fma_f64 v[20:21], -v[16:17], v[24:25], v[20:21]
	s_waitcnt lgkmcnt(0)
	v_mul_f64 v[10:11], v[10:11], v[28:29]
	ds_write2_b64 v38, v[20:21], v[16:17] offset1:8
	v_fma_f64 v[16:17], -v[30:31], v[34:35], v[18:19]
	v_mul_f64 v[10:11], v[10:11], -v[32:33]
	ds_write2_b64 v37, v[34:35], v[16:17] offset0:7 offset1:15
	v_mul_f64 v[12:13], v[12:13], v[26:27]
	v_mul_f64 v[16:17], v[32:33], v[26:27]
	v_fma_f64 v[8:9], -v[10:11], v[24:25], v[8:9]
	v_mul_f64 v[12:13], v[12:13], -v[32:33]
	ds_write2_b64 v7, v[8:9], v[10:11] offset1:8
	v_mul_f64 v[8:9], v[16:17], -v[24:25]
	v_mul_f64 v[18:19], v[32:33], v[28:29]
	ds_write2_b64 v3, v[8:9], v[16:17] offset1:8
	v_fma_f64 v[8:9], -v[12:13], v[30:31], v[14:15]
	ds_write2_b64 v36, v[12:13], v[8:9] offset0:7 offset1:15
	v_mul_f64 v[8:9], v[18:19], -v[30:31]
	ds_write2_b64 v39, v[18:19], v[8:9] offset0:7 offset1:15
.LBB174_20:
	;; [unrolled: 58-line block ×4, first 2 shown]
	s_or_b64 exec, exec, s[6:7]
	v_cmp_gt_u32_e32 vcc, 2, v0
	s_waitcnt lgkmcnt(0)
	s_barrier
	s_and_saveexec_b64 s[6:7], vcc
	s_cbranch_execz .LBB174_26
; %bb.25:
	v_lshlrev_b32_e32 v3, 10, v0
	v_add_u32_e32 v7, 0x1f8, v3
	ds_read2st64_b64 v[8:11], v7 offset0:4 offset1:5
	ds_read2st64_b64 v[12:15], v3 offset0:8 offset1:9
	ds_read2st64_b64 v[16:19], v3 offset1:1
	ds_read2st64_b64 v[20:23], v7 offset0:12 offset1:13
	ds_read2st64_b64 v[24:27], v7 offset0:20 offset1:21
	s_waitcnt lgkmcnt(3)
	v_fma_f64 v[32:33], -v[14:15], v[8:9], 1.0
	v_div_scale_f64 v[34:35], s[8:9], v[32:33], v[32:33], 1.0
	v_rcp_f64_e32 v[36:37], v[34:35]
	v_div_scale_f64 v[38:39], vcc, 1.0, v[32:33], 1.0
	v_fma_f64 v[28:29], -v[34:35], v[36:37], 1.0
	v_fmac_f64_e32 v[36:37], v[36:37], v[28:29]
	v_fma_f64 v[28:29], -v[34:35], v[36:37], 1.0
	v_fmac_f64_e32 v[36:37], v[36:37], v[28:29]
	ds_read2st64_b64 v[28:31], v3 offset0:16 offset1:17
	v_mul_f64 v[40:41], v[38:39], v[36:37]
	v_fma_f64 v[34:35], -v[34:35], v[40:41], v[38:39]
	v_div_fmas_f64 v[34:35], v[34:35], v[36:37], v[40:41]
	v_div_fixup_f64 v[32:33], v[34:35], v[32:33], 1.0
	s_waitcnt lgkmcnt(0)
	v_fma_f64 v[34:35], -v[8:9], v[30:31], v[24:25]
	v_fma_f64 v[24:25], -v[14:15], v[24:25], v[30:31]
	v_mul_f64 v[8:9], v[8:9], v[18:19]
	v_mul_f64 v[14:15], v[14:15], v[20:21]
	;; [unrolled: 1-line block ×3, first 2 shown]
	v_mul_f64 v[8:9], v[8:9], -v[32:33]
	v_mul_f64 v[14:15], v[14:15], -v[32:33]
	v_mul_f64 v[34:35], v[32:33], v[34:35]
	v_fma_f64 v[28:29], -v[24:25], v[16:17], v[28:29]
	v_mul_f64 v[18:19], v[32:33], v[18:19]
	v_mul_f64 v[20:21], v[32:33], v[20:21]
	v_fma_f64 v[12:13], -v[14:15], v[16:17], v[12:13]
	v_fma_f64 v[10:11], -v[8:9], v[22:23], v[10:11]
	ds_write2st64_b64 v3, v[28:29], v[24:25] offset0:16 offset1:17
	v_fma_f64 v[24:25], -v[22:23], v[34:35], v[26:27]
	ds_write2st64_b64 v3, v[12:13], v[14:15] offset0:8 offset1:9
	v_mul_f64 v[12:13], v[18:19], -v[16:17]
	ds_write2st64_b64 v7, v[8:9], v[10:11] offset0:4 offset1:5
	v_mul_f64 v[8:9], v[20:21], -v[22:23]
	ds_write2st64_b64 v7, v[34:35], v[24:25] offset0:20 offset1:21
	ds_write2st64_b64 v3, v[12:13], v[18:19] offset1:1
	ds_write2st64_b64 v7, v[20:21], v[8:9] offset0:12 offset1:13
.LBB174_26:
	s_or_b64 exec, exec, s[6:7]
	v_cmp_eq_u32_e64 s[6:7], 0, v0
	s_waitcnt lgkmcnt(0)
	s_barrier
	s_and_saveexec_b64 s[8:9], s[6:7]
	s_cbranch_execz .LBB174_28
; %bb.27:
	s_movk_i32 s10, 0x1400
	v_add_u32_e64 v3, s10, 0
	v_mov_b32_e32 v0, 0
	ds_read2_b64 v[8:11], v3 offset1:255
	ds_read_b64 v[24:25], v0 offset:3064
	ds_read_b64 v[26:27], v0 offset:12280
	v_mov_b32_e32 v34, 0x1ff8
	s_waitcnt lgkmcnt(1)
	v_fma_f64 v[16:17], -v[8:9], v[24:25], 1.0
	v_div_scale_f64 v[18:19], s[10:11], v[16:17], v[16:17], 1.0
	v_rcp_f64_e32 v[20:21], v[18:19]
	s_movk_i32 s10, 0x2400
	v_add_u32_e64 v7, s10, 0
	v_div_scale_f64 v[22:23], vcc, 1.0, v[16:17], 1.0
	v_fma_f64 v[12:13], -v[18:19], v[20:21], 1.0
	v_fmac_f64_e32 v[20:21], v[20:21], v[12:13]
	v_fma_f64 v[12:13], -v[18:19], v[20:21], 1.0
	v_fmac_f64_e32 v[20:21], v[20:21], v[12:13]
	ds_read2_b64 v[12:15], v7 offset1:255
	v_mul_f64 v[28:29], v[22:23], v[20:21]
	v_fma_f64 v[18:19], -v[18:19], v[28:29], v[22:23]
	v_div_fmas_f64 v[18:19], v[18:19], v[20:21], v[28:29]
	v_div_fixup_f64 v[28:29], v[18:19], v[16:17], 1.0
	s_waitcnt lgkmcnt(0)
	v_fma_f64 v[16:17], -v[24:25], v[12:13], v[14:15]
	v_fma_f64 v[20:21], -v[8:9], v[14:15], v[12:13]
	v_mul_f64 v[30:31], v[28:29], v[16:17]
	v_mul_f64 v[32:33], v[20:21], v[28:29]
	ds_read2_b64 v[12:15], v34 offset1:1
	ds_read2st64_b64 v[16:19], v0 offset1:2
	ds_write2_b64 v7, v[32:33], v[30:31] offset1:255
	v_mov_b32_e32 v7, 0xff8
	ds_read2_b64 v[20:23], v7 offset1:1
	v_mul_f64 v[8:9], v[8:9], v[10:11]
	s_waitcnt lgkmcnt(2)
	v_mul_f64 v[24:25], v[24:25], v[18:19]
	v_mul_f64 v[18:19], v[28:29], v[18:19]
	v_mul_f64 v[8:9], v[8:9], -v[28:29]
	v_mul_f64 v[10:11], v[28:29], v[10:11]
	v_fma_f64 v[14:15], -v[32:33], v[16:17], v[14:15]
	v_mul_f64 v[24:25], v[24:25], -v[28:29]
	ds_write2_b64 v3, v[8:9], v[10:11] offset1:255
	s_waitcnt lgkmcnt(1)
	v_fma_f64 v[8:9], -v[8:9], v[16:17], v[22:23]
	v_mul_f64 v[16:17], v[18:19], -v[16:17]
	ds_write2st64_b64 v0, v[16:17], v[18:19] offset1:2
	v_fma_f64 v[16:17], -v[24:25], v[12:13], v[20:21]
	v_fma_f64 v[26:27], -v[12:13], v[30:31], v[26:27]
	ds_write2_b64 v7, v[16:17], v[8:9] offset1:1
	v_mul_f64 v[8:9], v[10:11], -v[12:13]
	ds_write_b64 v0, v[26:27] offset:12280
	ds_write_b64 v0, v[24:25] offset:3064
	ds_write2_b64 v34, v[8:9], v[14:15] offset1:1
.LBB174_28:
	s_or_b64 exec, exec, s[8:9]
	s_load_dwordx2 s[14:15], s[0:1], 0x48
	s_load_dwordx4 s[8:11], s[0:1], 0x38
	s_waitcnt lgkmcnt(0)
	s_barrier
	s_and_saveexec_b64 s[16:17], s[4:5]
	s_cbranch_execnz .LBB174_31
; %bb.29:
	s_or_b64 exec, exec, s[16:17]
	s_and_saveexec_b64 s[4:5], s[6:7]
	s_cbranch_execnz .LBB174_35
.LBB174_30:
	s_endpgm
.LBB174_31:
	s_cmp_eq_u32 s3, 0
	s_cbranch_scc1 .LBB174_39
; %bb.32:
	s_mulk_i32 s19, 0xff
	s_cbranch_execnz .LBB174_34
.LBB174_33:
	s_load_dwordx4 s[20:23], s[0:1], 0x28
	ds_read2st64_b64 v[6:9], v6 offset1:4
	v_ashrrev_i32_e32 v3, 31, v2
	v_lshlrev_b64 v[12:13], 3, v[2:3]
	v_add_u32_e32 v10, s18, v2
	s_waitcnt lgkmcnt(0)
	v_lshl_add_u64 v[2:3], s[20:21], 0, v[12:13]
	global_store_dwordx2 v[2:3], v[6:7], off
	ds_read2st64_b64 v[0:3], v1 offset1:4
	v_mov_b32_e32 v11, 0
	v_lshlrev_b64 v[6:7], 3, v[10:11]
	v_lshl_add_u64 v[10:11], s[20:21], 0, v[6:7]
	global_store_dwordx2 v[10:11], v[8:9], off
	v_lshl_add_u64 v[8:9], s[22:23], 0, v[12:13]
	s_waitcnt lgkmcnt(0)
	global_store_dwordx2 v[8:9], v[0:1], off
	v_lshl_add_u64 v[0:1], s[22:23], 0, v[6:7]
	s_mov_b32 s19, s18
	global_store_dwordx2 v[0:1], v[2:3], off
.LBB174_34:
	ds_read2st64_b64 v[0:3], v5 offset1:4
	v_ashrrev_i32_e32 v5, 31, v4
	v_add_u32_e32 v6, s19, v4
	v_mov_b32_e32 v7, 0
	v_lshl_add_u64 v[4:5], v[4:5], 3, s[12:13]
	s_waitcnt lgkmcnt(0)
	global_store_dwordx2 v[4:5], v[0:1], off
	v_lshl_add_u64 v[0:1], v[6:7], 3, s[12:13]
	global_store_dwordx2 v[0:1], v[2:3], off
	s_or_b64 exec, exec, s[16:17]
	s_and_saveexec_b64 s[4:5], s[6:7]
	s_cbranch_execz .LBB174_30
.LBB174_35:
	s_cmp_eq_u32 s3, 0
	s_cbranch_scc1 .LBB174_40
; %bb.36:
	s_load_dword s6, s[0:1], 0x50
	s_cbranch_execnz .LBB174_38
.LBB174_37:
	s_waitcnt lgkmcnt(0)
	s_load_dword s6, s[0:1], 0x50
	v_mov_b32_e32 v0, 0xff8
	ds_read2_b64 v[6:9], v0 offset1:1
	s_mov_b32 s4, s3
	s_ashr_i32 s3, s2, 31
	s_lshl_b64 s[12:13], s[2:3], 3
	v_mov_b32_e32 v4, 0
	s_mov_b32 s3, s4
	s_add_u32 s4, s10, s12
	ds_read_b64 v[2:3], v4 offset:8184
	s_addc_u32 s5, s11, s13
	s_waitcnt lgkmcnt(0)
	s_add_i32 s0, s6, s2
	s_mov_b32 s1, 0
	s_lshl_b64 s[0:1], s[0:1], 3
	global_store_dwordx2 v4, v[8:9], s[4:5]
	s_add_u32 s4, s10, s0
	ds_read_b64 v[0:1], v4
	s_addc_u32 s5, s11, s1
	global_store_dwordx2 v4, v[2:3], s[4:5]
	s_add_u32 s4, s14, s12
	s_addc_u32 s5, s15, s13
	s_add_u32 s0, s14, s0
	s_addc_u32 s1, s15, s1
	s_waitcnt lgkmcnt(0)
	global_store_dwordx2 v4, v[0:1], s[4:5]
	global_store_dwordx2 v4, v[6:7], s[0:1]
.LBB174_38:
	s_waitcnt lgkmcnt(0)
	s_mul_i32 s0, s6, s3
	s_lshl_b32 s0, s0, 1
	s_add_i32 s0, s0, s2
	s_mov_b32 s1, 0
	v_mov_b32_e32 v4, 0
	s_lshl_b64 s[2:3], s[0:1], 3
	ds_read_b64 v[0:1], v4 offset:8192
	ds_read_b64 v[2:3], v4 offset:12280
	s_add_u32 s2, s8, s2
	s_addc_u32 s3, s9, s3
	s_add_i32 s0, s0, s6
	s_lshl_b64 s[0:1], s[0:1], 3
	s_add_u32 s0, s8, s0
	s_addc_u32 s1, s9, s1
	s_waitcnt lgkmcnt(1)
	global_store_dwordx2 v4, v[0:1], s[2:3]
	s_waitcnt lgkmcnt(0)
	global_store_dwordx2 v4, v[2:3], s[0:1]
	s_endpgm
.LBB174_39:
                                        ; implicit-def: $sgpr19
	s_branch .LBB174_33
.LBB174_40:
                                        ; implicit-def: $sgpr6
	s_branch .LBB174_37
	.section	.rodata,"a",@progbits
	.p2align	6, 0x0
	.amdhsa_kernel _ZN9rocsparseL29gtsv_spike_block_level_kernelILj256ELj256EdEEviiiPT1_PKS1_S4_S2_S2_S2_S2_S2_
		.amdhsa_group_segment_fixed_size 12288
		.amdhsa_private_segment_fixed_size 0
		.amdhsa_kernarg_size 336
		.amdhsa_user_sgpr_count 2
		.amdhsa_user_sgpr_dispatch_ptr 0
		.amdhsa_user_sgpr_queue_ptr 0
		.amdhsa_user_sgpr_kernarg_segment_ptr 1
		.amdhsa_user_sgpr_dispatch_id 0
		.amdhsa_user_sgpr_kernarg_preload_length 0
		.amdhsa_user_sgpr_kernarg_preload_offset 0
		.amdhsa_user_sgpr_private_segment_size 0
		.amdhsa_uses_dynamic_stack 0
		.amdhsa_enable_private_segment 0
		.amdhsa_system_sgpr_workgroup_id_x 1
		.amdhsa_system_sgpr_workgroup_id_y 1
		.amdhsa_system_sgpr_workgroup_id_z 0
		.amdhsa_system_sgpr_workgroup_info 0
		.amdhsa_system_vgpr_workitem_id 0
		.amdhsa_next_free_vgpr 43
		.amdhsa_next_free_sgpr 24
		.amdhsa_accum_offset 44
		.amdhsa_reserve_vcc 1
		.amdhsa_float_round_mode_32 0
		.amdhsa_float_round_mode_16_64 0
		.amdhsa_float_denorm_mode_32 3
		.amdhsa_float_denorm_mode_16_64 3
		.amdhsa_dx10_clamp 1
		.amdhsa_ieee_mode 1
		.amdhsa_fp16_overflow 0
		.amdhsa_tg_split 0
		.amdhsa_exception_fp_ieee_invalid_op 0
		.amdhsa_exception_fp_denorm_src 0
		.amdhsa_exception_fp_ieee_div_zero 0
		.amdhsa_exception_fp_ieee_overflow 0
		.amdhsa_exception_fp_ieee_underflow 0
		.amdhsa_exception_fp_ieee_inexact 0
		.amdhsa_exception_int_div_zero 0
	.end_amdhsa_kernel
	.section	.text._ZN9rocsparseL29gtsv_spike_block_level_kernelILj256ELj256EdEEviiiPT1_PKS1_S4_S2_S2_S2_S2_S2_,"axG",@progbits,_ZN9rocsparseL29gtsv_spike_block_level_kernelILj256ELj256EdEEviiiPT1_PKS1_S4_S2_S2_S2_S2_S2_,comdat
.Lfunc_end174:
	.size	_ZN9rocsparseL29gtsv_spike_block_level_kernelILj256ELj256EdEEviiiPT1_PKS1_S4_S2_S2_S2_S2_S2_, .Lfunc_end174-_ZN9rocsparseL29gtsv_spike_block_level_kernelILj256ELj256EdEEviiiPT1_PKS1_S4_S2_S2_S2_S2_S2_
                                        ; -- End function
	.set _ZN9rocsparseL29gtsv_spike_block_level_kernelILj256ELj256EdEEviiiPT1_PKS1_S4_S2_S2_S2_S2_S2_.num_vgpr, 43
	.set _ZN9rocsparseL29gtsv_spike_block_level_kernelILj256ELj256EdEEviiiPT1_PKS1_S4_S2_S2_S2_S2_S2_.num_agpr, 0
	.set _ZN9rocsparseL29gtsv_spike_block_level_kernelILj256ELj256EdEEviiiPT1_PKS1_S4_S2_S2_S2_S2_S2_.numbered_sgpr, 24
	.set _ZN9rocsparseL29gtsv_spike_block_level_kernelILj256ELj256EdEEviiiPT1_PKS1_S4_S2_S2_S2_S2_S2_.num_named_barrier, 0
	.set _ZN9rocsparseL29gtsv_spike_block_level_kernelILj256ELj256EdEEviiiPT1_PKS1_S4_S2_S2_S2_S2_S2_.private_seg_size, 0
	.set _ZN9rocsparseL29gtsv_spike_block_level_kernelILj256ELj256EdEEviiiPT1_PKS1_S4_S2_S2_S2_S2_S2_.uses_vcc, 1
	.set _ZN9rocsparseL29gtsv_spike_block_level_kernelILj256ELj256EdEEviiiPT1_PKS1_S4_S2_S2_S2_S2_S2_.uses_flat_scratch, 0
	.set _ZN9rocsparseL29gtsv_spike_block_level_kernelILj256ELj256EdEEviiiPT1_PKS1_S4_S2_S2_S2_S2_S2_.has_dyn_sized_stack, 0
	.set _ZN9rocsparseL29gtsv_spike_block_level_kernelILj256ELj256EdEEviiiPT1_PKS1_S4_S2_S2_S2_S2_S2_.has_recursion, 0
	.set _ZN9rocsparseL29gtsv_spike_block_level_kernelILj256ELj256EdEEviiiPT1_PKS1_S4_S2_S2_S2_S2_S2_.has_indirect_call, 0
	.section	.AMDGPU.csdata,"",@progbits
; Kernel info:
; codeLenInByte = 4044
; TotalNumSgprs: 30
; NumVgprs: 43
; NumAgprs: 0
; TotalNumVgprs: 43
; ScratchSize: 0
; MemoryBound: 0
; FloatMode: 240
; IeeeMode: 1
; LDSByteSize: 12288 bytes/workgroup (compile time only)
; SGPRBlocks: 3
; VGPRBlocks: 5
; NumSGPRsForWavesPerEU: 30
; NumVGPRsForWavesPerEU: 43
; AccumOffset: 44
; Occupancy: 8
; WaveLimiterHint : 0
; COMPUTE_PGM_RSRC2:SCRATCH_EN: 0
; COMPUTE_PGM_RSRC2:USER_SGPR: 2
; COMPUTE_PGM_RSRC2:TRAP_HANDLER: 0
; COMPUTE_PGM_RSRC2:TGID_X_EN: 1
; COMPUTE_PGM_RSRC2:TGID_Y_EN: 1
; COMPUTE_PGM_RSRC2:TGID_Z_EN: 0
; COMPUTE_PGM_RSRC2:TIDIG_COMP_CNT: 0
; COMPUTE_PGM_RSRC3_GFX90A:ACCUM_OFFSET: 10
; COMPUTE_PGM_RSRC3_GFX90A:TG_SPLIT: 0
	.section	.text._ZN9rocsparseL33gtsv_solve_spike_propagate_kernelILj256ELj256EdEEviiiPT1_PKS1_S4_S4_,"axG",@progbits,_ZN9rocsparseL33gtsv_solve_spike_propagate_kernelILj256ELj256EdEEviiiPT1_PKS1_S4_S4_,comdat
	.globl	_ZN9rocsparseL33gtsv_solve_spike_propagate_kernelILj256ELj256EdEEviiiPT1_PKS1_S4_S4_ ; -- Begin function _ZN9rocsparseL33gtsv_solve_spike_propagate_kernelILj256ELj256EdEEviiiPT1_PKS1_S4_S4_
	.p2align	8
	.type	_ZN9rocsparseL33gtsv_solve_spike_propagate_kernelILj256ELj256EdEEviiiPT1_PKS1_S4_S4_,@function
_ZN9rocsparseL33gtsv_solve_spike_propagate_kernelILj256ELj256EdEEviiiPT1_PKS1_S4_S4_: ; @_ZN9rocsparseL33gtsv_solve_spike_propagate_kernelILj256ELj256EdEEviiiPT1_PKS1_S4_S4_
; %bb.0:
	s_load_dword s8, s[0:1], 0x0
	v_lshl_or_b32 v2, s2, 8, v0
	v_mov_b64_e32 v[4:5], 0
	v_ashrrev_i32_e32 v3, 31, v2
	v_mov_b64_e32 v[6:7], 0
	s_waitcnt lgkmcnt(0)
	s_lshr_b32 s14, s8, 8
	v_cmp_le_i32_e64 s[4:5], s14, v2
	v_cmp_gt_i32_e32 vcc, s14, v2
	s_mulk_i32 s14, 0xff
	s_and_saveexec_b64 s[6:7], vcc
	s_cbranch_execz .LBB175_2
; %bb.1:
	s_load_dwordx2 s[10:11], s[0:1], 0x18
	v_add_u32_e32 v4, s14, v2
	v_mov_b32_e32 v5, 0
	s_waitcnt lgkmcnt(0)
	v_lshl_add_u64 v[8:9], v[2:3], 3, s[10:11]
	v_lshl_add_u64 v[10:11], v[4:5], 3, s[10:11]
	global_load_dwordx2 v[4:5], v[8:9], off
	global_load_dwordx2 v[6:7], v[10:11], off
.LBB175_2:
	s_or_b64 exec, exec, s[6:7]
	s_load_dwordx2 s[6:7], s[0:1], 0x10
	v_lshlrev_b32_e32 v1, 3, v0
	v_add_u32_e32 v8, 16, v1
	s_waitcnt vmcnt(0)
	ds_write2st64_b64 v8, v[4:5], v[6:7] offset0:16 offset1:20
	s_and_saveexec_b64 s[10:11], s[4:5]
	s_xor_b64 s[4:5], exec, s[10:11]
; %bb.3:
	s_mov_b32 s10, 0
	s_mov_b32 s11, s10
	v_mov_b64_e32 v[4:5], s[10:11]
	ds_write2st64_b64 v8, v[4:5], v[4:5] offset0:8 offset1:12
; %bb.4:
	s_or_saveexec_b64 s[4:5], s[4:5]
	v_mov_b64_e32 v[4:5], 0
	s_mul_i32 s8, s8, s3
	v_mov_b64_e32 v[6:7], 0
	s_xor_b64 exec, exec, s[4:5]
	s_cbranch_execz .LBB175_6
; %bb.5:
	s_load_dwordx2 s[10:11], s[0:1], 0x20
	v_add_u32_e32 v6, s14, v2
	v_mov_b32_e32 v7, 0
	s_waitcnt lgkmcnt(0)
	v_lshl_add_u64 v[10:11], v[6:7], 3, s[10:11]
	v_add_u32_e32 v6, s8, v6
	v_lshl_add_u64 v[8:9], v[2:3], 3, s[10:11]
	v_lshl_add_u64 v[6:7], v[6:7], 3, s[6:7]
	global_load_dwordx2 v[12:13], v[8:9], off
	global_load_dwordx2 v[14:15], v[10:11], off
	v_add_u32_e32 v3, 16, v1
	global_load_dwordx2 v[6:7], v[6:7], off
	s_waitcnt vmcnt(1)
	ds_write2st64_b64 v3, v[12:13], v[14:15] offset0:8 offset1:12
.LBB175_6:
	s_or_b64 exec, exec, s[4:5]
	v_add_u32_e32 v2, s8, v2
	s_waitcnt vmcnt(0)
	ds_write_b64 v1, v[6:7] offset:8
	s_and_saveexec_b64 s[4:5], vcc
	s_cbranch_execz .LBB175_8
; %bb.7:
	v_ashrrev_i32_e32 v3, 31, v2
	s_waitcnt lgkmcnt(0)
	v_lshl_add_u64 v[4:5], v[2:3], 3, s[6:7]
	global_load_dwordx2 v[4:5], v[4:5], off
.LBB175_8:
	s_or_b64 exec, exec, s[4:5]
	v_cmp_eq_u32_e64 s[4:5], 0, v0
	s_waitcnt vmcnt(0)
	ds_write_b64 v1, v[4:5] offset:2056
	s_waitcnt lgkmcnt(0)
	s_barrier
	s_and_saveexec_b64 s[8:9], s[4:5]
	s_cbranch_execz .LBB175_14
; %bb.9:
	s_load_dword s15, s[0:1], 0x30
	s_load_dwordx2 s[10:11], s[0:1], 0x28
	s_cmp_lt_i32 s2, 1
	s_mov_b64 s[0:1], 0
	s_mov_b64 s[12:13], 0
	s_waitcnt lgkmcnt(0)
	s_mul_i32 s3, s3, s15
	s_cbranch_scc1 .LBB175_11
; %bb.10:
	s_lshl_b32 s12, s3, 1
	s_add_i32 s13, s2, s15
	s_add_i32 s12, s13, s12
	s_add_i32 s12, s12, -1
	s_mov_b32 s13, 0
	s_lshl_b64 s[12:13], s[12:13], 3
	s_add_u32 s12, s10, s12
	s_addc_u32 s13, s11, s13
	s_load_dwordx2 s[12:13], s[12:13], 0x0
.LBB175_11:
	s_waitcnt lgkmcnt(0)
	v_mov_b64_e32 v[4:5], s[12:13]
	s_add_i32 s12, s15, -1
	v_mov_b32_e32 v3, 0
	s_cmp_ge_u32 s2, s12
	ds_write_b64 v3, v[4:5]
	s_cbranch_scc1 .LBB175_13
; %bb.12:
	s_lshl_b32 s0, s3, 1
	s_add_i32 s0, s2, s0
	s_add_i32 s0, s0, 1
	s_mov_b32 s1, 0
	s_lshl_b64 s[0:1], s[0:1], 3
	s_add_u32 s0, s10, s0
	s_addc_u32 s1, s11, s1
	s_load_dwordx2 s[0:1], s[0:1], 0x0
.LBB175_13:
	s_lshl_b32 s3, s3, 1
	s_add_i32 s2, s3, s2
	s_mov_b32 s3, 0
	s_lshl_b64 s[12:13], s[2:3], 3
	s_add_u32 s12, s10, s12
	s_addc_u32 s13, s11, s13
	s_add_i32 s2, s2, s15
	s_lshl_b64 s[2:3], s[2:3], 3
	s_add_u32 s2, s10, s2
	s_addc_u32 s3, s11, s3
	s_load_dwordx2 s[10:11], s[2:3], 0x0
	s_load_dwordx2 s[16:17], s[12:13], 0x0
	s_waitcnt lgkmcnt(0)
	v_mov_b64_e32 v[4:5], s[0:1]
	ds_write_b64 v3, v[4:5] offset:4104
	v_mov_b32_e32 v4, s10
	v_mov_b32_e32 v5, s11
	;; [unrolled: 1-line block ×4, first 2 shown]
	ds_write_b128 v3, v[4:7] offset:2048
.LBB175_14:
	s_or_b64 exec, exec, s[8:9]
	s_waitcnt lgkmcnt(0)
	s_barrier
	s_and_saveexec_b64 s[0:1], s[4:5]
	s_cbranch_execz .LBB175_16
; %bb.15:
	s_movk_i32 s2, 0x1410
	v_mov_b32_e32 v3, 0
	v_add_u32_e64 v8, s2, 0
	v_add_u32_e64 v12, 8, 0
	s_movk_i32 s2, 0x2410
	ds_read2st64_b64 v[4:7], v3 offset1:2
	ds_read2_b64 v[8:11], v8 offset1:255
	ds_read2st64_b64 v[12:15], v12 offset0:6 offset1:8
	v_add_u32_e64 v16, s2, 0
	ds_read2_b64 v[16:19], v16 offset1:255
	s_waitcnt lgkmcnt(1)
	v_fma_f64 v[6:7], -v[10:11], v[14:15], v[6:7]
	s_waitcnt lgkmcnt(0)
	v_fma_f64 v[6:7], -v[18:19], v[4:5], v[6:7]
	ds_write_b64 v3, v[6:7] offset:1024
	v_fma_f64 v[6:7], -v[8:9], v[14:15], v[12:13]
	v_fma_f64 v[4:5], -v[16:17], v[4:5], v[6:7]
	ds_write_b64 v3, v[4:5] offset:3080
.LBB175_16:
	s_or_b64 exec, exec, s[0:1]
	v_cmp_gt_u32_e64 s[0:1], 2, v0
	s_waitcnt lgkmcnt(0)
	s_barrier
	s_and_saveexec_b64 s[2:3], s[0:1]
	s_cbranch_execz .LBB175_18
; %bb.17:
	s_movk_i32 s0, 0x3f8
	v_mad_u32_u24 v3, v0, s0, v1
	v_lshlrev_b32_e32 v16, 10, v0
	v_add_u32_e32 v8, 0x1210, v16
	v_add_u32_e32 v12, 8, v3
	ds_read2st64_b64 v[4:7], v3 offset1:1
	ds_read2_b64 v[8:11], v8 offset1:255
	ds_read2st64_b64 v[12:15], v12 offset0:5 offset1:6
	v_add_u32_e32 v16, 0x2210, v16
	ds_read2_b64 v[16:19], v16 offset1:255
	s_waitcnt lgkmcnt(1)
	v_fma_f64 v[6:7], -v[10:11], v[14:15], v[6:7]
	s_waitcnt lgkmcnt(0)
	v_fma_f64 v[6:7], -v[18:19], v[4:5], v[6:7]
	ds_write_b64 v3, v[6:7] offset:512
	v_fma_f64 v[6:7], -v[8:9], v[14:15], v[12:13]
	v_fma_f64 v[4:5], -v[16:17], v[4:5], v[6:7]
	ds_write_b64 v3, v[4:5] offset:2568
.LBB175_18:
	s_or_b64 exec, exec, s[2:3]
	v_cmp_gt_u32_e64 s[0:1], 4, v0
	s_waitcnt lgkmcnt(0)
	s_barrier
	s_and_saveexec_b64 s[2:3], s[0:1]
	s_cbranch_execz .LBB175_20
; %bb.19:
	v_lshlrev_b32_e32 v3, 9, v0
	v_add_u32_e32 v8, 0x1110, v3
	v_add_u32_e32 v12, 0x800, v3
	ds_read2_b64 v[4:7], v3 offset1:32
	ds_read2_b64 v[8:11], v8 offset1:255
	ds_read2_b64 v[12:15], v12 offset0:33 offset1:65
	v_add_u32_e32 v16, 0x2110, v3
	ds_read2_b64 v[16:19], v16 offset1:255
	s_waitcnt lgkmcnt(1)
	v_fma_f64 v[6:7], -v[10:11], v[14:15], v[6:7]
	s_waitcnt lgkmcnt(0)
	v_fma_f64 v[6:7], -v[18:19], v[4:5], v[6:7]
	ds_write_b64 v3, v[6:7] offset:256
	v_fma_f64 v[6:7], -v[8:9], v[14:15], v[12:13]
	v_fma_f64 v[4:5], -v[16:17], v[4:5], v[6:7]
	ds_write_b64 v3, v[4:5] offset:2312
.LBB175_20:
	s_or_b64 exec, exec, s[2:3]
	v_cmp_gt_u32_e64 s[0:1], 8, v0
	s_waitcnt lgkmcnt(0)
	s_barrier
	s_and_saveexec_b64 s[2:3], s[0:1]
	s_cbranch_execz .LBB175_22
; %bb.21:
	v_lshlrev_b32_e32 v3, 8, v0
	v_add_u32_e32 v8, 0x1090, v3
	v_add_u32_e32 v12, 0x800, v3
	ds_read2_b64 v[4:7], v3 offset1:16
	ds_read2_b64 v[8:11], v8 offset1:255
	ds_read2_b64 v[12:15], v12 offset0:17 offset1:33
	v_add_u32_e32 v16, 0x2090, v3
	ds_read2_b64 v[16:19], v16 offset1:255
	s_waitcnt lgkmcnt(1)
	v_fma_f64 v[6:7], -v[10:11], v[14:15], v[6:7]
	s_waitcnt lgkmcnt(0)
	v_fma_f64 v[6:7], -v[18:19], v[4:5], v[6:7]
	ds_write_b64 v3, v[6:7] offset:128
	v_fma_f64 v[6:7], -v[8:9], v[14:15], v[12:13]
	v_fma_f64 v[4:5], -v[16:17], v[4:5], v[6:7]
	ds_write_b64 v3, v[4:5] offset:2184
.LBB175_22:
	s_or_b64 exec, exec, s[2:3]
	v_cmp_gt_u32_e64 s[0:1], 16, v0
	s_waitcnt lgkmcnt(0)
	s_barrier
	s_and_saveexec_b64 s[2:3], s[0:1]
	s_cbranch_execz .LBB175_24
; %bb.23:
	v_lshlrev_b32_e32 v3, 7, v0
	v_add_u32_e32 v8, 0x1050, v3
	v_add_u32_e32 v12, 0x800, v3
	ds_read2_b64 v[4:7], v3 offset1:8
	ds_read2_b64 v[8:11], v8 offset1:255
	ds_read2_b64 v[12:15], v12 offset0:9 offset1:17
	v_add_u32_e32 v16, 0x2050, v3
	ds_read2_b64 v[16:19], v16 offset1:255
	s_waitcnt lgkmcnt(1)
	v_fma_f64 v[6:7], -v[10:11], v[14:15], v[6:7]
	s_waitcnt lgkmcnt(0)
	v_fma_f64 v[6:7], -v[18:19], v[4:5], v[6:7]
	ds_write_b64 v3, v[6:7] offset:64
	v_fma_f64 v[6:7], -v[8:9], v[14:15], v[12:13]
	v_fma_f64 v[4:5], -v[16:17], v[4:5], v[6:7]
	ds_write_b64 v3, v[4:5] offset:2120
.LBB175_24:
	s_or_b64 exec, exec, s[2:3]
	v_cmp_gt_u32_e64 s[0:1], 32, v0
	s_waitcnt lgkmcnt(0)
	s_barrier
	s_and_saveexec_b64 s[2:3], s[0:1]
	s_cbranch_execz .LBB175_26
; %bb.25:
	v_lshlrev_b32_e32 v3, 6, v0
	v_add_u32_e32 v8, 0x1030, v3
	v_add_u32_e32 v12, 0x800, v3
	ds_read2_b64 v[4:7], v3 offset1:4
	ds_read2_b64 v[8:11], v8 offset1:255
	ds_read2_b64 v[12:15], v12 offset0:5 offset1:9
	v_add_u32_e32 v16, 0x2030, v3
	ds_read2_b64 v[16:19], v16 offset1:255
	s_waitcnt lgkmcnt(1)
	v_fma_f64 v[6:7], -v[10:11], v[14:15], v[6:7]
	s_waitcnt lgkmcnt(0)
	v_fma_f64 v[6:7], -v[18:19], v[4:5], v[6:7]
	ds_write_b64 v3, v[6:7] offset:32
	v_fma_f64 v[6:7], -v[8:9], v[14:15], v[12:13]
	v_fma_f64 v[4:5], -v[16:17], v[4:5], v[6:7]
	ds_write_b64 v3, v[4:5] offset:2088
.LBB175_26:
	s_or_b64 exec, exec, s[2:3]
	v_cmp_gt_u32_e64 s[0:1], 64, v0
	s_waitcnt lgkmcnt(0)
	s_barrier
	s_and_saveexec_b64 s[2:3], s[0:1]
	s_cbranch_execz .LBB175_28
; %bb.27:
	v_lshlrev_b32_e32 v3, 5, v0
	v_add_u32_e32 v8, 0x1020, v3
	v_add_u32_e32 v12, 0x800, v3
	ds_read2_b64 v[4:7], v3 offset1:2
	ds_read2_b64 v[8:11], v8 offset1:255
	ds_read2_b64 v[12:15], v12 offset0:3 offset1:5
	v_add_u32_e32 v16, 0x2020, v3
	ds_read2_b64 v[16:19], v16 offset1:255
	s_waitcnt lgkmcnt(1)
	v_fma_f64 v[6:7], -v[10:11], v[14:15], v[6:7]
	s_waitcnt lgkmcnt(0)
	v_fma_f64 v[6:7], -v[18:19], v[4:5], v[6:7]
	ds_write_b64 v3, v[6:7] offset:16
	v_fma_f64 v[6:7], -v[8:9], v[14:15], v[12:13]
	v_fma_f64 v[4:5], -v[16:17], v[4:5], v[6:7]
	ds_write_b64 v3, v[4:5] offset:2072
.LBB175_28:
	s_or_b64 exec, exec, s[2:3]
	s_movk_i32 s0, 0x80
	v_cmp_gt_u32_e64 s[0:1], s0, v0
	s_waitcnt lgkmcnt(0)
	s_barrier
	s_and_saveexec_b64 s[2:3], s[0:1]
	s_cbranch_execz .LBB175_30
; %bb.29:
	v_lshlrev_b32_e32 v0, 4, v0
	v_add_u32_e32 v3, 0x1018, v0
	ds_read2_b64 v[4:7], v3 offset1:255
	ds_read_b128 v[8:11], v0
	ds_read_b128 v[12:15], v0 offset:2064
	v_add_u32_e32 v3, 0x2018, v0
	ds_read2_b64 v[16:19], v3 offset1:255
	s_waitcnt lgkmcnt(1)
	v_fma_f64 v[6:7], -v[6:7], v[14:15], v[10:11]
	v_fma_f64 v[4:5], -v[4:5], v[14:15], v[12:13]
	s_waitcnt lgkmcnt(0)
	v_fma_f64 v[6:7], -v[18:19], v[8:9], v[6:7]
	v_fma_f64 v[4:5], -v[16:17], v[8:9], v[4:5]
	ds_write_b64 v0, v[6:7] offset:8
	ds_write_b64 v0, v[4:5] offset:2064
.LBB175_30:
	s_or_b64 exec, exec, s[2:3]
	s_waitcnt lgkmcnt(0)
	s_barrier
	s_and_saveexec_b64 s[0:1], vcc
	s_cbranch_execz .LBB175_32
; %bb.31:
	v_add_u32_e32 v0, 8, v1
	ds_read2st64_b64 v[4:7], v0 offset1:4
	v_ashrrev_i32_e32 v3, 31, v2
	v_add_u32_e32 v0, s14, v2
	v_mov_b32_e32 v1, 0
	v_lshl_add_u64 v[2:3], v[2:3], 3, s[6:7]
	v_lshl_add_u64 v[0:1], v[0:1], 3, s[6:7]
	s_waitcnt lgkmcnt(0)
	global_store_dwordx2 v[2:3], v[6:7], off
	global_store_dwordx2 v[0:1], v[4:5], off
.LBB175_32:
	s_endpgm
	.section	.rodata,"a",@progbits
	.p2align	6, 0x0
	.amdhsa_kernel _ZN9rocsparseL33gtsv_solve_spike_propagate_kernelILj256ELj256EdEEviiiPT1_PKS1_S4_S4_
		.amdhsa_group_segment_fixed_size 12304
		.amdhsa_private_segment_fixed_size 0
		.amdhsa_kernarg_size 304
		.amdhsa_user_sgpr_count 2
		.amdhsa_user_sgpr_dispatch_ptr 0
		.amdhsa_user_sgpr_queue_ptr 0
		.amdhsa_user_sgpr_kernarg_segment_ptr 1
		.amdhsa_user_sgpr_dispatch_id 0
		.amdhsa_user_sgpr_kernarg_preload_length 0
		.amdhsa_user_sgpr_kernarg_preload_offset 0
		.amdhsa_user_sgpr_private_segment_size 0
		.amdhsa_uses_dynamic_stack 0
		.amdhsa_enable_private_segment 0
		.amdhsa_system_sgpr_workgroup_id_x 1
		.amdhsa_system_sgpr_workgroup_id_y 1
		.amdhsa_system_sgpr_workgroup_id_z 0
		.amdhsa_system_sgpr_workgroup_info 0
		.amdhsa_system_vgpr_workitem_id 0
		.amdhsa_next_free_vgpr 20
		.amdhsa_next_free_sgpr 18
		.amdhsa_accum_offset 20
		.amdhsa_reserve_vcc 1
		.amdhsa_float_round_mode_32 0
		.amdhsa_float_round_mode_16_64 0
		.amdhsa_float_denorm_mode_32 3
		.amdhsa_float_denorm_mode_16_64 3
		.amdhsa_dx10_clamp 1
		.amdhsa_ieee_mode 1
		.amdhsa_fp16_overflow 0
		.amdhsa_tg_split 0
		.amdhsa_exception_fp_ieee_invalid_op 0
		.amdhsa_exception_fp_denorm_src 0
		.amdhsa_exception_fp_ieee_div_zero 0
		.amdhsa_exception_fp_ieee_overflow 0
		.amdhsa_exception_fp_ieee_underflow 0
		.amdhsa_exception_fp_ieee_inexact 0
		.amdhsa_exception_int_div_zero 0
	.end_amdhsa_kernel
	.section	.text._ZN9rocsparseL33gtsv_solve_spike_propagate_kernelILj256ELj256EdEEviiiPT1_PKS1_S4_S4_,"axG",@progbits,_ZN9rocsparseL33gtsv_solve_spike_propagate_kernelILj256ELj256EdEEviiiPT1_PKS1_S4_S4_,comdat
.Lfunc_end175:
	.size	_ZN9rocsparseL33gtsv_solve_spike_propagate_kernelILj256ELj256EdEEviiiPT1_PKS1_S4_S4_, .Lfunc_end175-_ZN9rocsparseL33gtsv_solve_spike_propagate_kernelILj256ELj256EdEEviiiPT1_PKS1_S4_S4_
                                        ; -- End function
	.set _ZN9rocsparseL33gtsv_solve_spike_propagate_kernelILj256ELj256EdEEviiiPT1_PKS1_S4_S4_.num_vgpr, 20
	.set _ZN9rocsparseL33gtsv_solve_spike_propagate_kernelILj256ELj256EdEEviiiPT1_PKS1_S4_S4_.num_agpr, 0
	.set _ZN9rocsparseL33gtsv_solve_spike_propagate_kernelILj256ELj256EdEEviiiPT1_PKS1_S4_S4_.numbered_sgpr, 18
	.set _ZN9rocsparseL33gtsv_solve_spike_propagate_kernelILj256ELj256EdEEviiiPT1_PKS1_S4_S4_.num_named_barrier, 0
	.set _ZN9rocsparseL33gtsv_solve_spike_propagate_kernelILj256ELj256EdEEviiiPT1_PKS1_S4_S4_.private_seg_size, 0
	.set _ZN9rocsparseL33gtsv_solve_spike_propagate_kernelILj256ELj256EdEEviiiPT1_PKS1_S4_S4_.uses_vcc, 1
	.set _ZN9rocsparseL33gtsv_solve_spike_propagate_kernelILj256ELj256EdEEviiiPT1_PKS1_S4_S4_.uses_flat_scratch, 0
	.set _ZN9rocsparseL33gtsv_solve_spike_propagate_kernelILj256ELj256EdEEviiiPT1_PKS1_S4_S4_.has_dyn_sized_stack, 0
	.set _ZN9rocsparseL33gtsv_solve_spike_propagate_kernelILj256ELj256EdEEviiiPT1_PKS1_S4_S4_.has_recursion, 0
	.set _ZN9rocsparseL33gtsv_solve_spike_propagate_kernelILj256ELj256EdEEviiiPT1_PKS1_S4_S4_.has_indirect_call, 0
	.section	.AMDGPU.csdata,"",@progbits
; Kernel info:
; codeLenInByte = 1860
; TotalNumSgprs: 24
; NumVgprs: 20
; NumAgprs: 0
; TotalNumVgprs: 20
; ScratchSize: 0
; MemoryBound: 0
; FloatMode: 240
; IeeeMode: 1
; LDSByteSize: 12304 bytes/workgroup (compile time only)
; SGPRBlocks: 2
; VGPRBlocks: 2
; NumSGPRsForWavesPerEU: 24
; NumVGPRsForWavesPerEU: 20
; AccumOffset: 20
; Occupancy: 8
; WaveLimiterHint : 0
; COMPUTE_PGM_RSRC2:SCRATCH_EN: 0
; COMPUTE_PGM_RSRC2:USER_SGPR: 2
; COMPUTE_PGM_RSRC2:TRAP_HANDLER: 0
; COMPUTE_PGM_RSRC2:TGID_X_EN: 1
; COMPUTE_PGM_RSRC2:TGID_Y_EN: 1
; COMPUTE_PGM_RSRC2:TGID_Z_EN: 0
; COMPUTE_PGM_RSRC2:TIDIG_COMP_CNT: 0
; COMPUTE_PGM_RSRC3_GFX90A:ACCUM_OFFSET: 4
; COMPUTE_PGM_RSRC3_GFX90A:TG_SPLIT: 0
	.section	.text._ZN9rocsparseL39gtsv_spike_backward_substitution_kernelILj256ELj256EdEEviiiPT1_PKS1_S4_,"axG",@progbits,_ZN9rocsparseL39gtsv_spike_backward_substitution_kernelILj256ELj256EdEEviiiPT1_PKS1_S4_,comdat
	.globl	_ZN9rocsparseL39gtsv_spike_backward_substitution_kernelILj256ELj256EdEEviiiPT1_PKS1_S4_ ; -- Begin function _ZN9rocsparseL39gtsv_spike_backward_substitution_kernelILj256ELj256EdEEviiiPT1_PKS1_S4_
	.p2align	8
	.type	_ZN9rocsparseL39gtsv_spike_backward_substitution_kernelILj256ELj256EdEEviiiPT1_PKS1_S4_,@function
_ZN9rocsparseL39gtsv_spike_backward_substitution_kernelILj256ELj256EdEEviiiPT1_PKS1_S4_: ; @_ZN9rocsparseL39gtsv_spike_backward_substitution_kernelILj256ELj256EdEEviiiPT1_PKS1_S4_
; %bb.0:
	s_load_dword s6, s[0:1], 0x0
	s_lshl_b32 s10, s2, 8
	v_or_b32_e32 v6, s10, v0
	s_waitcnt lgkmcnt(0)
	s_lshr_b32 s11, s6, 8
	v_cmp_gt_i32_e32 vcc, s11, v6
	s_and_saveexec_b64 s[4:5], vcc
	s_cbranch_execz .LBB176_7
; %bb.1:
	s_load_dwordx2 s[8:9], s[0:1], 0x10
	v_cmp_lt_i32_e32 vcc, 0, v6
	v_mov_b64_e32 v[2:3], 0
	s_mul_i32 s2, s6, s3
	s_and_saveexec_b64 s[4:5], vcc
	s_cbranch_execz .LBB176_3
; %bb.2:
	s_mul_i32 s7, s11, 0xff
	s_mul_i32 s3, s6, s3
	s_add_i32 s7, s7, s3
	v_add3_u32 v2, v6, s7, -1
	v_mov_b32_e32 v3, 0
	s_waitcnt lgkmcnt(0)
	v_lshl_add_u64 v[2:3], v[2:3], 3, s[8:9]
	global_load_dwordx2 v[2:3], v[2:3], off
.LBB176_3:
	s_or_b64 exec, exec, s[4:5]
	v_add_u32_e32 v1, 0x100, v6
	v_cmp_le_u32_e32 vcc, s6, v1
	s_and_saveexec_b64 s[4:5], vcc
	s_xor_b64 s[4:5], exec, s[4:5]
	s_or_saveexec_b64 s[4:5], s[4:5]
	v_mov_b64_e32 v[4:5], 0
	v_mov_b32_e32 v8, s2
	s_xor_b64 exec, exec, s[4:5]
	s_cbranch_execz .LBB176_5
; %bb.4:
	s_ashr_i32 s3, s2, 31
	v_ashrrev_i32_e32 v7, 31, v6
	v_lshl_add_u64 v[4:5], v[6:7], 0, s[2:3]
	s_waitcnt lgkmcnt(0)
	v_lshl_add_u64 v[4:5], v[4:5], 3, s[8:9]
	global_load_dwordx2 v[4:5], v[4:5], off offset:8
	v_mov_b32_e32 v8, s2
.LBB176_5:
	s_or_b64 exec, exec, s[4:5]
	s_load_dwordx4 s[4:7], s[0:1], 0x18
	s_lshl_b32 s0, s11, 1
	s_add_i32 s10, s10, s11
	v_add_u32_e32 v6, s0, v6
	v_add_u32_e32 v0, s10, v0
	s_movk_i32 s1, 0xfe
.LBB176_6:                              ; =>This Inner Loop Header: Depth=1
	v_add_u32_e32 v10, v8, v0
	v_ashrrev_i32_e32 v1, 31, v0
	v_ashrrev_i32_e32 v11, 31, v10
	v_lshlrev_b64 v[12:13], 3, v[0:1]
	s_waitcnt lgkmcnt(0)
	v_lshl_add_u64 v[10:11], v[10:11], 3, s[8:9]
	v_lshl_add_u64 v[14:15], s[4:5], 0, v[12:13]
	;; [unrolled: 1-line block ×3, first 2 shown]
	global_load_dwordx2 v[16:17], v[10:11], off
	global_load_dwordx2 v[18:19], v[14:15], off
	;; [unrolled: 1-line block ×3, first 2 shown]
	v_ashrrev_i32_e32 v7, 31, v6
	v_add_u32_e32 v12, v8, v6
	v_lshlrev_b64 v[14:15], 3, v[6:7]
	v_ashrrev_i32_e32 v13, 31, v12
	v_lshl_add_u64 v[22:23], s[4:5], 0, v[14:15]
	v_lshl_add_u64 v[12:13], v[12:13], 3, s[8:9]
	global_load_dwordx2 v[22:23], v[22:23], off
	v_lshl_add_u64 v[14:15], s[6:7], 0, v[14:15]
	s_add_i32 s1, s1, -2
	v_add_u32_e32 v6, s0, v6
	v_add_u32_e32 v0, s0, v0
	s_cmp_lg_u32 s1, 0
	s_waitcnt vmcnt(2)
	v_fma_f64 v[16:17], -v[2:3], v[18:19], v[16:17]
	s_waitcnt vmcnt(1)
	v_fma_f64 v[16:17], -v[4:5], v[20:21], v[16:17]
	global_store_dwordx2 v[10:11], v[16:17], off
	global_load_dwordx2 v[10:11], v[12:13], off
	s_nop 0
	global_load_dwordx2 v[16:17], v[14:15], off
	s_waitcnt vmcnt(1)
	v_fma_f64 v[10:11], -v[2:3], v[22:23], v[10:11]
	s_waitcnt vmcnt(0)
	v_fma_f64 v[10:11], -v[4:5], v[16:17], v[10:11]
	global_store_dwordx2 v[12:13], v[10:11], off
	s_cbranch_scc1 .LBB176_6
.LBB176_7:
	s_endpgm
	.section	.rodata,"a",@progbits
	.p2align	6, 0x0
	.amdhsa_kernel _ZN9rocsparseL39gtsv_spike_backward_substitution_kernelILj256ELj256EdEEviiiPT1_PKS1_S4_
		.amdhsa_group_segment_fixed_size 0
		.amdhsa_private_segment_fixed_size 0
		.amdhsa_kernarg_size 40
		.amdhsa_user_sgpr_count 2
		.amdhsa_user_sgpr_dispatch_ptr 0
		.amdhsa_user_sgpr_queue_ptr 0
		.amdhsa_user_sgpr_kernarg_segment_ptr 1
		.amdhsa_user_sgpr_dispatch_id 0
		.amdhsa_user_sgpr_kernarg_preload_length 0
		.amdhsa_user_sgpr_kernarg_preload_offset 0
		.amdhsa_user_sgpr_private_segment_size 0
		.amdhsa_uses_dynamic_stack 0
		.amdhsa_enable_private_segment 0
		.amdhsa_system_sgpr_workgroup_id_x 1
		.amdhsa_system_sgpr_workgroup_id_y 1
		.amdhsa_system_sgpr_workgroup_id_z 0
		.amdhsa_system_sgpr_workgroup_info 0
		.amdhsa_system_vgpr_workitem_id 0
		.amdhsa_next_free_vgpr 24
		.amdhsa_next_free_sgpr 12
		.amdhsa_accum_offset 24
		.amdhsa_reserve_vcc 1
		.amdhsa_float_round_mode_32 0
		.amdhsa_float_round_mode_16_64 0
		.amdhsa_float_denorm_mode_32 3
		.amdhsa_float_denorm_mode_16_64 3
		.amdhsa_dx10_clamp 1
		.amdhsa_ieee_mode 1
		.amdhsa_fp16_overflow 0
		.amdhsa_tg_split 0
		.amdhsa_exception_fp_ieee_invalid_op 0
		.amdhsa_exception_fp_denorm_src 0
		.amdhsa_exception_fp_ieee_div_zero 0
		.amdhsa_exception_fp_ieee_overflow 0
		.amdhsa_exception_fp_ieee_underflow 0
		.amdhsa_exception_fp_ieee_inexact 0
		.amdhsa_exception_int_div_zero 0
	.end_amdhsa_kernel
	.section	.text._ZN9rocsparseL39gtsv_spike_backward_substitution_kernelILj256ELj256EdEEviiiPT1_PKS1_S4_,"axG",@progbits,_ZN9rocsparseL39gtsv_spike_backward_substitution_kernelILj256ELj256EdEEviiiPT1_PKS1_S4_,comdat
.Lfunc_end176:
	.size	_ZN9rocsparseL39gtsv_spike_backward_substitution_kernelILj256ELj256EdEEviiiPT1_PKS1_S4_, .Lfunc_end176-_ZN9rocsparseL39gtsv_spike_backward_substitution_kernelILj256ELj256EdEEviiiPT1_PKS1_S4_
                                        ; -- End function
	.set _ZN9rocsparseL39gtsv_spike_backward_substitution_kernelILj256ELj256EdEEviiiPT1_PKS1_S4_.num_vgpr, 24
	.set _ZN9rocsparseL39gtsv_spike_backward_substitution_kernelILj256ELj256EdEEviiiPT1_PKS1_S4_.num_agpr, 0
	.set _ZN9rocsparseL39gtsv_spike_backward_substitution_kernelILj256ELj256EdEEviiiPT1_PKS1_S4_.numbered_sgpr, 12
	.set _ZN9rocsparseL39gtsv_spike_backward_substitution_kernelILj256ELj256EdEEviiiPT1_PKS1_S4_.num_named_barrier, 0
	.set _ZN9rocsparseL39gtsv_spike_backward_substitution_kernelILj256ELj256EdEEviiiPT1_PKS1_S4_.private_seg_size, 0
	.set _ZN9rocsparseL39gtsv_spike_backward_substitution_kernelILj256ELj256EdEEviiiPT1_PKS1_S4_.uses_vcc, 1
	.set _ZN9rocsparseL39gtsv_spike_backward_substitution_kernelILj256ELj256EdEEviiiPT1_PKS1_S4_.uses_flat_scratch, 0
	.set _ZN9rocsparseL39gtsv_spike_backward_substitution_kernelILj256ELj256EdEEviiiPT1_PKS1_S4_.has_dyn_sized_stack, 0
	.set _ZN9rocsparseL39gtsv_spike_backward_substitution_kernelILj256ELj256EdEEviiiPT1_PKS1_S4_.has_recursion, 0
	.set _ZN9rocsparseL39gtsv_spike_backward_substitution_kernelILj256ELj256EdEEviiiPT1_PKS1_S4_.has_indirect_call, 0
	.section	.AMDGPU.csdata,"",@progbits
; Kernel info:
; codeLenInByte = 460
; TotalNumSgprs: 18
; NumVgprs: 24
; NumAgprs: 0
; TotalNumVgprs: 24
; ScratchSize: 0
; MemoryBound: 0
; FloatMode: 240
; IeeeMode: 1
; LDSByteSize: 0 bytes/workgroup (compile time only)
; SGPRBlocks: 2
; VGPRBlocks: 2
; NumSGPRsForWavesPerEU: 18
; NumVGPRsForWavesPerEU: 24
; AccumOffset: 24
; Occupancy: 8
; WaveLimiterHint : 0
; COMPUTE_PGM_RSRC2:SCRATCH_EN: 0
; COMPUTE_PGM_RSRC2:USER_SGPR: 2
; COMPUTE_PGM_RSRC2:TRAP_HANDLER: 0
; COMPUTE_PGM_RSRC2:TGID_X_EN: 1
; COMPUTE_PGM_RSRC2:TGID_Y_EN: 1
; COMPUTE_PGM_RSRC2:TGID_Z_EN: 0
; COMPUTE_PGM_RSRC2:TIDIG_COMP_CNT: 0
; COMPUTE_PGM_RSRC3_GFX90A:ACCUM_OFFSET: 5
; COMPUTE_PGM_RSRC3_GFX90A:TG_SPLIT: 0
	.section	.text._ZN9rocsparseL32gtsv_transpose_back_array_kernelILj256ELj256EdEEviiiPKT1_PS1_,"axG",@progbits,_ZN9rocsparseL32gtsv_transpose_back_array_kernelILj256ELj256EdEEviiiPKT1_PS1_,comdat
	.globl	_ZN9rocsparseL32gtsv_transpose_back_array_kernelILj256ELj256EdEEviiiPKT1_PS1_ ; -- Begin function _ZN9rocsparseL32gtsv_transpose_back_array_kernelILj256ELj256EdEEviiiPKT1_PS1_
	.p2align	8
	.type	_ZN9rocsparseL32gtsv_transpose_back_array_kernelILj256ELj256EdEEviiiPKT1_PS1_,@function
_ZN9rocsparseL32gtsv_transpose_back_array_kernelILj256ELj256EdEEviiiPKT1_PS1_: ; @_ZN9rocsparseL32gtsv_transpose_back_array_kernelILj256ELj256EdEEviiiPKT1_PS1_
; %bb.0:
	s_load_dwordx4 s[4:7], s[0:1], 0x0
	v_lshl_or_b32 v0, s2, 8, v0
	v_lshlrev_b32_e32 v2, 8, v0
	s_waitcnt lgkmcnt(0)
	v_cvt_f32_u32_e32 v1, s5
	s_sub_i32 s2, 0, s5
	v_rcp_iflag_f32_e32 v1, v1
	s_nop 0
	v_mul_f32_e32 v1, 0x4f7ffffe, v1
	v_cvt_u32_f32_e32 v1, v1
	v_mul_lo_u32 v3, s2, v1
	v_mul_hi_u32 v3, v1, v3
	v_add_u32_e32 v1, v1, v3
	v_mul_hi_u32 v1, v2, v1
	v_mul_lo_u32 v3, v1, s5
	v_sub_u32_e32 v3, v2, v3
	v_add_u32_e32 v4, 1, v1
	v_cmp_le_u32_e32 vcc, s5, v3
	s_nop 1
	v_cndmask_b32_e32 v1, v1, v4, vcc
	v_subrev_u32_e32 v4, s5, v3
	v_cndmask_b32_e32 v3, v3, v4, vcc
	v_add_u32_e32 v4, 1, v1
	v_cmp_le_u32_e32 vcc, s5, v3
	s_nop 1
	v_cndmask_b32_e32 v1, v1, v4, vcc
	v_mul_lo_u32 v3, v1, s5
	v_sub_u32_e32 v2, v2, v3
	v_add_u32_e32 v1, v1, v2
	v_cmp_gt_i32_e32 vcc, s4, v1
	s_and_saveexec_b64 s[8:9], vcc
	s_cbranch_execz .LBB177_2
; %bb.1:
	s_load_dwordx4 s[8:11], s[0:1], 0x10
	s_mul_i32 s0, s5, s3
	v_add_u32_e32 v2, s0, v0
	v_ashrrev_i32_e32 v3, 31, v2
	s_mul_i32 s0, s6, s3
	s_waitcnt lgkmcnt(0)
	v_lshl_add_u64 v[2:3], v[2:3], 3, s[8:9]
	global_load_dwordx2 v[2:3], v[2:3], off
	v_add_u32_e32 v0, s0, v1
	v_ashrrev_i32_e32 v1, 31, v0
	v_lshl_add_u64 v[0:1], v[0:1], 3, s[10:11]
	s_waitcnt vmcnt(0)
	global_store_dwordx2 v[0:1], v[2:3], off
.LBB177_2:
	s_endpgm
	.section	.rodata,"a",@progbits
	.p2align	6, 0x0
	.amdhsa_kernel _ZN9rocsparseL32gtsv_transpose_back_array_kernelILj256ELj256EdEEviiiPKT1_PS1_
		.amdhsa_group_segment_fixed_size 0
		.amdhsa_private_segment_fixed_size 0
		.amdhsa_kernarg_size 32
		.amdhsa_user_sgpr_count 2
		.amdhsa_user_sgpr_dispatch_ptr 0
		.amdhsa_user_sgpr_queue_ptr 0
		.amdhsa_user_sgpr_kernarg_segment_ptr 1
		.amdhsa_user_sgpr_dispatch_id 0
		.amdhsa_user_sgpr_kernarg_preload_length 0
		.amdhsa_user_sgpr_kernarg_preload_offset 0
		.amdhsa_user_sgpr_private_segment_size 0
		.amdhsa_uses_dynamic_stack 0
		.amdhsa_enable_private_segment 0
		.amdhsa_system_sgpr_workgroup_id_x 1
		.amdhsa_system_sgpr_workgroup_id_y 1
		.amdhsa_system_sgpr_workgroup_id_z 0
		.amdhsa_system_sgpr_workgroup_info 0
		.amdhsa_system_vgpr_workitem_id 0
		.amdhsa_next_free_vgpr 5
		.amdhsa_next_free_sgpr 12
		.amdhsa_accum_offset 8
		.amdhsa_reserve_vcc 1
		.amdhsa_float_round_mode_32 0
		.amdhsa_float_round_mode_16_64 0
		.amdhsa_float_denorm_mode_32 3
		.amdhsa_float_denorm_mode_16_64 3
		.amdhsa_dx10_clamp 1
		.amdhsa_ieee_mode 1
		.amdhsa_fp16_overflow 0
		.amdhsa_tg_split 0
		.amdhsa_exception_fp_ieee_invalid_op 0
		.amdhsa_exception_fp_denorm_src 0
		.amdhsa_exception_fp_ieee_div_zero 0
		.amdhsa_exception_fp_ieee_overflow 0
		.amdhsa_exception_fp_ieee_underflow 0
		.amdhsa_exception_fp_ieee_inexact 0
		.amdhsa_exception_int_div_zero 0
	.end_amdhsa_kernel
	.section	.text._ZN9rocsparseL32gtsv_transpose_back_array_kernelILj256ELj256EdEEviiiPKT1_PS1_,"axG",@progbits,_ZN9rocsparseL32gtsv_transpose_back_array_kernelILj256ELj256EdEEviiiPKT1_PS1_,comdat
.Lfunc_end177:
	.size	_ZN9rocsparseL32gtsv_transpose_back_array_kernelILj256ELj256EdEEviiiPKT1_PS1_, .Lfunc_end177-_ZN9rocsparseL32gtsv_transpose_back_array_kernelILj256ELj256EdEEviiiPKT1_PS1_
                                        ; -- End function
	.set _ZN9rocsparseL32gtsv_transpose_back_array_kernelILj256ELj256EdEEviiiPKT1_PS1_.num_vgpr, 5
	.set _ZN9rocsparseL32gtsv_transpose_back_array_kernelILj256ELj256EdEEviiiPKT1_PS1_.num_agpr, 0
	.set _ZN9rocsparseL32gtsv_transpose_back_array_kernelILj256ELj256EdEEviiiPKT1_PS1_.numbered_sgpr, 12
	.set _ZN9rocsparseL32gtsv_transpose_back_array_kernelILj256ELj256EdEEviiiPKT1_PS1_.num_named_barrier, 0
	.set _ZN9rocsparseL32gtsv_transpose_back_array_kernelILj256ELj256EdEEviiiPKT1_PS1_.private_seg_size, 0
	.set _ZN9rocsparseL32gtsv_transpose_back_array_kernelILj256ELj256EdEEviiiPKT1_PS1_.uses_vcc, 1
	.set _ZN9rocsparseL32gtsv_transpose_back_array_kernelILj256ELj256EdEEviiiPKT1_PS1_.uses_flat_scratch, 0
	.set _ZN9rocsparseL32gtsv_transpose_back_array_kernelILj256ELj256EdEEviiiPKT1_PS1_.has_dyn_sized_stack, 0
	.set _ZN9rocsparseL32gtsv_transpose_back_array_kernelILj256ELj256EdEEviiiPKT1_PS1_.has_recursion, 0
	.set _ZN9rocsparseL32gtsv_transpose_back_array_kernelILj256ELj256EdEEviiiPKT1_PS1_.has_indirect_call, 0
	.section	.AMDGPU.csdata,"",@progbits
; Kernel info:
; codeLenInByte = 236
; TotalNumSgprs: 18
; NumVgprs: 5
; NumAgprs: 0
; TotalNumVgprs: 5
; ScratchSize: 0
; MemoryBound: 0
; FloatMode: 240
; IeeeMode: 1
; LDSByteSize: 0 bytes/workgroup (compile time only)
; SGPRBlocks: 2
; VGPRBlocks: 0
; NumSGPRsForWavesPerEU: 18
; NumVGPRsForWavesPerEU: 5
; AccumOffset: 8
; Occupancy: 8
; WaveLimiterHint : 0
; COMPUTE_PGM_RSRC2:SCRATCH_EN: 0
; COMPUTE_PGM_RSRC2:USER_SGPR: 2
; COMPUTE_PGM_RSRC2:TRAP_HANDLER: 0
; COMPUTE_PGM_RSRC2:TGID_X_EN: 1
; COMPUTE_PGM_RSRC2:TGID_Y_EN: 1
; COMPUTE_PGM_RSRC2:TGID_Z_EN: 0
; COMPUTE_PGM_RSRC2:TIDIG_COMP_CNT: 0
; COMPUTE_PGM_RSRC3_GFX90A:ACCUM_OFFSET: 1
; COMPUTE_PGM_RSRC3_GFX90A:TG_SPLIT: 0
	.section	.text._ZN9rocsparseL42gtsv_transpose_and_pad_array_shared_kernelILj256ELj2E21rocsparse_complex_numIfEEEviiiPKT1_PS3_S3_,"axG",@progbits,_ZN9rocsparseL42gtsv_transpose_and_pad_array_shared_kernelILj256ELj2E21rocsparse_complex_numIfEEEviiiPKT1_PS3_S3_,comdat
	.globl	_ZN9rocsparseL42gtsv_transpose_and_pad_array_shared_kernelILj256ELj2E21rocsparse_complex_numIfEEEviiiPKT1_PS3_S3_ ; -- Begin function _ZN9rocsparseL42gtsv_transpose_and_pad_array_shared_kernelILj256ELj2E21rocsparse_complex_numIfEEEviiiPKT1_PS3_S3_
	.p2align	8
	.type	_ZN9rocsparseL42gtsv_transpose_and_pad_array_shared_kernelILj256ELj2E21rocsparse_complex_numIfEEEviiiPKT1_PS3_S3_,@function
_ZN9rocsparseL42gtsv_transpose_and_pad_array_shared_kernelILj256ELj2E21rocsparse_complex_numIfEEEviiiPKT1_PS3_S3_: ; @_ZN9rocsparseL42gtsv_transpose_and_pad_array_shared_kernelILj256ELj2E21rocsparse_complex_numIfEEEviiiPKT1_PS3_S3_
; %bb.0:
	s_load_dwordx4 s[4:7], s[0:1], 0x0
	v_lshl_or_b32 v1, s2, 8, v0
                                        ; implicit-def: $sgpr10_sgpr11
	s_waitcnt lgkmcnt(0)
	v_cmp_le_i32_e32 vcc, s4, v1
	s_and_saveexec_b64 s[8:9], vcc
	s_xor_b64 s[8:9], exec, s[8:9]
; %bb.1:
	s_load_dwordx2 s[10:11], s[0:1], 0x20
                                        ; implicit-def: $vgpr1
; %bb.2:
	s_or_saveexec_b64 s[8:9], s[8:9]
	s_waitcnt lgkmcnt(0)
	v_mov_b64_e32 v[4:5], s[10:11]
	s_xor_b64 exec, exec, s[8:9]
	s_cbranch_execz .LBB178_4
; %bb.3:
	s_load_dwordx2 s[10:11], s[0:1], 0x10
	s_mul_i32 s4, s6, s3
	v_add_u32_e32 v2, s4, v1
	v_ashrrev_i32_e32 v3, 31, v2
	s_waitcnt lgkmcnt(0)
	v_lshl_add_u64 v[2:3], v[2:3], 3, s[10:11]
	global_load_dwordx2 v[4:5], v[2:3], off
.LBB178_4:
	s_or_b64 exec, exec, s[8:9]
	v_lshrrev_b32_e32 v2, 7, v0
	v_and_b32_e32 v3, 0x7f, v0
	v_lshlrev_b32_e32 v0, 3, v0
	s_waitcnt vmcnt(0)
	ds_write_b64 v0, v[4:5]
	s_lshr_b32 s4, s5, 1
	v_lshl_or_b32 v0, s2, 7, v3
	v_mad_u64_u32 v[0:1], s[6:7], s4, v2, v[0:1]
	v_cmp_gt_i32_e32 vcc, s5, v0
	s_waitcnt lgkmcnt(0)
	s_barrier
	s_and_saveexec_b64 s[6:7], vcc
	s_cbranch_execz .LBB178_6
; %bb.5:
	v_lshlrev_b32_e32 v1, 3, v2
	s_load_dwordx2 s[0:1], s[0:1], 0x18
	v_lshl_or_b32 v1, v3, 4, v1
	ds_read_b64 v[2:3], v1
	s_mul_i32 s2, s5, s3
	v_add_u32_e32 v0, s2, v0
	v_ashrrev_i32_e32 v1, 31, v0
	s_waitcnt lgkmcnt(0)
	v_lshl_add_u64 v[0:1], v[0:1], 3, s[0:1]
	global_store_dwordx2 v[0:1], v[2:3], off
.LBB178_6:
	s_endpgm
	.section	.rodata,"a",@progbits
	.p2align	6, 0x0
	.amdhsa_kernel _ZN9rocsparseL42gtsv_transpose_and_pad_array_shared_kernelILj256ELj2E21rocsparse_complex_numIfEEEviiiPKT1_PS3_S3_
		.amdhsa_group_segment_fixed_size 2048
		.amdhsa_private_segment_fixed_size 0
		.amdhsa_kernarg_size 40
		.amdhsa_user_sgpr_count 2
		.amdhsa_user_sgpr_dispatch_ptr 0
		.amdhsa_user_sgpr_queue_ptr 0
		.amdhsa_user_sgpr_kernarg_segment_ptr 1
		.amdhsa_user_sgpr_dispatch_id 0
		.amdhsa_user_sgpr_kernarg_preload_length 0
		.amdhsa_user_sgpr_kernarg_preload_offset 0
		.amdhsa_user_sgpr_private_segment_size 0
		.amdhsa_uses_dynamic_stack 0
		.amdhsa_enable_private_segment 0
		.amdhsa_system_sgpr_workgroup_id_x 1
		.amdhsa_system_sgpr_workgroup_id_y 1
		.amdhsa_system_sgpr_workgroup_id_z 0
		.amdhsa_system_sgpr_workgroup_info 0
		.amdhsa_system_vgpr_workitem_id 0
		.amdhsa_next_free_vgpr 6
		.amdhsa_next_free_sgpr 12
		.amdhsa_accum_offset 8
		.amdhsa_reserve_vcc 1
		.amdhsa_float_round_mode_32 0
		.amdhsa_float_round_mode_16_64 0
		.amdhsa_float_denorm_mode_32 3
		.amdhsa_float_denorm_mode_16_64 3
		.amdhsa_dx10_clamp 1
		.amdhsa_ieee_mode 1
		.amdhsa_fp16_overflow 0
		.amdhsa_tg_split 0
		.amdhsa_exception_fp_ieee_invalid_op 0
		.amdhsa_exception_fp_denorm_src 0
		.amdhsa_exception_fp_ieee_div_zero 0
		.amdhsa_exception_fp_ieee_overflow 0
		.amdhsa_exception_fp_ieee_underflow 0
		.amdhsa_exception_fp_ieee_inexact 0
		.amdhsa_exception_int_div_zero 0
	.end_amdhsa_kernel
	.section	.text._ZN9rocsparseL42gtsv_transpose_and_pad_array_shared_kernelILj256ELj2E21rocsparse_complex_numIfEEEviiiPKT1_PS3_S3_,"axG",@progbits,_ZN9rocsparseL42gtsv_transpose_and_pad_array_shared_kernelILj256ELj2E21rocsparse_complex_numIfEEEviiiPKT1_PS3_S3_,comdat
.Lfunc_end178:
	.size	_ZN9rocsparseL42gtsv_transpose_and_pad_array_shared_kernelILj256ELj2E21rocsparse_complex_numIfEEEviiiPKT1_PS3_S3_, .Lfunc_end178-_ZN9rocsparseL42gtsv_transpose_and_pad_array_shared_kernelILj256ELj2E21rocsparse_complex_numIfEEEviiiPKT1_PS3_S3_
                                        ; -- End function
	.set _ZN9rocsparseL42gtsv_transpose_and_pad_array_shared_kernelILj256ELj2E21rocsparse_complex_numIfEEEviiiPKT1_PS3_S3_.num_vgpr, 6
	.set _ZN9rocsparseL42gtsv_transpose_and_pad_array_shared_kernelILj256ELj2E21rocsparse_complex_numIfEEEviiiPKT1_PS3_S3_.num_agpr, 0
	.set _ZN9rocsparseL42gtsv_transpose_and_pad_array_shared_kernelILj256ELj2E21rocsparse_complex_numIfEEEviiiPKT1_PS3_S3_.numbered_sgpr, 12
	.set _ZN9rocsparseL42gtsv_transpose_and_pad_array_shared_kernelILj256ELj2E21rocsparse_complex_numIfEEEviiiPKT1_PS3_S3_.num_named_barrier, 0
	.set _ZN9rocsparseL42gtsv_transpose_and_pad_array_shared_kernelILj256ELj2E21rocsparse_complex_numIfEEEviiiPKT1_PS3_S3_.private_seg_size, 0
	.set _ZN9rocsparseL42gtsv_transpose_and_pad_array_shared_kernelILj256ELj2E21rocsparse_complex_numIfEEEviiiPKT1_PS3_S3_.uses_vcc, 1
	.set _ZN9rocsparseL42gtsv_transpose_and_pad_array_shared_kernelILj256ELj2E21rocsparse_complex_numIfEEEviiiPKT1_PS3_S3_.uses_flat_scratch, 0
	.set _ZN9rocsparseL42gtsv_transpose_and_pad_array_shared_kernelILj256ELj2E21rocsparse_complex_numIfEEEviiiPKT1_PS3_S3_.has_dyn_sized_stack, 0
	.set _ZN9rocsparseL42gtsv_transpose_and_pad_array_shared_kernelILj256ELj2E21rocsparse_complex_numIfEEEviiiPKT1_PS3_S3_.has_recursion, 0
	.set _ZN9rocsparseL42gtsv_transpose_and_pad_array_shared_kernelILj256ELj2E21rocsparse_complex_numIfEEEviiiPKT1_PS3_S3_.has_indirect_call, 0
	.section	.AMDGPU.csdata,"",@progbits
; Kernel info:
; codeLenInByte = 236
; TotalNumSgprs: 18
; NumVgprs: 6
; NumAgprs: 0
; TotalNumVgprs: 6
; ScratchSize: 0
; MemoryBound: 0
; FloatMode: 240
; IeeeMode: 1
; LDSByteSize: 2048 bytes/workgroup (compile time only)
; SGPRBlocks: 2
; VGPRBlocks: 0
; NumSGPRsForWavesPerEU: 18
; NumVGPRsForWavesPerEU: 6
; AccumOffset: 8
; Occupancy: 8
; WaveLimiterHint : 0
; COMPUTE_PGM_RSRC2:SCRATCH_EN: 0
; COMPUTE_PGM_RSRC2:USER_SGPR: 2
; COMPUTE_PGM_RSRC2:TRAP_HANDLER: 0
; COMPUTE_PGM_RSRC2:TGID_X_EN: 1
; COMPUTE_PGM_RSRC2:TGID_Y_EN: 1
; COMPUTE_PGM_RSRC2:TGID_Z_EN: 0
; COMPUTE_PGM_RSRC2:TIDIG_COMP_CNT: 0
; COMPUTE_PGM_RSRC3_GFX90A:ACCUM_OFFSET: 1
; COMPUTE_PGM_RSRC3_GFX90A:TG_SPLIT: 0
	.section	.text._ZN9rocsparseL18gtsv_LBM_wv_kernelILj256ELj2E21rocsparse_complex_numIfEEEviiiPKT1_S5_S5_PS3_S6_S6_Pi,"axG",@progbits,_ZN9rocsparseL18gtsv_LBM_wv_kernelILj256ELj2E21rocsparse_complex_numIfEEEviiiPKT1_S5_S5_PS3_S6_S6_Pi,comdat
	.globl	_ZN9rocsparseL18gtsv_LBM_wv_kernelILj256ELj2E21rocsparse_complex_numIfEEEviiiPKT1_S5_S5_PS3_S6_S6_Pi ; -- Begin function _ZN9rocsparseL18gtsv_LBM_wv_kernelILj256ELj2E21rocsparse_complex_numIfEEEviiiPKT1_S5_S5_PS3_S6_S6_Pi
	.p2align	8
	.type	_ZN9rocsparseL18gtsv_LBM_wv_kernelILj256ELj2E21rocsparse_complex_numIfEEEviiiPKT1_S5_S5_PS3_S6_S6_Pi,@function
_ZN9rocsparseL18gtsv_LBM_wv_kernelILj256ELj2E21rocsparse_complex_numIfEEEviiiPKT1_S5_S5_PS3_S6_S6_Pi: ; @_ZN9rocsparseL18gtsv_LBM_wv_kernelILj256ELj2E21rocsparse_complex_numIfEEEviiiPKT1_S5_S5_PS3_S6_S6_Pi
; %bb.0:
	s_load_dword s27, s[0:1], 0x0
	v_lshl_or_b32 v0, s2, 8, v0
	s_waitcnt lgkmcnt(0)
	s_lshr_b32 s26, s27, 1
	v_cmp_gt_i32_e32 vcc, s26, v0
	s_and_saveexec_b64 s[2:3], vcc
	s_cbranch_execz .LBB179_62
; %bb.1:
	s_load_dwordx2 s[14:15], s[0:1], 0x10
	s_load_dwordx8 s[4:11], s[0:1], 0x20
	v_ashrrev_i32_e32 v1, 31, v0
	v_add_u32_e32 v2, s26, v0
	v_lshlrev_b64 v[4:5], 3, v[0:1]
	v_mov_b32_e32 v3, 0
	s_waitcnt lgkmcnt(0)
	v_lshl_add_u64 v[6:7], s[14:15], 0, v[4:5]
	v_lshlrev_b64 v[8:9], 3, v[2:3]
	global_load_dwordx2 v[6:7], v[6:7], off
	v_lshl_add_u64 v[10:11], s[4:5], 0, v[8:9]
	global_load_dwordx2 v[10:11], v[10:11], off
	s_load_dwordx2 s[12:13], s[0:1], 0x40
	v_lshl_add_u64 v[4:5], s[6:7], 0, v[4:5]
	s_cmp_lt_i32 s27, 1
	v_lshl_add_u64 v[8:9], s[8:9], 0, v[8:9]
	s_waitcnt vmcnt(1)
	global_store_dwordx2 v[4:5], v[6:7], off
	s_waitcnt vmcnt(1)
	global_store_dwordx2 v[8:9], v[10:11], off
	v_mov_b32_e32 v6, v3
	s_cbranch_scc1 .LBB179_55
; %bb.2:
	s_load_dwordx2 s[16:17], s[0:1], 0x18
	s_mov_b32 s20, 0x372fe950
	s_and_b32 s28, s27, 0x7ffffffe
	v_mov_b32_e32 v42, 0
	s_mov_b64 s[18:19], 0
	s_waitcnt lgkmcnt(0)
	v_lshl_add_u64 v[6:7], v[0:1], 3, s[16:17]
	global_load_dwordx2 v[10:11], v[6:7], off
	s_mov_b32 s29, 0xf800000
	v_mov_b32_e32 v1, 0x260
	s_mov_b32 s21, 0x3fe3c6ef
	v_mov_b32_e32 v3, 2
	v_mov_b32_e32 v40, 1
	v_mov_b32_e32 v6, 0
	s_branch .LBB179_5
.LBB179_3:                              ;   in Loop: Header=BB179_5 Depth=1
	s_or_b64 exec, exec, s[22:23]
	v_xor_b32_e32 v8, 0x80000000, v21
	v_mov_b32_e32 v9, v20
	v_pk_mul_f32 v[8:9], v[18:19], v[8:9] op_sel_hi:[0,1]
	v_pk_fma_f32 v[8:9], v[20:21], v[10:11], v[8:9] op_sel_hi:[1,0,1]
	v_mov_b32_e32 v7, s26
	v_pk_add_f32 v[16:17], v[12:13], v[8:9] neg_lo:[0,1] neg_hi:[0,1]
.LBB179_4:                              ;   in Loop: Header=BB179_5 Depth=1
	s_or_b64 exec, exec, s[2:3]
	v_add_u32_e32 v6, v7, v6
	v_cmp_le_i32_e32 vcc, s27, v6
	s_or_b64 s[18:19], vcc, s[18:19]
	v_mov_b64_e32 v[10:11], v[16:17]
	s_andn2_b64 exec, exec, s[18:19]
	s_cbranch_execz .LBB179_54
.LBB179_5:                              ; =>This Inner Loop Header: Depth=1
	v_add_u32_e32 v18, v6, v0
	v_ashrrev_i32_e32 v19, 31, v18
	v_lshl_add_u64 v[8:9], v[18:19], 3, s[4:5]
	global_load_dwordx2 v[14:15], v[8:9], off
	v_cmp_gt_u32_e64 s[0:1], s26, v6
	v_mov_b32_e32 v8, 0
	v_mov_b32_e32 v9, 0
	s_and_saveexec_b64 s[2:3], s[0:1]
	s_cbranch_execz .LBB179_7
; %bb.6:                                ;   in Loop: Header=BB179_5 Depth=1
	v_add_u32_e32 v8, v2, v6
	v_ashrrev_i32_e32 v9, 31, v8
	v_lshl_add_u64 v[8:9], v[8:9], 3, s[14:15]
	global_load_dwordx2 v[8:9], v[8:9], off
.LBB179_7:                              ;   in Loop: Header=BB179_5 Depth=1
	s_or_b64 exec, exec, s[2:3]
	v_mov_b32_e32 v16, 0
	v_mov_b32_e32 v12, 0
	;; [unrolled: 1-line block ×3, first 2 shown]
	s_and_saveexec_b64 s[2:3], s[0:1]
	s_cbranch_execz .LBB179_9
; %bb.8:                                ;   in Loop: Header=BB179_5 Depth=1
	v_add_u32_e32 v12, v2, v6
	v_ashrrev_i32_e32 v13, 31, v12
	v_lshl_add_u64 v[12:13], v[12:13], 3, s[16:17]
	global_load_dwordx2 v[12:13], v[12:13], off
.LBB179_9:                              ;   in Loop: Header=BB179_5 Depth=1
	s_or_b64 exec, exec, s[2:3]
	v_mov_b32_e32 v17, 0
	s_and_saveexec_b64 s[2:3], s[0:1]
	s_cbranch_execz .LBB179_11
; %bb.10:                               ;   in Loop: Header=BB179_5 Depth=1
	v_add_u32_e32 v16, v2, v6
	v_ashrrev_i32_e32 v17, 31, v16
	v_lshl_add_u64 v[16:17], v[16:17], 3, s[4:5]
	global_load_dwordx2 v[16:17], v[16:17], off
.LBB179_11:                             ;   in Loop: Header=BB179_5 Depth=1
	s_or_b64 exec, exec, s[2:3]
	s_waitcnt vmcnt(0)
	v_cmp_gt_f32_e32 vcc, 0, v8
                                        ; implicit-def: $vgpr7
	s_nop 1
	v_cndmask_b32_e64 v20, v8, -v8, vcc
	v_cmp_gt_f32_e32 vcc, 0, v9
	s_nop 1
	v_cndmask_b32_e64 v21, v9, -v9, vcc
	v_cmp_ngt_f32_e32 vcc, v20, v21
	s_and_saveexec_b64 s[2:3], vcc
	s_xor_b64 s[22:23], exec, s[2:3]
	s_cbranch_execz .LBB179_15
; %bb.12:                               ;   in Loop: Header=BB179_5 Depth=1
	v_mov_b32_e32 v7, 0
	v_cmp_neq_f32_e32 vcc, 0, v9
	s_and_saveexec_b64 s[24:25], vcc
	s_cbranch_execz .LBB179_14
; %bb.13:                               ;   in Loop: Header=BB179_5 Depth=1
	v_div_scale_f32 v7, s[2:3], v21, v21, v20
	v_rcp_f32_e32 v22, v7
	v_div_scale_f32 v23, vcc, v20, v21, v20
	v_fma_f32 v24, -v7, v22, 1.0
	v_fmac_f32_e32 v22, v24, v22
	v_mul_f32_e32 v24, v23, v22
	v_fma_f32 v25, -v7, v24, v23
	v_fmac_f32_e32 v24, v25, v22
	v_fma_f32 v7, -v7, v24, v23
	v_div_fmas_f32 v7, v7, v22, v24
	v_div_fixup_f32 v7, v7, v21, v20
	v_fma_f32 v7, v7, v7, 1.0
	v_mul_f32_e32 v20, 0x4f800000, v7
	v_cmp_gt_f32_e32 vcc, s29, v7
	s_nop 1
	v_cndmask_b32_e32 v7, v7, v20, vcc
	v_sqrt_f32_e32 v20, v7
	s_nop 0
	v_add_u32_e32 v22, -1, v20
	v_fma_f32 v23, -v22, v20, v7
	v_cmp_ge_f32_e64 s[2:3], 0, v23
	v_add_u32_e32 v23, 1, v20
	s_nop 0
	v_cndmask_b32_e64 v22, v20, v22, s[2:3]
	v_fma_f32 v20, -v23, v20, v7
	v_cmp_lt_f32_e64 s[2:3], 0, v20
	s_nop 1
	v_cndmask_b32_e64 v20, v22, v23, s[2:3]
	v_mul_f32_e32 v22, 0x37800000, v20
	v_cndmask_b32_e32 v20, v20, v22, vcc
	v_cmp_class_f32_e32 vcc, v7, v1
	s_nop 1
	v_cndmask_b32_e32 v7, v20, v7, vcc
	v_mul_f32_e32 v7, v21, v7
.LBB179_14:                             ;   in Loop: Header=BB179_5 Depth=1
	s_or_b64 exec, exec, s[24:25]
                                        ; implicit-def: $vgpr20
                                        ; implicit-def: $vgpr21
.LBB179_15:                             ;   in Loop: Header=BB179_5 Depth=1
	s_andn2_saveexec_b64 s[22:23], s[22:23]
	s_cbranch_execz .LBB179_17
; %bb.16:                               ;   in Loop: Header=BB179_5 Depth=1
	v_div_scale_f32 v7, s[2:3], v20, v20, v21
	v_rcp_f32_e32 v22, v7
	v_div_scale_f32 v23, vcc, v21, v20, v21
	v_fma_f32 v24, -v7, v22, 1.0
	v_fmac_f32_e32 v22, v24, v22
	v_mul_f32_e32 v24, v23, v22
	v_fma_f32 v25, -v7, v24, v23
	v_fmac_f32_e32 v24, v25, v22
	v_fma_f32 v7, -v7, v24, v23
	v_div_fmas_f32 v7, v7, v22, v24
	v_div_fixup_f32 v7, v7, v20, v21
	v_fma_f32 v7, v7, v7, 1.0
	v_mul_f32_e32 v21, 0x4f800000, v7
	v_cmp_gt_f32_e32 vcc, s29, v7
	s_nop 1
	v_cndmask_b32_e32 v7, v7, v21, vcc
	v_sqrt_f32_e32 v21, v7
	s_nop 0
	v_add_u32_e32 v22, -1, v21
	v_fma_f32 v23, -v22, v21, v7
	v_cmp_ge_f32_e64 s[2:3], 0, v23
	v_add_u32_e32 v23, 1, v21
	s_nop 0
	v_cndmask_b32_e64 v22, v21, v22, s[2:3]
	v_fma_f32 v21, -v23, v21, v7
	v_cmp_lt_f32_e64 s[2:3], 0, v21
	s_nop 1
	v_cndmask_b32_e64 v21, v22, v23, s[2:3]
	v_mul_f32_e32 v22, 0x37800000, v21
	v_cndmask_b32_e32 v21, v21, v22, vcc
	v_cmp_class_f32_e32 vcc, v7, v1
	s_nop 1
	v_cndmask_b32_e32 v7, v21, v7, vcc
	v_mul_f32_e32 v7, v20, v7
.LBB179_17:                             ;   in Loop: Header=BB179_5 Depth=1
	s_or_b64 exec, exec, s[22:23]
	v_cmp_gt_f32_e32 vcc, 0, v12
                                        ; implicit-def: $vgpr26
	s_nop 1
	v_cndmask_b32_e64 v20, v12, -v12, vcc
	v_cmp_gt_f32_e32 vcc, 0, v13
	s_nop 1
	v_cndmask_b32_e64 v21, v13, -v13, vcc
	v_cmp_ngt_f32_e32 vcc, v20, v21
	s_and_saveexec_b64 s[2:3], vcc
	s_xor_b64 s[22:23], exec, s[2:3]
	s_cbranch_execz .LBB179_21
; %bb.18:                               ;   in Loop: Header=BB179_5 Depth=1
	v_mov_b32_e32 v26, 0
	v_cmp_neq_f32_e32 vcc, 0, v13
	s_and_saveexec_b64 s[24:25], vcc
	s_cbranch_execz .LBB179_20
; %bb.19:                               ;   in Loop: Header=BB179_5 Depth=1
	v_div_scale_f32 v22, s[2:3], v21, v21, v20
	v_rcp_f32_e32 v23, v22
	v_div_scale_f32 v24, vcc, v20, v21, v20
	v_fma_f32 v25, -v22, v23, 1.0
	v_fmac_f32_e32 v23, v25, v23
	v_mul_f32_e32 v25, v24, v23
	v_fma_f32 v26, -v22, v25, v24
	v_fmac_f32_e32 v25, v26, v23
	v_fma_f32 v22, -v22, v25, v24
	v_div_fmas_f32 v22, v22, v23, v25
	v_div_fixup_f32 v20, v22, v21, v20
	v_fma_f32 v20, v20, v20, 1.0
	v_mul_f32_e32 v22, 0x4f800000, v20
	v_cmp_gt_f32_e32 vcc, s29, v20
	s_nop 1
	v_cndmask_b32_e32 v20, v20, v22, vcc
	v_sqrt_f32_e32 v22, v20
	s_nop 0
	v_add_u32_e32 v23, -1, v22
	v_fma_f32 v24, -v23, v22, v20
	v_cmp_ge_f32_e64 s[2:3], 0, v24
	v_add_u32_e32 v24, 1, v22
	s_nop 0
	v_cndmask_b32_e64 v23, v22, v23, s[2:3]
	v_fma_f32 v22, -v24, v22, v20
	v_cmp_lt_f32_e64 s[2:3], 0, v22
	s_nop 1
	v_cndmask_b32_e64 v22, v23, v24, s[2:3]
	v_mul_f32_e32 v23, 0x37800000, v22
	v_cndmask_b32_e32 v22, v22, v23, vcc
	v_cmp_class_f32_e32 vcc, v20, v1
	s_nop 1
	v_cndmask_b32_e32 v20, v22, v20, vcc
	v_mul_f32_e32 v26, v21, v20
.LBB179_20:                             ;   in Loop: Header=BB179_5 Depth=1
	s_or_b64 exec, exec, s[24:25]
                                        ; implicit-def: $vgpr20
                                        ; implicit-def: $vgpr21
.LBB179_21:                             ;   in Loop: Header=BB179_5 Depth=1
	s_andn2_saveexec_b64 s[22:23], s[22:23]
	s_cbranch_execz .LBB179_23
; %bb.22:                               ;   in Loop: Header=BB179_5 Depth=1
	v_div_scale_f32 v22, s[2:3], v20, v20, v21
	v_rcp_f32_e32 v23, v22
	v_div_scale_f32 v24, vcc, v21, v20, v21
	v_fma_f32 v25, -v22, v23, 1.0
	v_fmac_f32_e32 v23, v25, v23
	v_mul_f32_e32 v25, v24, v23
	v_fma_f32 v26, -v22, v25, v24
	v_fmac_f32_e32 v25, v26, v23
	v_fma_f32 v22, -v22, v25, v24
	v_div_fmas_f32 v22, v22, v23, v25
	v_div_fixup_f32 v21, v22, v20, v21
	v_fma_f32 v21, v21, v21, 1.0
	v_mul_f32_e32 v22, 0x4f800000, v21
	v_cmp_gt_f32_e32 vcc, s29, v21
	s_nop 1
	v_cndmask_b32_e32 v21, v21, v22, vcc
	v_sqrt_f32_e32 v22, v21
	s_nop 0
	v_add_u32_e32 v23, -1, v22
	v_fma_f32 v24, -v23, v22, v21
	v_cmp_ge_f32_e64 s[2:3], 0, v24
	v_add_u32_e32 v24, 1, v22
	s_nop 0
	v_cndmask_b32_e64 v23, v22, v23, s[2:3]
	v_fma_f32 v22, -v24, v22, v21
	v_cmp_lt_f32_e64 s[2:3], 0, v22
	s_nop 1
	v_cndmask_b32_e64 v22, v23, v24, s[2:3]
	v_mul_f32_e32 v23, 0x37800000, v22
	v_cndmask_b32_e32 v22, v22, v23, vcc
	v_cmp_class_f32_e32 vcc, v21, v1
	s_nop 1
	v_cndmask_b32_e32 v21, v22, v21, vcc
	v_mul_f32_e32 v26, v20, v21
.LBB179_23:                             ;   in Loop: Header=BB179_5 Depth=1
	s_or_b64 exec, exec, s[22:23]
	v_cmp_gt_f32_e32 vcc, 0, v14
                                        ; implicit-def: $vgpr27
	s_nop 1
	v_cndmask_b32_e64 v20, v14, -v14, vcc
	v_cmp_gt_f32_e32 vcc, 0, v15
	s_nop 1
	v_cndmask_b32_e64 v21, v15, -v15, vcc
	v_cmp_ngt_f32_e32 vcc, v20, v21
	s_and_saveexec_b64 s[2:3], vcc
	s_xor_b64 s[22:23], exec, s[2:3]
	s_cbranch_execz .LBB179_27
; %bb.24:                               ;   in Loop: Header=BB179_5 Depth=1
	v_mov_b32_e32 v27, 0
	v_cmp_neq_f32_e32 vcc, 0, v15
	s_and_saveexec_b64 s[24:25], vcc
	s_cbranch_execz .LBB179_26
; %bb.25:                               ;   in Loop: Header=BB179_5 Depth=1
	v_div_scale_f32 v22, s[2:3], v21, v21, v20
	v_rcp_f32_e32 v23, v22
	v_div_scale_f32 v24, vcc, v20, v21, v20
	v_fma_f32 v25, -v22, v23, 1.0
	v_fmac_f32_e32 v23, v25, v23
	v_mul_f32_e32 v25, v24, v23
	v_fma_f32 v27, -v22, v25, v24
	v_fmac_f32_e32 v25, v27, v23
	v_fma_f32 v22, -v22, v25, v24
	v_div_fmas_f32 v22, v22, v23, v25
	v_div_fixup_f32 v20, v22, v21, v20
	v_fma_f32 v20, v20, v20, 1.0
	v_mul_f32_e32 v22, 0x4f800000, v20
	v_cmp_gt_f32_e32 vcc, s29, v20
	s_nop 1
	v_cndmask_b32_e32 v20, v20, v22, vcc
	v_sqrt_f32_e32 v22, v20
	s_nop 0
	v_add_u32_e32 v23, -1, v22
	v_fma_f32 v24, -v23, v22, v20
	v_cmp_ge_f32_e64 s[2:3], 0, v24
	v_add_u32_e32 v24, 1, v22
	s_nop 0
	v_cndmask_b32_e64 v23, v22, v23, s[2:3]
	v_fma_f32 v22, -v24, v22, v20
	v_cmp_lt_f32_e64 s[2:3], 0, v22
	s_nop 1
	v_cndmask_b32_e64 v22, v23, v24, s[2:3]
	v_mul_f32_e32 v23, 0x37800000, v22
	v_cndmask_b32_e32 v22, v22, v23, vcc
	v_cmp_class_f32_e32 vcc, v20, v1
	s_nop 1
	v_cndmask_b32_e32 v20, v22, v20, vcc
	v_mul_f32_e32 v27, v21, v20
.LBB179_26:                             ;   in Loop: Header=BB179_5 Depth=1
	s_or_b64 exec, exec, s[24:25]
                                        ; implicit-def: $vgpr20
                                        ; implicit-def: $vgpr21
.LBB179_27:                             ;   in Loop: Header=BB179_5 Depth=1
	s_andn2_saveexec_b64 s[22:23], s[22:23]
	s_cbranch_execz .LBB179_29
; %bb.28:                               ;   in Loop: Header=BB179_5 Depth=1
	v_div_scale_f32 v22, s[2:3], v20, v20, v21
	v_rcp_f32_e32 v23, v22
	v_div_scale_f32 v24, vcc, v21, v20, v21
	v_fma_f32 v25, -v22, v23, 1.0
	v_fmac_f32_e32 v23, v25, v23
	v_mul_f32_e32 v25, v24, v23
	v_fma_f32 v27, -v22, v25, v24
	v_fmac_f32_e32 v25, v27, v23
	v_fma_f32 v22, -v22, v25, v24
	v_div_fmas_f32 v22, v22, v23, v25
	v_div_fixup_f32 v21, v22, v20, v21
	v_fma_f32 v21, v21, v21, 1.0
	v_mul_f32_e32 v22, 0x4f800000, v21
	v_cmp_gt_f32_e32 vcc, s29, v21
	s_nop 1
	v_cndmask_b32_e32 v21, v21, v22, vcc
	v_sqrt_f32_e32 v22, v21
	s_nop 0
	v_add_u32_e32 v23, -1, v22
	v_fma_f32 v24, -v23, v22, v21
	v_cmp_ge_f32_e64 s[2:3], 0, v24
	v_add_u32_e32 v24, 1, v22
	s_nop 0
	v_cndmask_b32_e64 v23, v22, v23, s[2:3]
	v_fma_f32 v22, -v24, v22, v21
	v_cmp_lt_f32_e64 s[2:3], 0, v22
	s_nop 1
	v_cndmask_b32_e64 v22, v23, v24, s[2:3]
	v_mul_f32_e32 v23, 0x37800000, v22
	v_cndmask_b32_e32 v22, v22, v23, vcc
	v_cmp_class_f32_e32 vcc, v21, v1
	s_nop 1
	v_cndmask_b32_e32 v21, v22, v21, vcc
	v_mul_f32_e32 v27, v20, v21
.LBB179_29:                             ;   in Loop: Header=BB179_5 Depth=1
	s_or_b64 exec, exec, s[22:23]
	v_cmp_gt_f32_e32 vcc, 0, v16
                                        ; implicit-def: $vgpr28
	s_nop 1
	v_cndmask_b32_e64 v20, v16, -v16, vcc
	v_cmp_gt_f32_e32 vcc, 0, v17
	s_nop 1
	v_cndmask_b32_e64 v21, v17, -v17, vcc
	v_cmp_ngt_f32_e32 vcc, v20, v21
	s_and_saveexec_b64 s[2:3], vcc
	s_xor_b64 s[22:23], exec, s[2:3]
	s_cbranch_execz .LBB179_33
; %bb.30:                               ;   in Loop: Header=BB179_5 Depth=1
	v_mov_b32_e32 v28, 0
	v_cmp_neq_f32_e32 vcc, 0, v17
	s_and_saveexec_b64 s[24:25], vcc
	s_cbranch_execz .LBB179_32
; %bb.31:                               ;   in Loop: Header=BB179_5 Depth=1
	v_div_scale_f32 v22, s[2:3], v21, v21, v20
	v_rcp_f32_e32 v23, v22
	v_div_scale_f32 v24, vcc, v20, v21, v20
	v_fma_f32 v25, -v22, v23, 1.0
	v_fmac_f32_e32 v23, v25, v23
	v_mul_f32_e32 v25, v24, v23
	v_fma_f32 v28, -v22, v25, v24
	v_fmac_f32_e32 v25, v28, v23
	v_fma_f32 v22, -v22, v25, v24
	v_div_fmas_f32 v22, v22, v23, v25
	v_div_fixup_f32 v20, v22, v21, v20
	v_fma_f32 v20, v20, v20, 1.0
	v_mul_f32_e32 v22, 0x4f800000, v20
	v_cmp_gt_f32_e32 vcc, s29, v20
	s_nop 1
	v_cndmask_b32_e32 v20, v20, v22, vcc
	v_sqrt_f32_e32 v22, v20
	s_nop 0
	v_add_u32_e32 v23, -1, v22
	v_fma_f32 v24, -v23, v22, v20
	v_cmp_ge_f32_e64 s[2:3], 0, v24
	v_add_u32_e32 v24, 1, v22
	s_nop 0
	v_cndmask_b32_e64 v23, v22, v23, s[2:3]
	v_fma_f32 v22, -v24, v22, v20
	v_cmp_lt_f32_e64 s[2:3], 0, v22
	s_nop 1
	v_cndmask_b32_e64 v22, v23, v24, s[2:3]
	v_mul_f32_e32 v23, 0x37800000, v22
	v_cndmask_b32_e32 v22, v22, v23, vcc
	v_cmp_class_f32_e32 vcc, v20, v1
	s_nop 1
	v_cndmask_b32_e32 v20, v22, v20, vcc
	v_mul_f32_e32 v28, v21, v20
.LBB179_32:                             ;   in Loop: Header=BB179_5 Depth=1
	s_or_b64 exec, exec, s[24:25]
                                        ; implicit-def: $vgpr20
                                        ; implicit-def: $vgpr21
.LBB179_33:                             ;   in Loop: Header=BB179_5 Depth=1
	s_andn2_saveexec_b64 s[22:23], s[22:23]
	s_cbranch_execz .LBB179_35
; %bb.34:                               ;   in Loop: Header=BB179_5 Depth=1
	v_div_scale_f32 v22, s[2:3], v20, v20, v21
	v_rcp_f32_e32 v23, v22
	v_div_scale_f32 v24, vcc, v21, v20, v21
	v_fma_f32 v25, -v22, v23, 1.0
	v_fmac_f32_e32 v23, v25, v23
	v_mul_f32_e32 v25, v24, v23
	v_fma_f32 v28, -v22, v25, v24
	v_fmac_f32_e32 v25, v28, v23
	v_fma_f32 v22, -v22, v25, v24
	v_div_fmas_f32 v22, v22, v23, v25
	v_div_fixup_f32 v21, v22, v20, v21
	v_fma_f32 v21, v21, v21, 1.0
	v_mul_f32_e32 v22, 0x4f800000, v21
	v_cmp_gt_f32_e32 vcc, s29, v21
	s_nop 1
	v_cndmask_b32_e32 v21, v21, v22, vcc
	v_sqrt_f32_e32 v22, v21
	s_nop 0
	v_add_u32_e32 v23, -1, v22
	v_fma_f32 v24, -v23, v22, v21
	v_cmp_ge_f32_e64 s[2:3], 0, v24
	v_add_u32_e32 v24, 1, v22
	s_nop 0
	v_cndmask_b32_e64 v23, v22, v23, s[2:3]
	v_fma_f32 v22, -v24, v22, v21
	v_cmp_lt_f32_e64 s[2:3], 0, v22
	s_nop 1
	v_cndmask_b32_e64 v22, v23, v24, s[2:3]
	v_mul_f32_e32 v23, 0x37800000, v22
	v_cndmask_b32_e32 v22, v22, v23, vcc
	v_cmp_class_f32_e32 vcc, v21, v1
	s_nop 1
	v_cndmask_b32_e32 v21, v22, v21, vcc
	v_mul_f32_e32 v28, v20, v21
.LBB179_35:                             ;   in Loop: Header=BB179_5 Depth=1
	s_or_b64 exec, exec, s[22:23]
	v_cmp_gt_f32_e32 vcc, 0, v10
                                        ; implicit-def: $vgpr29
	s_nop 1
	v_cndmask_b32_e64 v20, v10, -v10, vcc
	v_cmp_gt_f32_e32 vcc, 0, v11
	s_nop 1
	v_cndmask_b32_e64 v21, v11, -v11, vcc
	v_cmp_ngt_f32_e32 vcc, v20, v21
	s_and_saveexec_b64 s[2:3], vcc
	s_xor_b64 s[22:23], exec, s[2:3]
	s_cbranch_execz .LBB179_39
; %bb.36:                               ;   in Loop: Header=BB179_5 Depth=1
	v_mov_b32_e32 v29, 0
	v_cmp_neq_f32_e32 vcc, 0, v11
	s_and_saveexec_b64 s[24:25], vcc
	s_cbranch_execz .LBB179_38
; %bb.37:                               ;   in Loop: Header=BB179_5 Depth=1
	v_div_scale_f32 v22, s[2:3], v21, v21, v20
	v_rcp_f32_e32 v23, v22
	v_div_scale_f32 v24, vcc, v20, v21, v20
	v_fma_f32 v25, -v22, v23, 1.0
	v_fmac_f32_e32 v23, v25, v23
	v_mul_f32_e32 v25, v24, v23
	v_fma_f32 v29, -v22, v25, v24
	v_fmac_f32_e32 v25, v29, v23
	v_fma_f32 v22, -v22, v25, v24
	v_div_fmas_f32 v22, v22, v23, v25
	v_div_fixup_f32 v20, v22, v21, v20
	v_fma_f32 v20, v20, v20, 1.0
	v_mul_f32_e32 v22, 0x4f800000, v20
	v_cmp_gt_f32_e32 vcc, s29, v20
	s_nop 1
	v_cndmask_b32_e32 v20, v20, v22, vcc
	v_sqrt_f32_e32 v22, v20
	s_nop 0
	v_add_u32_e32 v23, -1, v22
	v_fma_f32 v24, -v23, v22, v20
	v_cmp_ge_f32_e64 s[2:3], 0, v24
	v_add_u32_e32 v24, 1, v22
	s_nop 0
	v_cndmask_b32_e64 v23, v22, v23, s[2:3]
	v_fma_f32 v22, -v24, v22, v20
	v_cmp_lt_f32_e64 s[2:3], 0, v22
	s_nop 1
	v_cndmask_b32_e64 v22, v23, v24, s[2:3]
	v_mul_f32_e32 v23, 0x37800000, v22
	v_cndmask_b32_e32 v22, v22, v23, vcc
	v_cmp_class_f32_e32 vcc, v20, v1
	s_nop 1
	v_cndmask_b32_e32 v20, v22, v20, vcc
	v_mul_f32_e32 v29, v21, v20
.LBB179_38:                             ;   in Loop: Header=BB179_5 Depth=1
	s_or_b64 exec, exec, s[24:25]
                                        ; implicit-def: $vgpr20
                                        ; implicit-def: $vgpr21
.LBB179_39:                             ;   in Loop: Header=BB179_5 Depth=1
	s_andn2_saveexec_b64 s[22:23], s[22:23]
	s_cbranch_execz .LBB179_41
; %bb.40:                               ;   in Loop: Header=BB179_5 Depth=1
	v_div_scale_f32 v22, s[2:3], v20, v20, v21
	v_rcp_f32_e32 v23, v22
	v_div_scale_f32 v24, vcc, v21, v20, v21
	v_fma_f32 v25, -v22, v23, 1.0
	v_fmac_f32_e32 v23, v25, v23
	v_mul_f32_e32 v25, v24, v23
	v_fma_f32 v29, -v22, v25, v24
	v_fmac_f32_e32 v25, v29, v23
	v_fma_f32 v22, -v22, v25, v24
	v_div_fmas_f32 v22, v22, v23, v25
	v_div_fixup_f32 v21, v22, v20, v21
	v_fma_f32 v21, v21, v21, 1.0
	v_mul_f32_e32 v22, 0x4f800000, v21
	v_cmp_gt_f32_e32 vcc, s29, v21
	s_nop 1
	v_cndmask_b32_e32 v21, v21, v22, vcc
	v_sqrt_f32_e32 v22, v21
	s_nop 0
	v_add_u32_e32 v23, -1, v22
	v_fma_f32 v24, -v23, v22, v21
	v_cmp_ge_f32_e64 s[2:3], 0, v24
	v_add_u32_e32 v24, 1, v22
	s_nop 0
	v_cndmask_b32_e64 v23, v22, v23, s[2:3]
	v_fma_f32 v22, -v24, v22, v21
	v_cmp_lt_f32_e64 s[2:3], 0, v22
	s_nop 1
	v_cndmask_b32_e64 v22, v23, v24, s[2:3]
	v_mul_f32_e32 v23, 0x37800000, v22
	v_cndmask_b32_e32 v22, v22, v23, vcc
	v_cmp_class_f32_e32 vcc, v21, v1
	s_nop 1
	v_cndmask_b32_e32 v21, v22, v21, vcc
	v_mul_f32_e32 v29, v20, v21
.LBB179_41:                             ;   in Loop: Header=BB179_5 Depth=1
	s_or_b64 exec, exec, s[22:23]
	v_pk_add_f32 v[22:23], v[8:9], 0 neg_lo:[1,1] neg_hi:[1,1]
                                        ; implicit-def: $vgpr32
	s_nop 0
	v_pk_mov_b32 v[24:25], v[22:23], v[8:9] op_sel:[1,0]
	s_nop 0
	v_pk_mul_f32 v[20:21], v[14:15], v[24:25] op_sel:[1,0]
	s_nop 0
	v_pk_fma_f32 v[20:21], v[8:9], v[14:15], v[20:21] op_sel_hi:[1,0,1]
	s_nop 0
	v_cmp_gt_f32_e32 vcc, 0, v20
	s_nop 1
	v_cndmask_b32_e64 v30, v20, -v20, vcc
	v_cmp_gt_f32_e32 vcc, 0, v21
	s_nop 1
	v_cndmask_b32_e64 v31, v21, -v21, vcc
	v_cmp_ngt_f32_e32 vcc, v30, v31
	s_and_saveexec_b64 s[2:3], vcc
	s_xor_b64 s[22:23], exec, s[2:3]
	s_cbranch_execz .LBB179_45
; %bb.42:                               ;   in Loop: Header=BB179_5 Depth=1
	v_mov_b32_e32 v32, 0
	v_cmp_neq_f32_e32 vcc, 0, v21
	s_and_saveexec_b64 s[24:25], vcc
	s_cbranch_execz .LBB179_44
; %bb.43:                               ;   in Loop: Header=BB179_5 Depth=1
	v_div_scale_f32 v32, s[2:3], v31, v31, v30
	v_rcp_f32_e32 v33, v32
	v_div_scale_f32 v34, vcc, v30, v31, v30
	v_fma_f32 v35, -v32, v33, 1.0
	v_fmac_f32_e32 v33, v35, v33
	v_mul_f32_e32 v35, v34, v33
	v_fma_f32 v36, -v32, v35, v34
	v_fmac_f32_e32 v35, v36, v33
	v_fma_f32 v32, -v32, v35, v34
	v_div_fmas_f32 v32, v32, v33, v35
	v_div_fixup_f32 v30, v32, v31, v30
	v_fma_f32 v30, v30, v30, 1.0
	v_mul_f32_e32 v32, 0x4f800000, v30
	v_cmp_gt_f32_e32 vcc, s29, v30
	s_nop 1
	v_cndmask_b32_e32 v30, v30, v32, vcc
	v_sqrt_f32_e32 v32, v30
	s_nop 0
	v_add_u32_e32 v33, -1, v32
	v_fma_f32 v34, -v33, v32, v30
	v_cmp_ge_f32_e64 s[2:3], 0, v34
	v_add_u32_e32 v34, 1, v32
	s_nop 0
	v_cndmask_b32_e64 v33, v32, v33, s[2:3]
	v_fma_f32 v32, -v34, v32, v30
	v_cmp_lt_f32_e64 s[2:3], 0, v32
	s_nop 1
	v_cndmask_b32_e64 v32, v33, v34, s[2:3]
	v_mul_f32_e32 v33, 0x37800000, v32
	v_cndmask_b32_e32 v32, v32, v33, vcc
	v_cmp_class_f32_e32 vcc, v30, v1
	s_nop 1
	v_cndmask_b32_e32 v30, v32, v30, vcc
	v_mul_f32_e32 v32, v31, v30
.LBB179_44:                             ;   in Loop: Header=BB179_5 Depth=1
	s_or_b64 exec, exec, s[24:25]
                                        ; implicit-def: $vgpr30
                                        ; implicit-def: $vgpr31
.LBB179_45:                             ;   in Loop: Header=BB179_5 Depth=1
	s_andn2_saveexec_b64 s[22:23], s[22:23]
	s_cbranch_execz .LBB179_47
; %bb.46:                               ;   in Loop: Header=BB179_5 Depth=1
	v_div_scale_f32 v32, s[2:3], v30, v30, v31
	v_rcp_f32_e32 v33, v32
	v_div_scale_f32 v34, vcc, v31, v30, v31
	v_fma_f32 v35, -v32, v33, 1.0
	v_fmac_f32_e32 v33, v35, v33
	v_mul_f32_e32 v35, v34, v33
	v_fma_f32 v36, -v32, v35, v34
	v_fmac_f32_e32 v35, v36, v33
	v_fma_f32 v32, -v32, v35, v34
	v_div_fmas_f32 v32, v32, v33, v35
	v_div_fixup_f32 v31, v32, v30, v31
	v_fma_f32 v31, v31, v31, 1.0
	v_mul_f32_e32 v32, 0x4f800000, v31
	v_cmp_gt_f32_e32 vcc, s29, v31
	s_nop 1
	v_cndmask_b32_e32 v31, v31, v32, vcc
	v_sqrt_f32_e32 v32, v31
	s_nop 0
	v_add_u32_e32 v33, -1, v32
	v_fma_f32 v34, -v33, v32, v31
	v_cmp_ge_f32_e64 s[2:3], 0, v34
	v_add_u32_e32 v34, 1, v32
	s_nop 0
	v_cndmask_b32_e64 v33, v32, v33, s[2:3]
	v_fma_f32 v32, -v34, v32, v31
	v_cmp_lt_f32_e64 s[2:3], 0, v32
	s_nop 1
	v_cndmask_b32_e64 v32, v33, v34, s[2:3]
	v_mul_f32_e32 v33, 0x37800000, v32
	v_cndmask_b32_e32 v32, v32, v33, vcc
	v_cmp_class_f32_e32 vcc, v31, v1
	s_nop 1
	v_cndmask_b32_e32 v31, v32, v31, vcc
	v_mul_f32_e32 v32, v30, v31
.LBB179_47:                             ;   in Loop: Header=BB179_5 Depth=1
	s_or_b64 exec, exec, s[22:23]
	v_cvt_f64_f32_e32 v[30:31], v7
	v_cmp_ngt_f64_e32 vcc, 0, v[30:31]
	v_cvt_f64_f32_e32 v[34:35], v26
	v_cvt_f64_f32_e32 v[26:27], v27
	v_cndmask_b32_e32 v31, 0, v31, vcc
	v_cndmask_b32_e32 v30, 0, v30, vcc
	v_cmp_gt_f64_e32 vcc, v[30:31], v[34:35]
	v_cmp_ne_u32_e64 s[2:3], s26, v6
	s_nop 0
	v_cndmask_b32_e32 v31, v35, v31, vcc
	v_cndmask_b32_e32 v30, v34, v30, vcc
	v_cmp_gt_f64_e32 vcc, v[30:31], v[26:27]
	s_nop 1
	v_cndmask_b32_e32 v27, v27, v31, vcc
	v_cndmask_b32_e32 v26, v26, v30, vcc
	v_cvt_f64_f32_e32 v[30:31], v28
	v_cmp_gt_f64_e32 vcc, v[26:27], v[30:31]
	v_cvt_f64_f32_e32 v[28:29], v29
	s_nop 0
	v_cndmask_b32_e32 v27, v31, v27, vcc
	v_cndmask_b32_e32 v26, v30, v26, vcc
	v_mul_f64 v[26:27], v[26:27], v[28:29]
	v_cvt_f64_f32_e32 v[28:29], v32
	v_mul_f64 v[28:29], v[28:29], s[20:21]
	v_cmp_nge_f64_e32 vcc, v[26:27], v[28:29]
	s_and_b64 s[2:3], s[2:3], vcc
	s_and_saveexec_b64 s[22:23], s[2:3]
	s_xor_b64 s[2:3], exec, s[22:23]
	s_cbranch_execz .LBB179_51
; %bb.48:                               ;   in Loop: Header=BB179_5 Depth=1
	v_add_u32_e32 v24, v2, v6
	v_ashrrev_i32_e32 v7, 31, v6
	v_ashrrev_i32_e32 v25, 31, v24
	v_lshlrev_b64 v[46:47], 3, v[18:19]
	v_lshl_add_u64 v[44:45], v[6:7], 3, v[4:5]
	v_lshlrev_b64 v[26:27], 3, v[24:25]
	v_lshl_add_u64 v[48:49], s[8:9], 0, v[46:47]
	global_load_dwordx2 v[32:33], v[44:45], off
	global_load_dwordx2 v[30:31], v[48:49], off
	v_lshl_add_u64 v[36:37], s[6:7], 0, v[26:27]
	global_load_dwordx2 v[38:39], v[36:37], off
	v_lshl_add_u64 v[26:27], s[8:9], 0, v[26:27]
	global_load_dwordx2 v[34:35], v[26:27], off
	v_xor_b32_e32 v28, 0x80000000, v11
	v_mov_b32_e32 v29, v10
	v_lshl_add_u64 v[54:55], v[18:19], 2, s[12:13]
	v_pk_mul_f32 v[18:19], v[12:13], v[28:29] op_sel:[1,0]
	v_pk_add_f32 v[52:53], v[14:15], 0 neg_lo:[1,1] neg_hi:[1,1]
	v_pk_fma_f32 v[18:19], v[10:11], v[12:13], v[18:19] op_sel_hi:[1,0,1]
	v_pk_mov_b32 v[56:57], v[52:53], v[14:15] op_sel:[1,0]
	v_pk_add_f32 v[18:19], v[18:19], v[20:21] neg_lo:[0,1] neg_hi:[0,1]
	v_pk_mov_b32 v[52:53], v[14:15], v[52:53] op_sel:[1,0]
	v_mul_f32_e32 v7, v19, v19
	v_fmac_f32_e32 v7, v18, v18
	v_fma_f32 v20, 0, v19, v18
	v_fma_f32 v19, v18, 0, -v19
	v_div_scale_f32 v18, s[22:23], v7, v7, 1.0
	v_rcp_f32_e32 v21, v18
	v_div_scale_f32 v41, vcc, 1.0, v7, 1.0
	v_pk_mul_f32 v[52:53], v[16:17], v[52:53] op_sel:[1,0]
	v_fma_f32 v43, -v18, v21, 1.0
	v_fmac_f32_e32 v21, v43, v21
	v_mul_f32_e32 v43, v41, v21
	v_fma_f32 v60, -v18, v43, v41
	v_fmac_f32_e32 v43, v60, v21
	v_fma_f32 v18, -v18, v43, v41
	v_div_fmas_f32 v18, v18, v21, v43
	v_pk_fma_f32 v[52:53], v[14:15], v[16:17], v[52:53] op_sel_hi:[1,0,1] neg_lo:[1,0,0] neg_hi:[1,0,0]
	v_div_fixup_f32 v7, v18, v7, 1.0
	v_xor_b32_e32 v58, 0x80000000, v53
	v_mov_b32_e32 v59, v52
	v_mul_f32_e32 v18, v20, v7
	v_mul_f32_e32 v20, v19, v7
	v_pk_mul_f32 v[58:59], v[20:21], v[58:59] op_sel_hi:[0,1]
	v_xor_b32_e32 v50, 0x80000000, v13
	v_mov_b32_e32 v51, v12
	v_lshl_add_u64 v[46:47], s[10:11], 0, v[46:47]
	v_pk_fma_f32 v[52:53], v[52:53], v[18:19], v[58:59] op_sel_hi:[1,0,1]
	global_store_dwordx2 v[46:47], v[52:53], off
	s_waitcnt vmcnt(4)
	v_pk_mul_f32 v[46:47], v[32:33], v[50:51] op_sel:[1,0]
	s_waitcnt vmcnt(3)
	v_pk_mul_f32 v[50:51], v[30:31], v[50:51] op_sel:[1,0]
	v_pk_fma_f32 v[46:47], v[12:13], v[32:33], v[46:47] op_sel_hi:[1,0,1]
	v_pk_fma_f32 v[12:13], v[12:13], v[30:31], v[50:51] op_sel_hi:[1,0,1]
	s_waitcnt vmcnt(2)
	v_pk_mul_f32 v[50:51], v[38:39], v[56:57] op_sel:[1,0]
	s_waitcnt vmcnt(1)
	v_pk_mul_f32 v[52:53], v[34:35], v[56:57] op_sel:[1,0]
	v_pk_fma_f32 v[50:51], v[14:15], v[38:39], v[50:51] op_sel_hi:[1,0,1]
	v_pk_fma_f32 v[14:15], v[14:15], v[34:35], v[52:53] op_sel_hi:[1,0,1]
	v_pk_add_f32 v[46:47], v[46:47], v[50:51] neg_lo:[0,1] neg_hi:[0,1]
	v_pk_add_f32 v[12:13], v[12:13], v[14:15] neg_lo:[0,1] neg_hi:[0,1]
	v_xor_b32_e32 v14, 0x80000000, v47
	v_mov_b32_e32 v15, v46
	v_xor_b32_e32 v50, 0x80000000, v13
	v_mov_b32_e32 v51, v12
	v_pk_mul_f32 v[14:15], v[20:21], v[14:15] op_sel_hi:[0,1]
	v_pk_mul_f32 v[50:51], v[20:21], v[50:51] op_sel_hi:[0,1]
	v_pk_fma_f32 v[14:15], v[46:47], v[18:19], v[14:15] op_sel_hi:[1,0,1]
	v_pk_fma_f32 v[12:13], v[12:13], v[18:19], v[50:51] op_sel_hi:[1,0,1]
	global_store_dwordx2 v[44:45], v[14:15], off
	global_store_dwordx2 v[48:49], v[12:13], off
	global_store_dword v[54:55], v3, off
	s_and_saveexec_b64 s[22:23], s[0:1]
	s_cbranch_execz .LBB179_50
; %bb.49:                               ;   in Loop: Header=BB179_5 Depth=1
	v_mov_b32_e32 v12, v33
	v_mov_b32_e32 v13, v33
	v_mov_b32_e32 v14, v39
	v_mov_b32_e32 v15, v39
	v_pk_mov_b32 v[22:23], v[8:9], v[22:23] op_sel:[1,0]
	v_mov_b32_e32 v33, v32
	v_mov_b32_e32 v39, v38
	v_pk_mul_f32 v[14:15], v[14:15], v[28:29]
	v_pk_mul_f32 v[12:13], v[22:23], v[12:13]
	v_pk_fma_f32 v[14:15], v[10:11], v[38:39], v[14:15]
	v_pk_fma_f32 v[12:13], v[8:9], v[32:33], v[12:13] neg_lo:[1,0,0] neg_hi:[1,0,0]
	v_mov_b32_e32 v21, v20
	v_pk_add_f32 v[12:13], v[12:13], v[14:15]
	v_mov_b32_e32 v19, v18
	v_xor_b32_e32 v14, 0x80000000, v13
	v_mov_b32_e32 v15, v12
	v_pk_mul_f32 v[14:15], v[20:21], v[14:15]
	v_mov_b32_e32 v44, v31
	v_mov_b32_e32 v45, v31
	v_pk_fma_f32 v[12:13], v[12:13], v[18:19], v[14:15]
	v_mov_b32_e32 v31, v30
	v_mov_b32_e32 v46, v35
	v_mov_b32_e32 v47, v35
	global_store_dwordx2 v[36:37], v[12:13], off
	v_pk_mul_f32 v[12:13], v[22:23], v[44:45]
	v_mov_b32_e32 v35, v34
	v_pk_fma_f32 v[8:9], v[8:9], v[30:31], v[12:13] neg_lo:[1,0,0] neg_hi:[1,0,0]
	v_pk_mul_f32 v[12:13], v[46:47], v[28:29]
	v_mov_b32_e32 v48, v17
	v_pk_fma_f32 v[12:13], v[10:11], v[34:35], v[12:13]
	v_mov_b32_e32 v49, v17
	v_pk_add_f32 v[8:9], v[8:9], v[12:13]
	v_mov_b32_e32 v17, v16
	v_xor_b32_e32 v12, 0x80000000, v9
	v_mov_b32_e32 v13, v8
	v_pk_mul_f32 v[12:13], v[20:21], v[12:13]
	s_nop 0
	v_pk_fma_f32 v[8:9], v[8:9], v[18:19], v[12:13]
	v_pk_mul_f32 v[12:13], v[48:49], v[28:29]
	global_store_dwordx2 v[26:27], v[8:9], off
	v_pk_fma_f32 v[10:11], v[10:11], v[16:17], v[12:13]
	v_lshl_add_u64 v[8:9], v[24:25], 3, s[10:11]
	v_xor_b32_e32 v12, 0x80000000, v11
	v_mov_b32_e32 v13, v10
	v_pk_mul_f32 v[12:13], v[20:21], v[12:13]
	s_nop 0
	v_pk_fma_f32 v[10:11], v[10:11], v[18:19], v[12:13]
	global_store_dwordx2 v[8:9], v[10:11], off
	v_lshl_add_u64 v[8:9], v[24:25], 2, s[12:13]
	global_store_dword v[8:9], v3, off
.LBB179_50:                             ;   in Loop: Header=BB179_5 Depth=1
	s_or_b64 exec, exec, s[22:23]
                                        ; implicit-def: $vgpr20_vgpr21
                                        ; implicit-def: $vgpr12_vgpr13
                                        ; implicit-def: $vgpr10_vgpr11
                                        ; implicit-def: $vgpr18_vgpr19
                                        ; implicit-def: $vgpr14_vgpr15
                                        ; implicit-def: $vgpr24_vgpr25
                                        ; implicit-def: $vgpr8_vgpr9
.LBB179_51:                             ;   in Loop: Header=BB179_5 Depth=1
	s_or_saveexec_b64 s[2:3], s[2:3]
	v_mov_b32_e32 v43, v42
	v_mov_b32_e32 v7, s28
	v_mov_b64_e32 v[16:17], v[42:43]
	s_xor_b64 exec, exec, s[2:3]
	s_cbranch_execz .LBB179_4
; %bb.52:                               ;   in Loop: Header=BB179_5 Depth=1
	v_ashrrev_i32_e32 v7, 31, v6
	v_lshlrev_b64 v[26:27], 3, v[18:19]
	v_lshl_add_u64 v[22:23], v[6:7], 3, v[4:5]
	v_lshl_add_u64 v[28:29], s[8:9], 0, v[26:27]
	global_load_dwordx2 v[16:17], v[22:23], off
	global_load_dwordx2 v[30:31], v[28:29], off
	v_mul_f32_e32 v7, v11, v11
	v_fmac_f32_e32 v7, v10, v10
	v_fma_f32 v36, 0, v11, v10
	v_fma_f32 v11, v10, 0, -v11
	v_div_scale_f32 v10, s[22:23], v7, v7, 1.0
	v_lshl_add_u64 v[34:35], v[18:19], 2, s[12:13]
	v_rcp_f32_e32 v18, v10
	v_div_scale_f32 v19, vcc, 1.0, v7, 1.0
	v_pk_add_f32 v[32:33], v[14:15], 0 neg_lo:[1,1] neg_hi:[1,1]
	v_fma_f32 v37, -v10, v18, 1.0
	v_fmac_f32_e32 v18, v37, v18
	v_mul_f32_e32 v37, v19, v18
	v_fma_f32 v38, -v10, v37, v19
	v_fmac_f32_e32 v37, v38, v18
	v_fma_f32 v10, -v10, v37, v19
	v_div_fmas_f32 v10, v10, v18, v37
	v_div_fixup_f32 v7, v10, v7, 1.0
	v_pk_mov_b32 v[32:33], v[32:33], v[14:15] op_sel:[1,0]
	v_mul_f32_e32 v18, v11, v7
	v_mul_f32_e32 v10, v36, v7
	v_pk_mul_f32 v[32:33], v[18:19], v[32:33] op_sel_hi:[0,1]
	v_lshl_add_u64 v[26:27], s[10:11], 0, v[26:27]
	v_pk_fma_f32 v[14:15], v[14:15], v[10:11], v[32:33] op_sel_hi:[1,0,1]
	global_store_dwordx2 v[26:27], v[14:15], off
	s_waitcnt vmcnt(2)
	v_xor_b32_e32 v26, 0x80000000, v17
	v_mov_b32_e32 v27, v16
	s_waitcnt vmcnt(1)
	v_pk_mul_f32 v[32:33], v[18:19], v[30:31] op_sel:[0,1] op_sel_hi:[0,0] neg_lo:[0,1]
	v_mov_b32_e32 v14, v16
	v_mov_b32_e32 v15, v16
	v_pk_mul_f32 v[26:27], v[18:19], v[26:27] op_sel_hi:[0,1]
	v_pk_fma_f32 v[30:31], v[30:31], v[10:11], v[32:33] op_sel_hi:[1,0,1]
	v_pk_fma_f32 v[26:27], v[16:17], v[10:11], v[26:27] op_sel_hi:[1,0,1]
	global_store_dwordx2 v[28:29], v[30:31], off
	global_store_dwordx2 v[22:23], v[26:27], off
	global_store_dword v[34:35], v40, off
	s_and_saveexec_b64 s[22:23], s[0:1]
	s_cbranch_execz .LBB179_3
; %bb.53:                               ;   in Loop: Header=BB179_5 Depth=1
	v_add_u32_e32 v22, v2, v6
	v_ashrrev_i32_e32 v23, 31, v22
	v_lshl_add_u64 v[22:23], v[22:23], 3, s[6:7]
	global_load_dwordx2 v[26:27], v[22:23], off
	v_mov_b32_e32 v19, v18
	v_mov_b32_e32 v11, v10
	v_pk_mul_f32 v[24:25], v[18:19], v[24:25]
	s_nop 0
	v_pk_fma_f32 v[8:9], v[8:9], v[10:11], v[24:25]
	s_nop 0
	v_pk_add_f32 v[24:25], v[8:9], 0 neg_lo:[1,1] neg_hi:[1,1]
	s_nop 0
	v_pk_mov_b32 v[24:25], v[8:9], v[24:25] op_sel:[1,0]
	s_nop 0
	v_pk_mul_f32 v[16:17], v[24:25], v[16:17] op_sel:[0,1]
	s_nop 0
	v_pk_fma_f32 v[8:9], v[8:9], v[14:15], v[16:17] neg_lo:[1,0,0] neg_hi:[1,0,0]
	s_waitcnt vmcnt(0)
	v_pk_add_f32 v[8:9], v[8:9], v[26:27]
	global_store_dwordx2 v[22:23], v[8:9], off
	s_branch .LBB179_3
.LBB179_54:
	s_or_b64 exec, exec, s[18:19]
.LBB179_55:
	v_subrev_u32_e32 v1, s26, v6
	v_add_u32_e32 v6, v1, v0
	v_ashrrev_i32_e32 v7, 31, v6
	s_waitcnt lgkmcnt(0)
	v_lshl_add_u64 v[6:7], v[6:7], 2, s[12:13]
	buffer_wbl2 sc1
	s_waitcnt vmcnt(0)
	buffer_inv sc1
	global_load_dword v3, v[6:7], off
	s_waitcnt vmcnt(0)
	v_mul_lo_u32 v3, v3, s26
	v_sub_u32_e32 v6, v1, v3
	v_cmp_lt_i32_e32 vcc, -1, v6
	s_and_b64 exec, exec, vcc
	s_cbranch_execz .LBB179_62
; %bb.56:
	v_subrev_u32_e32 v1, s26, v0
	s_and_b32 s4, s27, -2
	s_mov_b64 s[0:1], 0
	s_branch .LBB179_58
.LBB179_57:                             ;   in Loop: Header=BB179_58 Depth=1
	s_or_b64 exec, exec, s[2:3]
	v_lshl_add_u64 v[8:9], v[8:9], 3, s[8:9]
	global_load_dwordx2 v[10:11], v[8:9], off
	v_sub_u32_e32 v6, v6, v3
	v_cmp_gt_i32_e32 vcc, 0, v6
	s_or_b64 s[0:1], vcc, s[0:1]
	s_waitcnt vmcnt(0)
	v_pk_add_f32 v[10:11], v[10:11], v[12:13]
	global_store_dwordx2 v[8:9], v[10:11], off
	s_andn2_b64 exec, exec, s[0:1]
	s_cbranch_execz .LBB179_62
.LBB179_58:                             ; =>This Inner Loop Header: Depth=1
	v_add_u32_e32 v8, v6, v0
	v_ashrrev_i32_e32 v9, 31, v8
	v_lshl_add_u64 v[10:11], v[8:9], 2, s[12:13]
	global_load_dword v3, v[10:11], off
	v_lshl_add_u64 v[10:11], v[8:9], 3, s[10:11]
	global_load_dwordx2 v[10:11], v[10:11], off
                                        ; implicit-def: $vgpr12_vgpr13
	s_waitcnt vmcnt(1)
	v_cmp_ne_u32_e32 vcc, 1, v3
	s_and_saveexec_b64 s[2:3], vcc
	s_xor_b64 s[2:3], exec, s[2:3]
	s_cbranch_execz .LBB179_60
; %bb.59:                               ;   in Loop: Header=BB179_58 Depth=1
	v_add_u32_e32 v12, v2, v6
	v_ashrrev_i32_e32 v13, 31, v12
	v_lshlrev_b64 v[12:13], 3, v[12:13]
	v_lshl_add_u64 v[14:15], s[6:7], 0, v[12:13]
	global_load_dwordx2 v[16:17], v[14:15], off
	v_ashrrev_i32_e32 v7, 31, v6
	v_lshl_add_u64 v[12:13], s[8:9], 0, v[12:13]
	global_load_dwordx2 v[18:19], v[12:13], off
	v_lshl_add_u64 v[20:21], v[6:7], 3, v[4:5]
	global_load_dwordx2 v[22:23], v[20:21], off
	;; [unrolled: 2-line block ×3, first 2 shown]
	v_add_u32_e32 v26, v1, v6
	s_waitcnt vmcnt(4)
	v_pk_add_f32 v[28:29], v[10:11], 0 neg_lo:[1,1] neg_hi:[1,1]
	v_ashrrev_i32_e32 v27, 31, v26
	v_pk_mov_b32 v[28:29], v[10:11], v[28:29] op_sel:[1,0]
	v_lshlrev_b64 v[30:31], 3, v[26:27]
	v_lshl_add_u64 v[32:33], s[10:11], 0, v[30:31]
	global_load_dwordx2 v[32:33], v[32:33], off
	s_waitcnt vmcnt(4)
	v_pk_mul_f32 v[34:35], v[28:29], v[16:17] op_sel:[0,1]
	s_nop 0
	v_pk_fma_f32 v[16:17], v[10:11], v[16:17], v[34:35] op_sel_hi:[1,0,1] neg_lo:[1,0,0] neg_hi:[1,0,0]
	s_waitcnt vmcnt(3)
	v_pk_mul_f32 v[28:29], v[28:29], v[18:19] op_sel:[0,1]
	s_nop 0
	v_pk_fma_f32 v[10:11], v[10:11], v[18:19], v[28:29] op_sel_hi:[1,0,1] neg_lo:[1,0,0] neg_hi:[1,0,0]
	s_waitcnt vmcnt(2)
	v_pk_add_f32 v[16:17], v[22:23], v[16:17]
	s_waitcnt vmcnt(1)
	v_pk_add_f32 v[10:11], v[24:25], v[10:11]
	global_store_dwordx2 v[20:21], v[16:17], off
	global_store_dwordx2 v[8:9], v[10:11], off
	global_load_dwordx2 v[8:9], v[14:15], off
	s_nop 0
	global_load_dwordx2 v[10:11], v[12:13], off
	v_lshl_add_u64 v[14:15], s[6:7], 0, v[30:31]
	global_load_dwordx2 v[16:17], v[14:15], off
	s_waitcnt vmcnt(5)
	v_pk_add_f32 v[12:13], v[32:33], 0 neg_lo:[1,1] neg_hi:[1,1]
	s_nop 0
	v_pk_mov_b32 v[12:13], v[32:33], v[12:13] op_sel:[1,0]
	s_waitcnt vmcnt(2)
	v_pk_mul_f32 v[18:19], v[12:13], v[8:9] op_sel:[0,1]
	s_nop 0
	v_pk_fma_f32 v[8:9], v[32:33], v[8:9], v[18:19] op_sel_hi:[1,0,1] neg_lo:[1,0,0] neg_hi:[1,0,0]
	s_waitcnt vmcnt(1)
	v_pk_mul_f32 v[12:13], v[10:11], v[12:13] op_sel:[1,0]
	s_waitcnt vmcnt(0)
	v_pk_add_f32 v[8:9], v[16:17], v[8:9]
	v_pk_fma_f32 v[12:13], v[32:33], v[10:11], v[12:13] op_sel_hi:[1,0,1] neg_lo:[1,0,0] neg_hi:[1,0,0]
	global_store_dwordx2 v[14:15], v[8:9], off
	v_mov_b64_e32 v[8:9], v[26:27]
                                        ; implicit-def: $vgpr10_vgpr11
.LBB179_60:                             ;   in Loop: Header=BB179_58 Depth=1
	s_or_saveexec_b64 s[2:3], s[2:3]
	v_mov_b32_e32 v3, s4
	s_xor_b64 exec, exec, s[2:3]
	s_cbranch_execz .LBB179_57
; %bb.61:                               ;   in Loop: Header=BB179_58 Depth=1
	v_add_u32_e32 v12, v2, v6
	v_ashrrev_i32_e32 v13, 31, v12
	v_lshlrev_b64 v[12:13], 3, v[12:13]
	v_lshl_add_u64 v[14:15], s[6:7], 0, v[12:13]
	global_load_dwordx2 v[14:15], v[14:15], off
	v_lshl_add_u64 v[12:13], s[8:9], 0, v[12:13]
	v_ashrrev_i32_e32 v7, 31, v6
	global_load_dwordx2 v[12:13], v[12:13], off
	v_lshl_add_u64 v[16:17], v[6:7], 3, v[4:5]
	global_load_dwordx2 v[18:19], v[16:17], off
	s_waitcnt vmcnt(3)
	v_pk_add_f32 v[20:21], v[10:11], 0 neg_lo:[1,1] neg_hi:[1,1]
	v_mov_b32_e32 v3, s26
	v_pk_mov_b32 v[20:21], v[10:11], v[20:21] op_sel:[1,0]
	s_waitcnt vmcnt(2)
	v_pk_mul_f32 v[22:23], v[20:21], v[14:15] op_sel:[0,1]
	s_nop 0
	v_pk_fma_f32 v[14:15], v[10:11], v[14:15], v[22:23] op_sel_hi:[1,0,1] neg_lo:[1,0,0] neg_hi:[1,0,0]
	s_waitcnt vmcnt(1)
	v_pk_mul_f32 v[20:21], v[20:21], v[12:13] op_sel:[0,1]
	s_nop 0
	v_pk_fma_f32 v[12:13], v[10:11], v[12:13], v[20:21] op_sel_hi:[1,0,1] neg_lo:[1,0,0] neg_hi:[1,0,0]
	s_waitcnt vmcnt(0)
	v_pk_add_f32 v[10:11], v[18:19], v[14:15]
	global_store_dwordx2 v[16:17], v[10:11], off
	s_branch .LBB179_57
.LBB179_62:
	s_endpgm
	.section	.rodata,"a",@progbits
	.p2align	6, 0x0
	.amdhsa_kernel _ZN9rocsparseL18gtsv_LBM_wv_kernelILj256ELj2E21rocsparse_complex_numIfEEEviiiPKT1_S5_S5_PS3_S6_S6_Pi
		.amdhsa_group_segment_fixed_size 0
		.amdhsa_private_segment_fixed_size 0
		.amdhsa_kernarg_size 72
		.amdhsa_user_sgpr_count 2
		.amdhsa_user_sgpr_dispatch_ptr 0
		.amdhsa_user_sgpr_queue_ptr 0
		.amdhsa_user_sgpr_kernarg_segment_ptr 1
		.amdhsa_user_sgpr_dispatch_id 0
		.amdhsa_user_sgpr_kernarg_preload_length 0
		.amdhsa_user_sgpr_kernarg_preload_offset 0
		.amdhsa_user_sgpr_private_segment_size 0
		.amdhsa_uses_dynamic_stack 0
		.amdhsa_enable_private_segment 0
		.amdhsa_system_sgpr_workgroup_id_x 1
		.amdhsa_system_sgpr_workgroup_id_y 0
		.amdhsa_system_sgpr_workgroup_id_z 0
		.amdhsa_system_sgpr_workgroup_info 0
		.amdhsa_system_vgpr_workitem_id 0
		.amdhsa_next_free_vgpr 61
		.amdhsa_next_free_sgpr 30
		.amdhsa_accum_offset 64
		.amdhsa_reserve_vcc 1
		.amdhsa_float_round_mode_32 0
		.amdhsa_float_round_mode_16_64 0
		.amdhsa_float_denorm_mode_32 3
		.amdhsa_float_denorm_mode_16_64 3
		.amdhsa_dx10_clamp 1
		.amdhsa_ieee_mode 1
		.amdhsa_fp16_overflow 0
		.amdhsa_tg_split 0
		.amdhsa_exception_fp_ieee_invalid_op 0
		.amdhsa_exception_fp_denorm_src 0
		.amdhsa_exception_fp_ieee_div_zero 0
		.amdhsa_exception_fp_ieee_overflow 0
		.amdhsa_exception_fp_ieee_underflow 0
		.amdhsa_exception_fp_ieee_inexact 0
		.amdhsa_exception_int_div_zero 0
	.end_amdhsa_kernel
	.section	.text._ZN9rocsparseL18gtsv_LBM_wv_kernelILj256ELj2E21rocsparse_complex_numIfEEEviiiPKT1_S5_S5_PS3_S6_S6_Pi,"axG",@progbits,_ZN9rocsparseL18gtsv_LBM_wv_kernelILj256ELj2E21rocsparse_complex_numIfEEEviiiPKT1_S5_S5_PS3_S6_S6_Pi,comdat
.Lfunc_end179:
	.size	_ZN9rocsparseL18gtsv_LBM_wv_kernelILj256ELj2E21rocsparse_complex_numIfEEEviiiPKT1_S5_S5_PS3_S6_S6_Pi, .Lfunc_end179-_ZN9rocsparseL18gtsv_LBM_wv_kernelILj256ELj2E21rocsparse_complex_numIfEEEviiiPKT1_S5_S5_PS3_S6_S6_Pi
                                        ; -- End function
	.set _ZN9rocsparseL18gtsv_LBM_wv_kernelILj256ELj2E21rocsparse_complex_numIfEEEviiiPKT1_S5_S5_PS3_S6_S6_Pi.num_vgpr, 61
	.set _ZN9rocsparseL18gtsv_LBM_wv_kernelILj256ELj2E21rocsparse_complex_numIfEEEviiiPKT1_S5_S5_PS3_S6_S6_Pi.num_agpr, 0
	.set _ZN9rocsparseL18gtsv_LBM_wv_kernelILj256ELj2E21rocsparse_complex_numIfEEEviiiPKT1_S5_S5_PS3_S6_S6_Pi.numbered_sgpr, 30
	.set _ZN9rocsparseL18gtsv_LBM_wv_kernelILj256ELj2E21rocsparse_complex_numIfEEEviiiPKT1_S5_S5_PS3_S6_S6_Pi.num_named_barrier, 0
	.set _ZN9rocsparseL18gtsv_LBM_wv_kernelILj256ELj2E21rocsparse_complex_numIfEEEviiiPKT1_S5_S5_PS3_S6_S6_Pi.private_seg_size, 0
	.set _ZN9rocsparseL18gtsv_LBM_wv_kernelILj256ELj2E21rocsparse_complex_numIfEEEviiiPKT1_S5_S5_PS3_S6_S6_Pi.uses_vcc, 1
	.set _ZN9rocsparseL18gtsv_LBM_wv_kernelILj256ELj2E21rocsparse_complex_numIfEEEviiiPKT1_S5_S5_PS3_S6_S6_Pi.uses_flat_scratch, 0
	.set _ZN9rocsparseL18gtsv_LBM_wv_kernelILj256ELj2E21rocsparse_complex_numIfEEEviiiPKT1_S5_S5_PS3_S6_S6_Pi.has_dyn_sized_stack, 0
	.set _ZN9rocsparseL18gtsv_LBM_wv_kernelILj256ELj2E21rocsparse_complex_numIfEEEviiiPKT1_S5_S5_PS3_S6_S6_Pi.has_recursion, 0
	.set _ZN9rocsparseL18gtsv_LBM_wv_kernelILj256ELj2E21rocsparse_complex_numIfEEEviiiPKT1_S5_S5_PS3_S6_S6_Pi.has_indirect_call, 0
	.section	.AMDGPU.csdata,"",@progbits
; Kernel info:
; codeLenInByte = 5600
; TotalNumSgprs: 36
; NumVgprs: 61
; NumAgprs: 0
; TotalNumVgprs: 61
; ScratchSize: 0
; MemoryBound: 0
; FloatMode: 240
; IeeeMode: 1
; LDSByteSize: 0 bytes/workgroup (compile time only)
; SGPRBlocks: 4
; VGPRBlocks: 7
; NumSGPRsForWavesPerEU: 36
; NumVGPRsForWavesPerEU: 61
; AccumOffset: 64
; Occupancy: 8
; WaveLimiterHint : 0
; COMPUTE_PGM_RSRC2:SCRATCH_EN: 0
; COMPUTE_PGM_RSRC2:USER_SGPR: 2
; COMPUTE_PGM_RSRC2:TRAP_HANDLER: 0
; COMPUTE_PGM_RSRC2:TGID_X_EN: 1
; COMPUTE_PGM_RSRC2:TGID_Y_EN: 0
; COMPUTE_PGM_RSRC2:TGID_Z_EN: 0
; COMPUTE_PGM_RSRC2:TIDIG_COMP_CNT: 0
; COMPUTE_PGM_RSRC3_GFX90A:ACCUM_OFFSET: 15
; COMPUTE_PGM_RSRC3_GFX90A:TG_SPLIT: 0
	.section	.text._ZN9rocsparseL19gtsv_LBM_rhs_kernelILj256ELj2ELj8E21rocsparse_complex_numIfEEEviiiPKT2_S5_S5_PS3_S5_PKi,"axG",@progbits,_ZN9rocsparseL19gtsv_LBM_rhs_kernelILj256ELj2ELj8E21rocsparse_complex_numIfEEEviiiPKT2_S5_S5_PS3_S5_PKi,comdat
	.globl	_ZN9rocsparseL19gtsv_LBM_rhs_kernelILj256ELj2ELj8E21rocsparse_complex_numIfEEEviiiPKT2_S5_S5_PS3_S5_PKi ; -- Begin function _ZN9rocsparseL19gtsv_LBM_rhs_kernelILj256ELj2ELj8E21rocsparse_complex_numIfEEEviiiPKT2_S5_S5_PS3_S5_PKi
	.p2align	8
	.type	_ZN9rocsparseL19gtsv_LBM_rhs_kernelILj256ELj2ELj8E21rocsparse_complex_numIfEEEviiiPKT2_S5_S5_PS3_S5_PKi,@function
_ZN9rocsparseL19gtsv_LBM_rhs_kernelILj256ELj2ELj8E21rocsparse_complex_numIfEEEviiiPKT2_S5_S5_PS3_S5_PKi: ; @_ZN9rocsparseL19gtsv_LBM_rhs_kernelILj256ELj2ELj8E21rocsparse_complex_numIfEEEviiiPKT2_S5_S5_PS3_S5_PKi
; %bb.0:
	s_load_dword s21, s[0:1], 0x0
	v_lshl_or_b32 v0, s2, 8, v0
	s_waitcnt lgkmcnt(0)
	s_lshr_b32 s20, s21, 1
	v_cmp_gt_i32_e32 vcc, s20, v0
	s_and_saveexec_b64 s[4:5], vcc
	s_cbranch_execz .LBB180_23
; %bb.1:
	s_load_dwordx4 s[4:7], s[0:1], 0x28
	s_load_dwordx2 s[12:13], s[0:1], 0x38
	s_cmp_lt_i32 s21, 1
	v_add_u32_e32 v44, s20, v0
	s_mul_i32 s22, s3, s21
	s_cbranch_scc1 .LBB180_15
; %bb.2:
	s_load_dwordx4 s[8:11], s[0:1], 0x10
	s_load_dwordx2 s[14:15], s[0:1], 0x20
	v_ashrrev_i32_e32 v1, 31, v0
	s_lshl_b32 s23, s22, 3
	s_add_i32 s24, s23, s21
	s_waitcnt lgkmcnt(0)
	v_lshl_add_u64 v[2:3], v[0:1], 3, s[10:11]
	global_load_dwordx2 v[8:9], v[2:3], off
	s_add_i32 s25, s24, s21
	s_add_i32 s26, s25, s21
	;; [unrolled: 1-line block ×6, first 2 shown]
	s_and_b32 s31, s21, 0x7ffffffe
	v_mov_b32_e32 v46, 0
	s_mov_b64 s[16:17], 0
	v_mov_b32_e32 v1, 0
	s_branch .LBB180_5
.LBB180_3:                              ;   in Loop: Header=BB180_5 Depth=1
	s_or_b64 exec, exec, s[18:19]
	v_mov_b32_e32 v11, v2
	v_pk_mul_f32 v[10:11], v[4:5], v[10:11] op_sel:[1,0]
	s_nop 0
	v_pk_fma_f32 v[2:3], v[2:3], v[4:5], v[10:11] op_sel_hi:[1,0,1]
	v_mov_b32_e32 v11, s20
	v_xor_b32_e32 v4, 0x80000000, v3
	v_mov_b32_e32 v5, v2
	v_pk_mul_f32 v[4:5], v[12:13], v[4:5] op_sel_hi:[0,1]
	v_pk_fma_f32 v[2:3], v[2:3], v[8:9], v[4:5] op_sel_hi:[1,0,1]
	s_nop 0
	v_pk_add_f32 v[14:15], v[6:7], v[2:3] neg_lo:[0,1] neg_hi:[0,1]
.LBB180_4:                              ;   in Loop: Header=BB180_5 Depth=1
	s_or_b64 exec, exec, s[2:3]
	v_add_u32_e32 v1, v11, v1
	v_cmp_le_i32_e32 vcc, s21, v1
	s_or_b64 s[16:17], vcc, s[16:17]
	v_mov_b64_e32 v[8:9], v[14:15]
	s_andn2_b64 exec, exec, s[16:17]
	s_cbranch_execz .LBB180_14
.LBB180_5:                              ; =>This Inner Loop Header: Depth=1
	v_add_u32_e32 v10, v1, v0
	v_ashrrev_i32_e32 v11, 31, v10
	v_lshl_add_u64 v[2:3], v[10:11], 3, s[14:15]
	global_load_dwordx2 v[4:5], v[2:3], off
	v_cmp_gt_u32_e64 s[0:1], s20, v1
	v_mov_b32_e32 v2, 0
	v_mov_b32_e32 v3, 0
	s_and_saveexec_b64 s[2:3], s[0:1]
	s_cbranch_execz .LBB180_7
; %bb.6:                                ;   in Loop: Header=BB180_5 Depth=1
	v_add_u32_e32 v2, v44, v1
	v_ashrrev_i32_e32 v3, 31, v2
	v_lshl_add_u64 v[2:3], v[2:3], 3, s[8:9]
	global_load_dwordx2 v[2:3], v[2:3], off
.LBB180_7:                              ;   in Loop: Header=BB180_5 Depth=1
	s_or_b64 exec, exec, s[2:3]
	v_mov_b32_e32 v6, 0
	v_mov_b32_e32 v7, v6
	s_and_saveexec_b64 s[2:3], s[0:1]
	s_cbranch_execz .LBB180_9
; %bb.8:                                ;   in Loop: Header=BB180_5 Depth=1
	v_add_u32_e32 v6, v44, v1
	v_ashrrev_i32_e32 v7, 31, v6
	v_lshl_add_u64 v[6:7], v[6:7], 3, s[10:11]
	global_load_dwordx2 v[6:7], v[6:7], off
.LBB180_9:                              ;   in Loop: Header=BB180_5 Depth=1
	s_or_b64 exec, exec, s[2:3]
	v_lshl_add_u64 v[12:13], v[10:11], 2, s[12:13]
	global_load_dword v11, v[12:13], off
	v_cmp_ne_u32_e32 vcc, s20, v1
	v_add_u32_e32 v12, s23, v10
	v_add_u32_e32 v32, s24, v10
	;; [unrolled: 1-line block ×8, first 2 shown]
	s_waitcnt vmcnt(1)
	v_xor_b32_e32 v10, 0x80000000, v3
	s_waitcnt vmcnt(0)
	v_cmp_ne_u32_e64 s[2:3], 1, v11
	s_and_b64 s[2:3], vcc, s[2:3]
	s_and_saveexec_b64 s[18:19], s[2:3]
	s_xor_b64 s[2:3], exec, s[18:19]
	s_cbranch_execz .LBB180_11
; %bb.10:                               ;   in Loop: Header=BB180_5 Depth=1
	v_mov_b32_e32 v13, v46
	v_add_u32_e32 v45, v44, v1
	v_lshl_add_u64 v[26:27], v[12:13], 3, s[4:5]
	v_add_u32_e32 v12, s23, v45
	v_lshl_add_u64 v[14:15], v[12:13], 3, s[4:5]
	global_load_dwordx2 v[30:31], v[26:27], off
	global_load_dwordx2 v[34:35], v[14:15], off
	v_mov_b32_e32 v33, v46
	v_mov_b32_e32 v49, v46
	v_lshl_add_u64 v[50:51], v[32:33], 3, s[4:5]
	v_add_u32_e32 v48, s24, v45
	global_load_dwordx2 v[52:53], v[50:51], off
	v_lshl_add_u64 v[32:33], v[48:49], 3, s[4:5]
	global_load_dwordx2 v[48:49], v[32:33], off
	v_mov_b32_e32 v29, v46
	v_mov_b32_e32 v43, v46
	v_add_u32_e32 v42, s25, v45
	v_lshl_add_u64 v[28:29], v[28:29], 3, s[4:5]
	v_lshl_add_u64 v[42:43], v[42:43], 3, s[4:5]
	global_load_dwordx2 v[60:61], v[28:29], off
	global_load_dwordx2 v[64:65], v[42:43], off
	v_mov_b32_e32 v25, v46
	v_lshl_add_u64 v[24:25], v[24:25], 3, s[4:5]
	v_xor_b32_e32 v12, 0x80000000, v9
	v_mov_b32_e32 v41, v46
	v_mov_b32_e32 v13, v8
	;; [unrolled: 1-line block ×3, first 2 shown]
	v_add_u32_e32 v40, s26, v45
	global_load_dwordx2 v[66:67], v[24:25], off
	v_mov_b32_e32 v23, v46
	v_mov_b32_e32 v21, v46
	v_pk_mul_f32 v[62:63], v[6:7], v[12:13] op_sel:[1,0]
	v_pk_mul_f32 v[10:11], v[4:5], v[10:11] op_sel:[1,0]
	v_lshl_add_u64 v[40:41], v[40:41], 3, s[4:5]
	v_lshl_add_u64 v[22:23], v[22:23], 3, s[4:5]
	;; [unrolled: 1-line block ×3, first 2 shown]
	v_pk_fma_f32 v[62:63], v[8:9], v[6:7], v[62:63] op_sel_hi:[1,0,1]
	v_pk_fma_f32 v[10:11], v[2:3], v[4:5], v[10:11] op_sel_hi:[1,0,1]
	global_load_dwordx2 v[68:69], v[40:41], off
	global_load_dwordx2 v[70:71], v[22:23], off
	;; [unrolled: 1-line block ×3, first 2 shown]
	v_pk_add_f32 v[10:11], v[62:63], v[10:11] neg_lo:[0,1] neg_hi:[0,1]
	v_mov_b32_e32 v55, v46
	v_mul_f32_e32 v47, v11, v11
	v_add_u32_e32 v54, s27, v45
	v_fmac_f32_e32 v47, v10, v10
	v_mov_b32_e32 v57, v46
	v_add_u32_e32 v56, s28, v45
	v_lshl_add_u64 v[54:55], v[54:55], 3, s[4:5]
	v_div_scale_f32 v77, s[18:19], v47, v47, 1.0
	v_lshl_add_u64 v[56:57], v[56:57], 3, s[4:5]
	global_load_dwordx2 v[62:63], v[54:55], off
	global_load_dwordx2 v[74:75], v[56:57], off
	v_rcp_f32_e32 v78, v77
	v_fma_f32 v76, 0, v11, v10
	v_fma_f32 v10, v10, 0, -v11
	v_div_scale_f32 v11, vcc, 1.0, v47, 1.0
	v_fma_f32 v79, -v77, v78, 1.0
	v_fmac_f32_e32 v78, v79, v78
	v_mul_f32_e32 v79, v11, v78
	v_fma_f32 v80, -v77, v79, v11
	v_fmac_f32_e32 v79, v80, v78
	v_mov_b32_e32 v19, v46
	v_mov_b32_e32 v59, v46
	v_add_u32_e32 v58, s29, v45
	v_fma_f32 v11, -v77, v79, v11
	v_lshl_add_u64 v[18:19], v[18:19], 3, s[4:5]
	v_div_fmas_f32 v11, v11, v78, v79
	v_lshl_add_u64 v[58:59], v[58:59], 3, s[4:5]
	v_div_fixup_f32 v11, v11, v47, 1.0
	global_load_dwordx2 v[82:83], v[18:19], off
	global_load_dwordx2 v[84:85], v[58:59], off
	v_mul_f32_e32 v47, v76, v11
	v_mul_f32_e32 v11, v10, v11
	v_xor_b32_e32 v36, 0x80000000, v7
	v_mov_b32_e32 v37, v6
	v_xor_b32_e32 v38, 0x80000000, v5
	v_mov_b32_e32 v39, v4
	v_mov_b32_e32 v17, v46
	v_lshl_add_u64 v[16:17], v[16:17], 3, s[4:5]
	s_waitcnt vmcnt(13)
	v_mul_f32_e64 v10, v11, -v31
	v_mul_f32_e32 v76, v11, v30
	s_waitcnt vmcnt(12)
	v_mul_f32_e32 v78, v11, v34
	v_fmac_f32_e32 v10, v30, v47
	v_fmac_f32_e32 v76, v31, v47
	v_mul_f32_e64 v30, v11, -v35
	v_fmac_f32_e32 v78, v35, v47
	v_fmac_f32_e32 v30, v34, v47
	v_pk_mul_f32 v[34:35], v[76:77], v[36:37] op_sel_hi:[0,1]
	v_pk_mul_f32 v[80:81], v[78:79], v[38:39] op_sel_hi:[0,1]
	v_pk_fma_f32 v[34:35], v[6:7], v[10:11], v[34:35] op_sel_hi:[1,0,1]
	v_pk_fma_f32 v[80:81], v[4:5], v[30:31], v[80:81] op_sel_hi:[1,0,1]
	s_nop 0
	v_pk_add_f32 v[34:35], v[34:35], v[80:81] neg_lo:[0,1] neg_hi:[0,1]
	v_add_u32_e32 v80, s30, v45
	v_mov_b32_e32 v81, v46
	v_lshl_add_u64 v[80:81], v[80:81], 3, s[4:5]
	global_load_dwordx2 v[86:87], v[16:17], off
	global_load_dwordx2 v[88:89], v[80:81], off
	s_nop 0
	global_store_dwordx2 v[26:27], v[34:35], off
	s_waitcnt vmcnt(14)
	v_mul_f32_e64 v26, v11, -v53
	v_fmac_f32_e32 v26, v52, v47
	v_mul_f32_e32 v34, v11, v52
	s_waitcnt vmcnt(13)
	v_mul_f32_e64 v52, v11, -v49
	v_fmac_f32_e32 v52, v48, v47
	v_mul_f32_e32 v48, v11, v48
	v_fmac_f32_e32 v34, v53, v47
	v_fmac_f32_e32 v48, v49, v47
	v_pk_mul_f32 v[90:91], v[34:35], v[36:37] op_sel_hi:[0,1]
	v_pk_mul_f32 v[92:93], v[48:49], v[38:39] op_sel_hi:[0,1]
	v_pk_fma_f32 v[90:91], v[6:7], v[26:27], v[90:91] op_sel_hi:[1,0,1]
	v_pk_fma_f32 v[92:93], v[4:5], v[52:53], v[92:93] op_sel_hi:[1,0,1]
	s_nop 0
	v_pk_add_f32 v[90:91], v[90:91], v[92:93] neg_lo:[0,1] neg_hi:[0,1]
	global_store_dwordx2 v[50:51], v[90:91], off
	s_waitcnt vmcnt(13)
	v_mul_f32_e64 v50, v11, -v61
	s_waitcnt vmcnt(12)
	v_mul_f32_e64 v90, v11, -v65
	v_fmac_f32_e32 v50, v60, v47
	v_mul_f32_e32 v60, v11, v60
	v_fmac_f32_e32 v90, v64, v47
	v_mul_f32_e32 v64, v11, v64
	v_fmac_f32_e32 v60, v61, v47
	v_fmac_f32_e32 v64, v65, v47
	v_pk_mul_f32 v[92:93], v[60:61], v[36:37] op_sel_hi:[0,1]
	v_pk_mul_f32 v[94:95], v[64:65], v[38:39] op_sel_hi:[0,1]
	v_pk_fma_f32 v[92:93], v[6:7], v[50:51], v[92:93] op_sel_hi:[1,0,1]
	v_pk_fma_f32 v[94:95], v[4:5], v[90:91], v[94:95] op_sel_hi:[1,0,1]
	s_nop 0
	v_pk_add_f32 v[92:93], v[92:93], v[94:95] neg_lo:[0,1] neg_hi:[0,1]
	global_store_dwordx2 v[28:29], v[92:93], off
	s_waitcnt vmcnt(12)
	v_mul_f32_e64 v28, v11, -v67
	s_waitcnt vmcnt(11)
	v_mul_f32_e64 v92, v11, -v69
	v_fmac_f32_e32 v28, v66, v47
	v_mul_f32_e32 v66, v11, v66
	;; [unrolled: 17-line block ×3, first 2 shown]
	v_fmac_f32_e32 v94, v62, v47
	v_mul_f32_e32 v62, v11, v62
	v_fmac_f32_e32 v70, v71, v47
	v_fmac_f32_e32 v62, v63, v47
	v_pk_mul_f32 v[96:97], v[70:71], v[36:37] op_sel_hi:[0,1]
	v_pk_mul_f32 v[98:99], v[62:63], v[38:39] op_sel_hi:[0,1]
	v_pk_fma_f32 v[96:97], v[6:7], v[24:25], v[96:97] op_sel_hi:[1,0,1]
	v_pk_fma_f32 v[98:99], v[4:5], v[94:95], v[98:99] op_sel_hi:[1,0,1]
	s_nop 0
	v_pk_add_f32 v[96:97], v[96:97], v[98:99] neg_lo:[0,1] neg_hi:[0,1]
	global_store_dwordx2 v[22:23], v[96:97], off
	v_mul_f32_e64 v22, v11, -v73
	s_waitcnt vmcnt(9)
	v_mul_f32_e64 v96, v11, -v75
	v_fmac_f32_e32 v22, v72, v47
	v_mul_f32_e32 v72, v11, v72
	v_fmac_f32_e32 v96, v74, v47
	v_mul_f32_e32 v74, v11, v74
	v_fmac_f32_e32 v72, v73, v47
	v_fmac_f32_e32 v74, v75, v47
	v_pk_mul_f32 v[98:99], v[72:73], v[36:37] op_sel_hi:[0,1]
	v_pk_mul_f32 v[100:101], v[74:75], v[38:39] op_sel_hi:[0,1]
	v_pk_fma_f32 v[98:99], v[6:7], v[22:23], v[98:99] op_sel_hi:[1,0,1]
	v_pk_fma_f32 v[100:101], v[4:5], v[96:97], v[100:101] op_sel_hi:[1,0,1]
	s_nop 0
	v_pk_add_f32 v[98:99], v[98:99], v[100:101] neg_lo:[0,1] neg_hi:[0,1]
	global_store_dwordx2 v[20:21], v[98:99], off
	s_waitcnt vmcnt(9)
	v_mul_f32_e64 v20, v11, -v83
	s_waitcnt vmcnt(8)
	v_mul_f32_e64 v98, v11, -v85
	v_fmac_f32_e32 v20, v82, v47
	v_mul_f32_e32 v82, v11, v82
	v_fmac_f32_e32 v98, v84, v47
	v_mul_f32_e32 v84, v11, v84
	v_fmac_f32_e32 v82, v83, v47
	v_fmac_f32_e32 v84, v85, v47
	v_pk_mul_f32 v[100:101], v[82:83], v[36:37] op_sel_hi:[0,1]
	v_pk_mul_f32 v[102:103], v[84:85], v[38:39] op_sel_hi:[0,1]
	v_pk_fma_f32 v[100:101], v[6:7], v[20:21], v[100:101] op_sel_hi:[1,0,1]
	v_pk_fma_f32 v[102:103], v[4:5], v[98:99], v[102:103] op_sel_hi:[1,0,1]
	s_nop 0
	v_pk_add_f32 v[100:101], v[100:101], v[102:103] neg_lo:[0,1] neg_hi:[0,1]
	global_store_dwordx2 v[18:19], v[100:101], off
	s_waitcnt vmcnt(8)
	v_mul_f32_e64 v18, v11, -v87
	v_fmac_f32_e32 v18, v86, v47
	v_mul_f32_e32 v86, v11, v86
	s_waitcnt vmcnt(7)
	v_mul_f32_e64 v100, v11, -v89
	v_fmac_f32_e32 v86, v87, v47
	v_fmac_f32_e32 v100, v88, v47
	v_mul_f32_e32 v88, v11, v88
	v_fmac_f32_e32 v88, v89, v47
	v_pk_mul_f32 v[36:37], v[86:87], v[36:37] op_sel_hi:[0,1]
	v_pk_fma_f32 v[6:7], v[6:7], v[18:19], v[36:37] op_sel_hi:[1,0,1]
	v_pk_mul_f32 v[36:37], v[88:89], v[38:39] op_sel_hi:[0,1]
	v_pk_fma_f32 v[4:5], v[4:5], v[100:101], v[36:37] op_sel_hi:[1,0,1]
	s_nop 0
	v_pk_add_f32 v[4:5], v[6:7], v[4:5] neg_lo:[0,1] neg_hi:[0,1]
	global_store_dwordx2 v[16:17], v[4:5], off
	v_pk_add_f32 v[4:5], v[2:3], 0 neg_lo:[1,1] neg_hi:[1,1]
                                        ; implicit-def: $vgpr16
	s_nop 0
	v_pk_mov_b32 v[4:5], v[2:3], v[4:5] op_sel:[1,0]
	s_nop 0
	v_pk_mul_f32 v[6:7], v[4:5], v[76:77] op_sel_hi:[1,0]
	s_nop 0
	v_pk_fma_f32 v[6:7], v[2:3], v[10:11], v[6:7] op_sel_hi:[1,0,1] neg_lo:[1,0,0] neg_hi:[1,0,0]
	v_pk_mul_f32 v[10:11], v[78:79], v[12:13] op_sel_hi:[0,1]
	v_pk_fma_f32 v[10:11], v[8:9], v[30:31], v[10:11] op_sel_hi:[1,0,1]
	s_nop 0
	v_pk_add_f32 v[6:7], v[6:7], v[10:11]
	global_store_dwordx2 v[14:15], v[6:7], off
	v_pk_mul_f32 v[6:7], v[4:5], v[34:35] op_sel_hi:[1,0]
	v_pk_mul_f32 v[10:11], v[48:49], v[12:13] op_sel_hi:[0,1]
	v_pk_fma_f32 v[6:7], v[2:3], v[26:27], v[6:7] op_sel_hi:[1,0,1] neg_lo:[1,0,0] neg_hi:[1,0,0]
	v_pk_fma_f32 v[10:11], v[8:9], v[52:53], v[10:11] op_sel_hi:[1,0,1]
	s_nop 0
	v_pk_add_f32 v[6:7], v[6:7], v[10:11]
	global_store_dwordx2 v[32:33], v[6:7], off
	v_pk_mul_f32 v[6:7], v[4:5], v[60:61] op_sel_hi:[1,0]
	v_pk_mul_f32 v[10:11], v[64:65], v[12:13] op_sel_hi:[0,1]
	v_pk_fma_f32 v[6:7], v[2:3], v[50:51], v[6:7] op_sel_hi:[1,0,1] neg_lo:[1,0,0] neg_hi:[1,0,0]
	v_pk_fma_f32 v[10:11], v[8:9], v[90:91], v[10:11] op_sel_hi:[1,0,1]
                                        ; implicit-def: $vgpr32
	s_nop 0
	v_pk_add_f32 v[6:7], v[6:7], v[10:11]
	global_store_dwordx2 v[42:43], v[6:7], off
	v_pk_mul_f32 v[6:7], v[4:5], v[66:67] op_sel_hi:[1,0]
	v_pk_mul_f32 v[10:11], v[68:69], v[12:13] op_sel_hi:[0,1]
	v_pk_fma_f32 v[6:7], v[2:3], v[28:29], v[6:7] op_sel_hi:[1,0,1] neg_lo:[1,0,0] neg_hi:[1,0,0]
	v_pk_fma_f32 v[10:11], v[8:9], v[92:93], v[10:11] op_sel_hi:[1,0,1]
                                        ; implicit-def: $vgpr28
	s_nop 0
	v_pk_add_f32 v[6:7], v[6:7], v[10:11]
	global_store_dwordx2 v[40:41], v[6:7], off
	v_pk_mul_f32 v[6:7], v[4:5], v[70:71] op_sel_hi:[1,0]
	v_pk_mul_f32 v[10:11], v[62:63], v[12:13] op_sel_hi:[0,1]
	v_pk_fma_f32 v[6:7], v[2:3], v[24:25], v[6:7] op_sel_hi:[1,0,1] neg_lo:[1,0,0] neg_hi:[1,0,0]
	v_pk_fma_f32 v[10:11], v[8:9], v[94:95], v[10:11] op_sel_hi:[1,0,1]
                                        ; implicit-def: $vgpr24
	s_nop 0
	v_pk_add_f32 v[6:7], v[6:7], v[10:11]
	global_store_dwordx2 v[54:55], v[6:7], off
	v_pk_mul_f32 v[6:7], v[4:5], v[72:73] op_sel_hi:[1,0]
	v_pk_mul_f32 v[10:11], v[74:75], v[12:13] op_sel_hi:[0,1]
	v_pk_fma_f32 v[6:7], v[2:3], v[22:23], v[6:7] op_sel_hi:[1,0,1] neg_lo:[1,0,0] neg_hi:[1,0,0]
	v_pk_fma_f32 v[10:11], v[8:9], v[96:97], v[10:11] op_sel_hi:[1,0,1]
                                        ; implicit-def: $vgpr22
	s_nop 0
	v_pk_add_f32 v[6:7], v[6:7], v[10:11]
	global_store_dwordx2 v[56:57], v[6:7], off
	v_pk_mul_f32 v[6:7], v[4:5], v[82:83] op_sel_hi:[1,0]
	v_pk_mul_f32 v[4:5], v[4:5], v[86:87] op_sel_hi:[1,0]
	v_pk_fma_f32 v[6:7], v[2:3], v[20:21], v[6:7] op_sel_hi:[1,0,1] neg_lo:[1,0,0] neg_hi:[1,0,0]
	v_pk_mul_f32 v[10:11], v[84:85], v[12:13] op_sel_hi:[0,1]
	v_pk_fma_f32 v[2:3], v[2:3], v[18:19], v[4:5] op_sel_hi:[1,0,1] neg_lo:[1,0,0] neg_hi:[1,0,0]
	v_pk_mul_f32 v[4:5], v[88:89], v[12:13] op_sel_hi:[0,1]
	v_pk_fma_f32 v[10:11], v[8:9], v[98:99], v[10:11] op_sel_hi:[1,0,1]
	v_pk_fma_f32 v[4:5], v[8:9], v[100:101], v[4:5] op_sel_hi:[1,0,1]
	v_pk_add_f32 v[6:7], v[6:7], v[10:11]
	v_pk_add_f32 v[2:3], v[2:3], v[4:5]
	global_store_dwordx2 v[58:59], v[6:7], off
	global_store_dwordx2 v[80:81], v[2:3], off
                                        ; implicit-def: $vgpr8_vgpr9
                                        ; implicit-def: $vgpr4_vgpr5
                                        ; implicit-def: $vgpr2
                                        ; implicit-def: $vgpr6_vgpr7
                                        ; implicit-def: $vgpr12
                                        ; implicit-def: $vgpr20
                                        ; implicit-def: $vgpr18
                                        ; implicit-def: $vgpr10
.LBB180_11:                             ;   in Loop: Header=BB180_5 Depth=1
	s_or_saveexec_b64 s[2:3], s[2:3]
	v_mov_b32_e32 v47, v46
	v_mov_b32_e32 v11, s31
	v_mov_b64_e32 v[14:15], v[46:47]
	s_xor_b64 exec, exec, s[2:3]
	s_cbranch_execz .LBB180_4
; %bb.12:                               ;   in Loop: Header=BB180_5 Depth=1
	v_mov_b32_e32 v13, v46
	v_mov_b32_e32 v23, v46
	v_lshl_add_u64 v[30:31], v[12:13], 3, s[4:5]
	v_mov_b32_e32 v33, v46
	v_mov_b32_e32 v29, v46
	;; [unrolled: 1-line block ×3, first 2 shown]
	v_lshl_add_u64 v[42:43], v[22:23], 3, s[4:5]
	v_mov_b32_e32 v21, v46
	v_mov_b32_e32 v19, v46
	;; [unrolled: 1-line block ×3, first 2 shown]
	v_lshl_add_u64 v[32:33], v[32:33], 3, s[4:5]
	v_lshl_add_u64 v[34:35], v[28:29], 3, s[4:5]
	;; [unrolled: 1-line block ×3, first 2 shown]
	global_load_dwordx2 v[14:15], v[30:31], off
	global_load_dwordx2 v[24:25], v[32:33], off
	;; [unrolled: 1-line block ×4, first 2 shown]
	v_lshl_add_u64 v[48:49], v[20:21], 3, s[4:5]
	v_lshl_add_u64 v[50:51], v[18:19], 3, s[4:5]
	;; [unrolled: 1-line block ×3, first 2 shown]
	global_load_dwordx2 v[16:17], v[42:43], off
	global_load_dwordx2 v[18:19], v[48:49], off
	;; [unrolled: 1-line block ×4, first 2 shown]
	v_mul_f32_e32 v11, v9, v9
	v_fmac_f32_e32 v11, v8, v8
	v_div_scale_f32 v13, s[18:19], v11, v11, 1.0
	v_rcp_f32_e32 v20, v13
	v_fma_f32 v12, 0, v9, v8
	v_fma_f32 v9, v8, 0, -v9
	v_div_scale_f32 v8, vcc, 1.0, v11, 1.0
	v_fma_f32 v21, -v13, v20, 1.0
	v_fmac_f32_e32 v20, v21, v20
	v_mul_f32_e32 v21, v8, v20
	v_fma_f32 v22, -v13, v21, v8
	v_fmac_f32_e32 v21, v22, v20
	v_fma_f32 v8, -v13, v21, v8
	v_div_fmas_f32 v8, v8, v20, v21
	v_div_fixup_f32 v11, v8, v11, 1.0
	v_mul_f32_e32 v8, v12, v11
	v_mul_f32_e32 v12, v9, v11
	s_waitcnt vmcnt(7)
	v_pk_mul_f32 v[20:21], v[12:13], v[14:15] op_sel:[0,1] op_sel_hi:[0,0] neg_lo:[0,1]
	s_waitcnt vmcnt(6)
	v_pk_mul_f32 v[22:23], v[12:13], v[24:25] op_sel:[0,1] op_sel_hi:[0,0] neg_lo:[0,1]
	;; [unrolled: 2-line block ×8, first 2 shown]
	v_pk_fma_f32 v[28:29], v[14:15], v[8:9], v[20:21] op_sel_hi:[1,0,1]
	v_pk_fma_f32 v[26:27], v[24:25], v[8:9], v[22:23] op_sel_hi:[1,0,1]
	;; [unrolled: 1-line block ×8, first 2 shown]
	global_store_dwordx2 v[30:31], v[28:29], off
	global_store_dwordx2 v[32:33], v[26:27], off
	;; [unrolled: 1-line block ×8, first 2 shown]
	s_and_saveexec_b64 s[18:19], s[0:1]
	s_cbranch_execz .LBB180_3
; %bb.13:                               ;   in Loop: Header=BB180_5 Depth=1
	v_add_u32_e32 v9, v44, v1
	v_add_u32_e32 v30, s23, v9
	v_mov_b32_e32 v31, v46
	v_lshl_add_u64 v[30:31], v[30:31], 3, s[4:5]
	global_load_dwordx2 v[32:33], v[30:31], off
	v_mov_b32_e32 v39, v46
	v_add_u32_e32 v38, s24, v9
	v_xor_b32_e32 v34, 0x80000000, v2
	v_mov_b32_e32 v35, v10
	v_lshl_add_u64 v[38:39], v[38:39], 3, s[4:5]
	v_mov_b32_e32 v36, v3
	v_mov_b32_e32 v37, v34
	global_load_dwordx2 v[42:43], v[38:39], off
	v_mov_b32_e32 v41, v46
	v_add_u32_e32 v40, s25, v9
	v_lshl_add_u64 v[40:41], v[40:41], 3, s[4:5]
	s_waitcnt vmcnt(1)
	v_pk_fma_f32 v[32:33], v[34:35], v[28:29], v[32:33] op_sel_hi:[1,0,1]
	s_nop 0
	v_pk_fma_f32 v[28:29], v[36:37], v[28:29], v[32:33] op_sel:[0,1,0]
	global_store_dwordx2 v[30:31], v[28:29], off
	global_load_dwordx2 v[28:29], v[40:41], off
	v_mov_b32_e32 v31, v46
	v_add_u32_e32 v30, s26, v9
	v_lshl_add_u64 v[30:31], v[30:31], 3, s[4:5]
	v_mov_b32_e32 v33, v46
	s_waitcnt vmcnt(2)
	v_pk_fma_f32 v[42:43], v[34:35], v[26:27], v[42:43] op_sel_hi:[1,0,1]
	v_add_u32_e32 v32, s27, v9
	v_pk_fma_f32 v[26:27], v[36:37], v[26:27], v[42:43] op_sel:[0,1,0]
	global_store_dwordx2 v[38:39], v[26:27], off
	global_load_dwordx2 v[26:27], v[30:31], off
	v_lshl_add_u64 v[32:33], v[32:33], 3, s[4:5]
	s_waitcnt vmcnt(2)
	v_pk_fma_f32 v[28:29], v[34:35], v[24:25], v[28:29] op_sel_hi:[1,0,1]
	s_nop 0
	v_pk_fma_f32 v[24:25], v[36:37], v[24:25], v[28:29] op_sel:[0,1,0]
	global_store_dwordx2 v[40:41], v[24:25], off
	global_load_dwordx2 v[24:25], v[32:33], off
	v_mov_b32_e32 v29, v46
	v_add_u32_e32 v28, s28, v9
	v_lshl_add_u64 v[28:29], v[28:29], 3, s[4:5]
	s_waitcnt vmcnt(2)
	v_pk_fma_f32 v[26:27], v[34:35], v[22:23], v[26:27] op_sel_hi:[1,0,1]
	s_nop 0
	v_pk_fma_f32 v[22:23], v[36:37], v[22:23], v[26:27] op_sel:[0,1,0]
	global_store_dwordx2 v[30:31], v[22:23], off
	s_waitcnt vmcnt(1)
	v_pk_fma_f32 v[22:23], v[34:35], v[20:21], v[24:25] op_sel_hi:[1,0,1]
	s_nop 0
	v_pk_fma_f32 v[20:21], v[36:37], v[20:21], v[22:23] op_sel:[0,1,0]
	global_store_dwordx2 v[32:33], v[20:21], off
	global_load_dwordx2 v[20:21], v[28:29], off
	v_mov_b32_e32 v23, v46
	v_add_u32_e32 v22, s29, v9
	v_lshl_add_u64 v[22:23], v[22:23], 3, s[4:5]
	s_waitcnt vmcnt(0)
	v_pk_fma_f32 v[20:21], v[34:35], v[18:19], v[20:21] op_sel_hi:[1,0,1]
	s_nop 0
	v_pk_fma_f32 v[18:19], v[36:37], v[18:19], v[20:21] op_sel:[0,1,0]
	global_store_dwordx2 v[28:29], v[18:19], off
	global_load_dwordx2 v[18:19], v[22:23], off
	v_mov_b32_e32 v21, v46
	v_add_u32_e32 v20, s30, v9
	s_waitcnt vmcnt(0)
	v_pk_fma_f32 v[18:19], v[34:35], v[16:17], v[18:19] op_sel_hi:[1,0,1]
	s_nop 0
	v_pk_fma_f32 v[16:17], v[36:37], v[16:17], v[18:19] op_sel:[0,1,0]
	global_store_dwordx2 v[22:23], v[16:17], off
	v_lshl_add_u64 v[16:17], v[20:21], 3, s[4:5]
	global_load_dwordx2 v[18:19], v[16:17], off
	s_waitcnt vmcnt(0)
	v_pk_fma_f32 v[18:19], v[34:35], v[14:15], v[18:19] op_sel_hi:[1,0,1]
	s_nop 0
	v_pk_fma_f32 v[14:15], v[36:37], v[14:15], v[18:19] op_sel:[0,1,0]
	global_store_dwordx2 v[16:17], v[14:15], off
	s_branch .LBB180_3
.LBB180_14:
	s_or_b64 exec, exec, s[16:17]
	s_branch .LBB180_16
.LBB180_15:
	v_mov_b32_e32 v1, 0
.LBB180_16:
	v_subrev_u32_e32 v1, s20, v1
	v_add_u32_e32 v2, v1, v0
	v_ashrrev_i32_e32 v3, 31, v2
	s_waitcnt lgkmcnt(0)
	v_lshl_add_u64 v[2:3], v[2:3], 2, s[12:13]
	buffer_wbl2 sc1
	s_waitcnt vmcnt(0)
	buffer_inv sc1
	global_load_dword v2, v[2:3], off
	s_waitcnt vmcnt(0)
	v_mul_lo_u32 v2, v2, s20
	v_sub_u32_e32 v1, v1, v2
	v_cmp_lt_i32_e32 vcc, -1, v1
	s_and_b64 exec, exec, vcc
	s_cbranch_execz .LBB180_23
; %bb.17:
	s_lshl_b32 s8, s22, 3
	s_add_i32 s9, s8, s21
	s_add_i32 s10, s9, s21
	;; [unrolled: 1-line block ×7, first 2 shown]
	s_and_b32 s18, s21, -2
	s_mov_b64 s[0:1], 0
	v_mov_b32_e32 v3, 0
	s_branch .LBB180_19
.LBB180_18:                             ;   in Loop: Header=BB180_19 Depth=1
	s_or_b64 exec, exec, s[2:3]
	v_sub_u32_e32 v1, v1, v2
	v_cmp_gt_i32_e32 vcc, 0, v1
	s_or_b64 s[0:1], vcc, s[0:1]
	s_andn2_b64 exec, exec, s[0:1]
	s_cbranch_execz .LBB180_23
.LBB180_19:                             ; =>This Inner Loop Header: Depth=1
	v_add_u32_e32 v4, v1, v0
	v_ashrrev_i32_e32 v5, 31, v4
	s_waitcnt vmcnt(0)
	v_lshl_add_u64 v[6:7], v[4:5], 2, s[12:13]
	global_load_dword v2, v[6:7], off
	v_lshl_add_u64 v[6:7], v[4:5], 3, s[6:7]
	global_load_dwordx2 v[6:7], v[6:7], off
	s_waitcnt vmcnt(1)
	v_cmp_ne_u32_e32 vcc, 1, v2
	s_and_saveexec_b64 s[2:3], vcc
	s_xor_b64 s[2:3], exec, s[2:3]
	s_cbranch_execz .LBB180_21
; %bb.20:                               ;   in Loop: Header=BB180_19 Depth=1
	v_add_u32_e32 v5, v44, v1
	v_add_u32_e32 v2, s8, v5
	v_lshl_add_u64 v[8:9], v[2:3], 3, s[4:5]
	v_add_u32_e32 v2, s9, v5
	v_lshl_add_u64 v[10:11], v[2:3], 3, s[4:5]
	v_add_u32_e32 v2, s10, v5
	v_lshl_add_u64 v[12:13], v[2:3], 3, s[4:5]
	v_add_u32_e32 v2, s11, v5
	v_lshl_add_u64 v[14:15], v[2:3], 3, s[4:5]
	v_add_u32_e32 v2, s14, v5
	v_lshl_add_u64 v[16:17], v[2:3], 3, s[4:5]
	v_add_u32_e32 v2, s15, v5
	v_lshl_add_u64 v[18:19], v[2:3], 3, s[4:5]
	v_add_u32_e32 v2, s16, v5
	v_lshl_add_u64 v[20:21], v[2:3], 3, s[4:5]
	v_add_u32_e32 v2, s17, v5
	v_lshl_add_u64 v[22:23], v[2:3], 3, s[4:5]
	v_add_u32_e32 v2, s8, v4
	v_lshl_add_u64 v[24:25], v[2:3], 3, s[4:5]
	global_load_dwordx2 v[8:9], v[8:9], off
	s_waitcnt vmcnt(1)
	v_pk_add_f32 v[28:29], v[6:7], 0 neg_lo:[1,1] neg_hi:[1,1]
	global_load_dwordx2 v[26:27], v[24:25], off
	v_xor_b32_e32 v31, 0x80000000, v7
	v_mov_b32_e32 v30, v28
	v_pk_mov_b32 v[6:7], v[6:7], v[28:29] op_sel:[1,0]
	global_load_dwordx2 v[28:29], v[10:11], off
	global_load_dwordx2 v[32:33], v[12:13], off
	;; [unrolled: 1-line block ×7, first 2 shown]
	v_add_u32_e32 v2, s9, v4
	v_lshl_add_u64 v[10:11], v[2:3], 3, s[4:5]
	v_add_u32_e32 v2, s10, v4
	v_lshl_add_u64 v[14:15], v[2:3], 3, s[4:5]
	v_add_u32_e32 v2, s11, v4
	s_waitcnt vmcnt(7)
	v_pk_fma_f32 v[12:13], v[30:31], v[8:9], v[26:27] op_sel_hi:[1,0,1]
	s_nop 0
	v_pk_fma_f32 v[12:13], v[6:7], v[8:9], v[12:13] op_sel:[0,1,0]
	global_store_dwordx2 v[24:25], v[12:13], off
	global_load_dwordx2 v[12:13], v[10:11], off
	s_waitcnt vmcnt(0)
	v_pk_fma_f32 v[12:13], v[30:31], v[28:29], v[12:13] op_sel_hi:[1,0,1]
	s_nop 0
	v_pk_fma_f32 v[12:13], v[6:7], v[28:29], v[12:13] op_sel:[0,1,0]
	global_store_dwordx2 v[10:11], v[12:13], off
	global_load_dwordx2 v[10:11], v[14:15], off
	v_lshl_add_u64 v[12:13], v[2:3], 3, s[4:5]
	v_add_u32_e32 v2, s14, v4
	s_waitcnt vmcnt(0)
	v_pk_fma_f32 v[10:11], v[30:31], v[32:33], v[10:11] op_sel_hi:[1,0,1]
	s_nop 0
	v_pk_fma_f32 v[10:11], v[6:7], v[32:33], v[10:11] op_sel:[0,1,0]
	global_store_dwordx2 v[14:15], v[10:11], off
	global_load_dwordx2 v[10:11], v[12:13], off
	v_lshl_add_u64 v[14:15], v[2:3], 3, s[4:5]
	v_add_u32_e32 v2, s15, v4
	;; [unrolled: 8-line block ×4, first 2 shown]
	v_lshl_add_u64 v[4:5], v[2:3], 3, s[4:5]
	v_subrev_u32_e32 v2, s20, v1
	s_waitcnt vmcnt(0)
	v_pk_fma_f32 v[10:11], v[30:31], v[38:39], v[10:11] op_sel_hi:[1,0,1]
	s_nop 0
	v_pk_fma_f32 v[10:11], v[6:7], v[38:39], v[10:11] op_sel:[0,1,0]
	global_store_dwordx2 v[12:13], v[10:11], off
	global_load_dwordx2 v[10:11], v[14:15], off
	v_add_u32_e32 v12, v2, v0
	v_ashrrev_i32_e32 v13, 31, v12
	v_add_u32_e32 v2, s8, v12
	v_lshl_add_u64 v[16:17], v[2:3], 3, s[4:5]
	v_add_u32_e32 v2, s9, v12
	s_waitcnt vmcnt(0)
	v_pk_fma_f32 v[10:11], v[30:31], v[40:41], v[10:11] op_sel_hi:[1,0,1]
	s_nop 0
	v_pk_fma_f32 v[10:11], v[6:7], v[40:41], v[10:11] op_sel:[0,1,0]
	global_store_dwordx2 v[14:15], v[10:11], off
	global_load_dwordx2 v[10:11], v[4:5], off
	v_lshl_add_u64 v[14:15], v[12:13], 3, s[6:7]
	global_load_dwordx2 v[14:15], v[14:15], off
	s_waitcnt vmcnt(1)
	v_pk_fma_f32 v[10:11], v[30:31], v[42:43], v[10:11] op_sel_hi:[1,0,1]
	s_nop 0
	v_pk_fma_f32 v[6:7], v[6:7], v[42:43], v[10:11] op_sel:[0,1,0]
	global_store_dwordx2 v[4:5], v[6:7], off
	global_load_dwordx2 v[4:5], v[16:17], off
	s_waitcnt vmcnt(2)
	v_pk_add_f32 v[10:11], v[14:15], 0 neg_lo:[1,1] neg_hi:[1,1]
	v_lshl_add_u64 v[6:7], v[2:3], 3, s[4:5]
	v_pk_mov_b32 v[10:11], v[14:15], v[10:11] op_sel:[1,0]
	v_add_u32_e32 v2, s10, v12
	s_waitcnt vmcnt(0)
	v_pk_fma_f32 v[4:5], v[14:15], v[8:9], v[4:5] op_sel_hi:[1,0,1] neg_lo:[1,0,0] neg_hi:[1,0,0]
	s_nop 0
	v_pk_fma_f32 v[4:5], v[10:11], v[8:9], v[4:5] op_sel:[0,1,0]
	global_store_dwordx2 v[16:17], v[4:5], off
	global_load_dwordx2 v[4:5], v[6:7], off
	v_lshl_add_u64 v[8:9], v[2:3], 3, s[4:5]
	v_add_u32_e32 v2, s11, v12
	s_waitcnt vmcnt(0)
	v_pk_fma_f32 v[4:5], v[14:15], v[28:29], v[4:5] op_sel_hi:[1,0,1] neg_lo:[1,0,0] neg_hi:[1,0,0]
	s_nop 0
	v_pk_fma_f32 v[4:5], v[10:11], v[28:29], v[4:5] op_sel:[0,1,0]
	global_store_dwordx2 v[6:7], v[4:5], off
	global_load_dwordx2 v[4:5], v[8:9], off
	v_lshl_add_u64 v[6:7], v[2:3], 3, s[4:5]
	;; [unrolled: 8-line block ×6, first 2 shown]
	s_waitcnt vmcnt(0)
	v_pk_fma_f32 v[4:5], v[14:15], v[40:41], v[4:5] op_sel_hi:[1,0,1] neg_lo:[1,0,0] neg_hi:[1,0,0]
	s_nop 0
	v_pk_fma_f32 v[4:5], v[10:11], v[40:41], v[4:5] op_sel:[0,1,0]
	global_store_dwordx2 v[8:9], v[4:5], off
	global_load_dwordx2 v[4:5], v[6:7], off
	s_waitcnt vmcnt(0)
	v_pk_fma_f32 v[4:5], v[14:15], v[42:43], v[4:5] op_sel_hi:[1,0,1] neg_lo:[1,0,0] neg_hi:[1,0,0]
	s_nop 0
	v_pk_fma_f32 v[4:5], v[10:11], v[42:43], v[4:5] op_sel:[0,1,0]
	global_store_dwordx2 v[6:7], v[4:5], off
                                        ; implicit-def: $vgpr4
                                        ; implicit-def: $vgpr6_vgpr7
.LBB180_21:                             ;   in Loop: Header=BB180_19 Depth=1
	s_or_saveexec_b64 s[2:3], s[2:3]
	v_mov_b32_e32 v2, s18
	s_xor_b64 exec, exec, s[2:3]
	s_cbranch_execz .LBB180_18
; %bb.22:                               ;   in Loop: Header=BB180_19 Depth=1
	v_add_u32_e32 v5, v44, v1
	v_add_u32_e32 v2, s8, v5
	v_lshl_add_u64 v[8:9], v[2:3], 3, s[4:5]
	v_add_u32_e32 v2, s8, v4
	v_lshl_add_u64 v[10:11], v[2:3], 3, s[4:5]
	global_load_dwordx2 v[12:13], v[8:9], off
	global_load_dwordx2 v[14:15], v[10:11], off
	s_waitcnt vmcnt(2)
	v_pk_add_f32 v[8:9], v[6:7], 0 neg_lo:[1,1] neg_hi:[1,1]
	v_xor_b32_e32 v17, 0x80000000, v7
	v_mov_b32_e32 v16, v8
	v_pk_mov_b32 v[8:9], v[6:7], v[8:9] op_sel:[1,0]
	v_add_u32_e32 v2, s9, v5
	v_lshl_add_u64 v[18:19], v[2:3], 3, s[4:5]
	v_add_u32_e32 v2, s9, v4
	v_lshl_add_u64 v[20:21], v[2:3], 3, s[4:5]
	v_add_u32_e32 v2, s10, v5
	s_waitcnt vmcnt(0)
	v_pk_fma_f32 v[14:15], v[16:17], v[12:13], v[14:15] op_sel_hi:[1,0,1]
	s_nop 0
	v_pk_fma_f32 v[12:13], v[8:9], v[12:13], v[14:15] op_sel:[0,1,0]
	global_store_dwordx2 v[10:11], v[12:13], off
	global_load_dwordx2 v[10:11], v[18:19], off
	s_nop 0
	global_load_dwordx2 v[12:13], v[20:21], off
	v_lshl_add_u64 v[14:15], v[2:3], 3, s[4:5]
	v_add_u32_e32 v2, s10, v4
	v_lshl_add_u64 v[18:19], v[2:3], 3, s[4:5]
	v_add_u32_e32 v2, s11, v5
	s_waitcnt vmcnt(0)
	v_pk_fma_f32 v[12:13], v[16:17], v[10:11], v[12:13] op_sel_hi:[1,0,1]
	s_nop 0
	v_pk_fma_f32 v[10:11], v[8:9], v[10:11], v[12:13] op_sel:[0,1,0]
	global_store_dwordx2 v[20:21], v[10:11], off
	global_load_dwordx2 v[10:11], v[14:15], off
	s_nop 0
	global_load_dwordx2 v[12:13], v[18:19], off
	;; [unrolled: 12-line block ×6, first 2 shown]
	v_lshl_add_u64 v[14:15], v[2:3], 3, s[4:5]
	v_add_u32_e32 v2, s17, v4
	v_lshl_add_u64 v[4:5], v[2:3], 3, s[4:5]
	v_mov_b32_e32 v2, s20
	s_waitcnt vmcnt(0)
	v_pk_fma_f32 v[12:13], v[16:17], v[10:11], v[12:13] op_sel_hi:[1,0,1]
	s_nop 0
	v_pk_fma_f32 v[10:11], v[8:9], v[10:11], v[12:13] op_sel:[0,1,0]
	global_store_dwordx2 v[18:19], v[10:11], off
	global_load_dwordx2 v[10:11], v[14:15], off
	s_nop 0
	global_load_dwordx2 v[12:13], v[4:5], off
	s_waitcnt vmcnt(0)
	v_pk_fma_f32 v[6:7], v[6:7], v[10:11], v[12:13] op_sel_hi:[1,0,1] neg_lo:[1,0,0] neg_hi:[1,0,0]
	s_nop 0
	v_pk_fma_f32 v[6:7], v[8:9], v[10:11], v[6:7] op_sel:[0,1,0]
	global_store_dwordx2 v[4:5], v[6:7], off
	s_branch .LBB180_18
.LBB180_23:
	s_endpgm
	.section	.rodata,"a",@progbits
	.p2align	6, 0x0
	.amdhsa_kernel _ZN9rocsparseL19gtsv_LBM_rhs_kernelILj256ELj2ELj8E21rocsparse_complex_numIfEEEviiiPKT2_S5_S5_PS3_S5_PKi
		.amdhsa_group_segment_fixed_size 0
		.amdhsa_private_segment_fixed_size 0
		.amdhsa_kernarg_size 64
		.amdhsa_user_sgpr_count 2
		.amdhsa_user_sgpr_dispatch_ptr 0
		.amdhsa_user_sgpr_queue_ptr 0
		.amdhsa_user_sgpr_kernarg_segment_ptr 1
		.amdhsa_user_sgpr_dispatch_id 0
		.amdhsa_user_sgpr_kernarg_preload_length 0
		.amdhsa_user_sgpr_kernarg_preload_offset 0
		.amdhsa_user_sgpr_private_segment_size 0
		.amdhsa_uses_dynamic_stack 0
		.amdhsa_enable_private_segment 0
		.amdhsa_system_sgpr_workgroup_id_x 1
		.amdhsa_system_sgpr_workgroup_id_y 1
		.amdhsa_system_sgpr_workgroup_id_z 0
		.amdhsa_system_sgpr_workgroup_info 0
		.amdhsa_system_vgpr_workitem_id 0
		.amdhsa_next_free_vgpr 104
		.amdhsa_next_free_sgpr 32
		.amdhsa_accum_offset 104
		.amdhsa_reserve_vcc 1
		.amdhsa_float_round_mode_32 0
		.amdhsa_float_round_mode_16_64 0
		.amdhsa_float_denorm_mode_32 3
		.amdhsa_float_denorm_mode_16_64 3
		.amdhsa_dx10_clamp 1
		.amdhsa_ieee_mode 1
		.amdhsa_fp16_overflow 0
		.amdhsa_tg_split 0
		.amdhsa_exception_fp_ieee_invalid_op 0
		.amdhsa_exception_fp_denorm_src 0
		.amdhsa_exception_fp_ieee_div_zero 0
		.amdhsa_exception_fp_ieee_overflow 0
		.amdhsa_exception_fp_ieee_underflow 0
		.amdhsa_exception_fp_ieee_inexact 0
		.amdhsa_exception_int_div_zero 0
	.end_amdhsa_kernel
	.section	.text._ZN9rocsparseL19gtsv_LBM_rhs_kernelILj256ELj2ELj8E21rocsparse_complex_numIfEEEviiiPKT2_S5_S5_PS3_S5_PKi,"axG",@progbits,_ZN9rocsparseL19gtsv_LBM_rhs_kernelILj256ELj2ELj8E21rocsparse_complex_numIfEEEviiiPKT2_S5_S5_PS3_S5_PKi,comdat
.Lfunc_end180:
	.size	_ZN9rocsparseL19gtsv_LBM_rhs_kernelILj256ELj2ELj8E21rocsparse_complex_numIfEEEviiiPKT2_S5_S5_PS3_S5_PKi, .Lfunc_end180-_ZN9rocsparseL19gtsv_LBM_rhs_kernelILj256ELj2ELj8E21rocsparse_complex_numIfEEEviiiPKT2_S5_S5_PS3_S5_PKi
                                        ; -- End function
	.set _ZN9rocsparseL19gtsv_LBM_rhs_kernelILj256ELj2ELj8E21rocsparse_complex_numIfEEEviiiPKT2_S5_S5_PS3_S5_PKi.num_vgpr, 104
	.set _ZN9rocsparseL19gtsv_LBM_rhs_kernelILj256ELj2ELj8E21rocsparse_complex_numIfEEEviiiPKT2_S5_S5_PS3_S5_PKi.num_agpr, 0
	.set _ZN9rocsparseL19gtsv_LBM_rhs_kernelILj256ELj2ELj8E21rocsparse_complex_numIfEEEviiiPKT2_S5_S5_PS3_S5_PKi.numbered_sgpr, 32
	.set _ZN9rocsparseL19gtsv_LBM_rhs_kernelILj256ELj2ELj8E21rocsparse_complex_numIfEEEviiiPKT2_S5_S5_PS3_S5_PKi.num_named_barrier, 0
	.set _ZN9rocsparseL19gtsv_LBM_rhs_kernelILj256ELj2ELj8E21rocsparse_complex_numIfEEEviiiPKT2_S5_S5_PS3_S5_PKi.private_seg_size, 0
	.set _ZN9rocsparseL19gtsv_LBM_rhs_kernelILj256ELj2ELj8E21rocsparse_complex_numIfEEEviiiPKT2_S5_S5_PS3_S5_PKi.uses_vcc, 1
	.set _ZN9rocsparseL19gtsv_LBM_rhs_kernelILj256ELj2ELj8E21rocsparse_complex_numIfEEEviiiPKT2_S5_S5_PS3_S5_PKi.uses_flat_scratch, 0
	.set _ZN9rocsparseL19gtsv_LBM_rhs_kernelILj256ELj2ELj8E21rocsparse_complex_numIfEEEviiiPKT2_S5_S5_PS3_S5_PKi.has_dyn_sized_stack, 0
	.set _ZN9rocsparseL19gtsv_LBM_rhs_kernelILj256ELj2ELj8E21rocsparse_complex_numIfEEEviiiPKT2_S5_S5_PS3_S5_PKi.has_recursion, 0
	.set _ZN9rocsparseL19gtsv_LBM_rhs_kernelILj256ELj2ELj8E21rocsparse_complex_numIfEEEviiiPKT2_S5_S5_PS3_S5_PKi.has_indirect_call, 0
	.section	.AMDGPU.csdata,"",@progbits
; Kernel info:
; codeLenInByte = 5212
; TotalNumSgprs: 38
; NumVgprs: 104
; NumAgprs: 0
; TotalNumVgprs: 104
; ScratchSize: 0
; MemoryBound: 0
; FloatMode: 240
; IeeeMode: 1
; LDSByteSize: 0 bytes/workgroup (compile time only)
; SGPRBlocks: 4
; VGPRBlocks: 12
; NumSGPRsForWavesPerEU: 38
; NumVGPRsForWavesPerEU: 104
; AccumOffset: 104
; Occupancy: 4
; WaveLimiterHint : 0
; COMPUTE_PGM_RSRC2:SCRATCH_EN: 0
; COMPUTE_PGM_RSRC2:USER_SGPR: 2
; COMPUTE_PGM_RSRC2:TRAP_HANDLER: 0
; COMPUTE_PGM_RSRC2:TGID_X_EN: 1
; COMPUTE_PGM_RSRC2:TGID_Y_EN: 1
; COMPUTE_PGM_RSRC2:TGID_Z_EN: 0
; COMPUTE_PGM_RSRC2:TIDIG_COMP_CNT: 0
; COMPUTE_PGM_RSRC3_GFX90A:ACCUM_OFFSET: 25
; COMPUTE_PGM_RSRC3_GFX90A:TG_SPLIT: 0
	.section	.text._ZN9rocsparseL19gtsv_LBM_rhs_kernelILj256ELj2ELj4E21rocsparse_complex_numIfEEEviiiPKT2_S5_S5_PS3_S5_PKi,"axG",@progbits,_ZN9rocsparseL19gtsv_LBM_rhs_kernelILj256ELj2ELj4E21rocsparse_complex_numIfEEEviiiPKT2_S5_S5_PS3_S5_PKi,comdat
	.globl	_ZN9rocsparseL19gtsv_LBM_rhs_kernelILj256ELj2ELj4E21rocsparse_complex_numIfEEEviiiPKT2_S5_S5_PS3_S5_PKi ; -- Begin function _ZN9rocsparseL19gtsv_LBM_rhs_kernelILj256ELj2ELj4E21rocsparse_complex_numIfEEEviiiPKT2_S5_S5_PS3_S5_PKi
	.p2align	8
	.type	_ZN9rocsparseL19gtsv_LBM_rhs_kernelILj256ELj2ELj4E21rocsparse_complex_numIfEEEviiiPKT2_S5_S5_PS3_S5_PKi,@function
_ZN9rocsparseL19gtsv_LBM_rhs_kernelILj256ELj2ELj4E21rocsparse_complex_numIfEEEviiiPKT2_S5_S5_PS3_S5_PKi: ; @_ZN9rocsparseL19gtsv_LBM_rhs_kernelILj256ELj2ELj4E21rocsparse_complex_numIfEEEviiiPKT2_S5_S5_PS3_S5_PKi
; %bb.0:
	s_load_dword s21, s[0:1], 0x0
	v_lshl_or_b32 v0, s2, 8, v0
	s_waitcnt lgkmcnt(0)
	s_lshr_b32 s20, s21, 1
	v_cmp_gt_i32_e32 vcc, s20, v0
	s_and_saveexec_b64 s[4:5], vcc
	s_cbranch_execz .LBB181_23
; %bb.1:
	s_load_dwordx4 s[4:7], s[0:1], 0x28
	s_load_dwordx2 s[12:13], s[0:1], 0x38
	s_cmp_lt_i32 s21, 1
	v_add_u32_e32 v22, s20, v0
	s_mul_i32 s22, s3, s21
	s_cbranch_scc1 .LBB181_15
; %bb.2:
	s_load_dwordx4 s[8:11], s[0:1], 0x10
	s_load_dwordx2 s[14:15], s[0:1], 0x20
	v_ashrrev_i32_e32 v1, 31, v0
	s_lshl_b32 s23, s22, 2
	s_add_i32 s24, s23, s21
	s_waitcnt lgkmcnt(0)
	v_lshl_add_u64 v[2:3], v[0:1], 3, s[10:11]
	global_load_dwordx2 v[8:9], v[2:3], off
	s_add_i32 s25, s24, s21
	s_add_i32 s26, s25, s21
	s_and_b32 s27, s21, 0x7ffffffe
	v_mov_b32_e32 v24, 0
	s_mov_b64 s[16:17], 0
	v_mov_b32_e32 v1, 0
	s_branch .LBB181_5
.LBB181_3:                              ;   in Loop: Header=BB181_5 Depth=1
	s_or_b64 exec, exec, s[18:19]
	v_mov_b32_e32 v11, v2
	v_pk_mul_f32 v[10:11], v[4:5], v[10:11] op_sel:[1,0]
	s_nop 0
	v_pk_fma_f32 v[2:3], v[2:3], v[4:5], v[10:11] op_sel_hi:[1,0,1]
	v_mov_b32_e32 v11, s20
	v_xor_b32_e32 v4, 0x80000000, v3
	v_mov_b32_e32 v5, v2
	v_pk_mul_f32 v[4:5], v[12:13], v[4:5] op_sel_hi:[0,1]
	v_pk_fma_f32 v[2:3], v[2:3], v[8:9], v[4:5] op_sel_hi:[1,0,1]
	s_nop 0
	v_pk_add_f32 v[20:21], v[6:7], v[2:3] neg_lo:[0,1] neg_hi:[0,1]
.LBB181_4:                              ;   in Loop: Header=BB181_5 Depth=1
	s_or_b64 exec, exec, s[2:3]
	v_add_u32_e32 v1, v11, v1
	v_cmp_le_i32_e32 vcc, s21, v1
	s_or_b64 s[16:17], vcc, s[16:17]
	v_mov_b64_e32 v[8:9], v[20:21]
	s_andn2_b64 exec, exec, s[16:17]
	s_cbranch_execz .LBB181_14
.LBB181_5:                              ; =>This Inner Loop Header: Depth=1
	v_add_u32_e32 v10, v1, v0
	v_ashrrev_i32_e32 v11, 31, v10
	v_lshl_add_u64 v[2:3], v[10:11], 3, s[14:15]
	global_load_dwordx2 v[4:5], v[2:3], off
	v_cmp_gt_u32_e64 s[0:1], s20, v1
	v_mov_b32_e32 v2, 0
	v_mov_b32_e32 v3, 0
	s_and_saveexec_b64 s[2:3], s[0:1]
	s_cbranch_execz .LBB181_7
; %bb.6:                                ;   in Loop: Header=BB181_5 Depth=1
	v_add_u32_e32 v2, v22, v1
	v_ashrrev_i32_e32 v3, 31, v2
	v_lshl_add_u64 v[2:3], v[2:3], 3, s[8:9]
	global_load_dwordx2 v[2:3], v[2:3], off
.LBB181_7:                              ;   in Loop: Header=BB181_5 Depth=1
	s_or_b64 exec, exec, s[2:3]
	v_mov_b32_e32 v6, 0
	v_mov_b32_e32 v7, v6
	s_and_saveexec_b64 s[2:3], s[0:1]
	s_cbranch_execz .LBB181_9
; %bb.8:                                ;   in Loop: Header=BB181_5 Depth=1
	v_add_u32_e32 v6, v22, v1
	v_ashrrev_i32_e32 v7, 31, v6
	v_lshl_add_u64 v[6:7], v[6:7], 3, s[10:11]
	global_load_dwordx2 v[6:7], v[6:7], off
.LBB181_9:                              ;   in Loop: Header=BB181_5 Depth=1
	s_or_b64 exec, exec, s[2:3]
	v_lshl_add_u64 v[12:13], v[10:11], 2, s[12:13]
	global_load_dword v11, v[12:13], off
	v_cmp_ne_u32_e32 vcc, s20, v1
	v_add_u32_e32 v18, s23, v10
	v_add_u32_e32 v16, s24, v10
	;; [unrolled: 1-line block ×4, first 2 shown]
	s_waitcnt vmcnt(1)
	v_xor_b32_e32 v10, 0x80000000, v3
	s_waitcnt vmcnt(0)
	v_cmp_ne_u32_e64 s[2:3], 1, v11
	s_and_b64 s[2:3], vcc, s[2:3]
	s_and_saveexec_b64 s[18:19], s[2:3]
	s_xor_b64 s[2:3], exec, s[18:19]
	s_cbranch_execz .LBB181_11
; %bb.10:                               ;   in Loop: Header=BB181_5 Depth=1
	v_mov_b32_e32 v19, v24
	v_mov_b32_e32 v15, v24
	v_add_u32_e32 v11, v22, v1
	v_lshl_add_u64 v[18:19], v[18:19], 3, s[4:5]
	v_mov_b32_e32 v17, v24
	v_lshl_add_u64 v[14:15], v[14:15], 3, s[4:5]
	v_mov_b32_e32 v31, v24
	v_add_u32_e32 v30, s23, v11
	v_lshl_add_u64 v[16:17], v[16:17], 3, s[4:5]
	global_load_dwordx2 v[20:21], v[18:19], off
	global_load_dwordx2 v[26:27], v[16:17], off
	;; [unrolled: 1-line block ×3, first 2 shown]
	v_lshl_add_u64 v[30:31], v[30:31], 3, s[4:5]
	global_load_dwordx2 v[32:33], v[30:31], off
	v_mov_b32_e32 v35, v24
	v_add_u32_e32 v34, s24, v11
	v_lshl_add_u64 v[34:35], v[34:35], 3, s[4:5]
	global_load_dwordx2 v[36:37], v[34:35], off
	v_mov_b32_e32 v39, v24
	v_add_u32_e32 v38, s25, v11
	v_lshl_add_u64 v[38:39], v[38:39], 3, s[4:5]
	global_load_dwordx2 v[40:41], v[38:39], off
	v_mov_b32_e32 v13, v24
	v_lshl_add_u64 v[12:13], v[12:13], 3, s[4:5]
	v_mov_b32_e32 v45, v24
	v_add_u32_e32 v44, s26, v11
	global_load_dwordx2 v[42:43], v[12:13], off
	v_lshl_add_u64 v[44:45], v[44:45], 3, s[4:5]
	global_load_dwordx2 v[46:47], v[44:45], off
	v_xor_b32_e32 v48, 0x80000000, v9
	v_mov_b32_e32 v49, v8
	v_mov_b32_e32 v11, v2
	v_pk_mul_f32 v[54:55], v[6:7], v[48:49] op_sel:[1,0]
	v_pk_mul_f32 v[10:11], v[4:5], v[10:11] op_sel:[1,0]
	v_pk_fma_f32 v[54:55], v[8:9], v[6:7], v[54:55] op_sel_hi:[1,0,1]
	v_pk_fma_f32 v[10:11], v[2:3], v[4:5], v[10:11] op_sel_hi:[1,0,1]
	v_xor_b32_e32 v50, 0x80000000, v7
	v_pk_add_f32 v[10:11], v[54:55], v[10:11] neg_lo:[0,1] neg_hi:[0,1]
	v_xor_b32_e32 v52, 0x80000000, v5
	v_mul_f32_e32 v23, v11, v11
	v_fmac_f32_e32 v23, v10, v10
	v_div_scale_f32 v54, s[18:19], v23, v23, 1.0
	v_rcp_f32_e32 v55, v54
	v_fma_f32 v25, 0, v11, v10
	v_fma_f32 v10, v10, 0, -v11
	v_div_scale_f32 v11, vcc, 1.0, v23, 1.0
	v_fma_f32 v56, -v54, v55, 1.0
	v_fmac_f32_e32 v55, v56, v55
	v_mul_f32_e32 v56, v11, v55
	v_fma_f32 v57, -v54, v56, v11
	v_fmac_f32_e32 v56, v57, v55
	v_fma_f32 v11, -v54, v56, v11
	v_div_fmas_f32 v11, v11, v55, v56
	v_div_fixup_f32 v11, v11, v23, 1.0
	v_mul_f32_e32 v23, v25, v11
	v_mul_f32_e32 v11, v10, v11
	v_mov_b32_e32 v51, v6
	v_mov_b32_e32 v53, v4
	s_waitcnt vmcnt(7)
	v_mul_f32_e64 v10, v11, -v21
	v_mul_f32_e32 v54, v11, v20
	s_waitcnt vmcnt(5)
	v_mul_f32_e64 v60, v11, -v29
	v_mul_f32_e64 v56, v11, -v27
	v_fmac_f32_e32 v10, v20, v23
	v_mul_f32_e32 v20, v11, v28
	v_fmac_f32_e32 v60, v28, v23
	s_waitcnt vmcnt(4)
	v_mul_f32_e32 v28, v11, v32
	v_mul_f32_e32 v58, v11, v26
	v_fmac_f32_e32 v54, v21, v23
	v_fmac_f32_e32 v56, v26, v23
	v_mul_f32_e64 v26, v11, -v33
	v_fmac_f32_e32 v28, v33, v23
	v_fmac_f32_e32 v26, v32, v23
	v_pk_mul_f32 v[32:33], v[54:55], v[50:51] op_sel_hi:[0,1]
	v_pk_mul_f32 v[62:63], v[28:29], v[52:53] op_sel_hi:[0,1]
	v_pk_fma_f32 v[32:33], v[6:7], v[10:11], v[32:33] op_sel_hi:[1,0,1]
	v_pk_fma_f32 v[62:63], v[4:5], v[26:27], v[62:63] op_sel_hi:[1,0,1]
	v_fmac_f32_e32 v58, v27, v23
	v_pk_add_f32 v[32:33], v[32:33], v[62:63] neg_lo:[0,1] neg_hi:[0,1]
	global_store_dwordx2 v[18:19], v[32:33], off
	s_waitcnt vmcnt(4)
	v_mul_f32_e32 v32, v11, v36
	v_mul_f32_e64 v18, v11, -v37
	v_fmac_f32_e32 v32, v37, v23
	v_fmac_f32_e32 v18, v36, v23
	v_pk_mul_f32 v[36:37], v[58:59], v[50:51] op_sel_hi:[0,1]
	v_pk_mul_f32 v[62:63], v[32:33], v[52:53] op_sel_hi:[0,1]
	v_pk_fma_f32 v[36:37], v[6:7], v[56:57], v[36:37] op_sel_hi:[1,0,1]
	v_pk_fma_f32 v[62:63], v[4:5], v[18:19], v[62:63] op_sel_hi:[1,0,1]
	v_fmac_f32_e32 v20, v29, v23
	v_pk_add_f32 v[36:37], v[36:37], v[62:63] neg_lo:[0,1] neg_hi:[0,1]
	global_store_dwordx2 v[16:17], v[36:37], off
	s_waitcnt vmcnt(4)
	v_mul_f32_e32 v36, v11, v40
	v_mul_f32_e64 v16, v11, -v41
	v_fmac_f32_e32 v36, v41, v23
	v_fmac_f32_e32 v16, v40, v23
	v_pk_mul_f32 v[40:41], v[20:21], v[50:51] op_sel_hi:[0,1]
	v_pk_mul_f32 v[62:63], v[36:37], v[52:53] op_sel_hi:[0,1]
	v_pk_fma_f32 v[40:41], v[6:7], v[60:61], v[40:41] op_sel_hi:[1,0,1]
	v_pk_fma_f32 v[62:63], v[4:5], v[16:17], v[62:63] op_sel_hi:[1,0,1]
	s_nop 0
	v_pk_add_f32 v[40:41], v[40:41], v[62:63] neg_lo:[0,1] neg_hi:[0,1]
	global_store_dwordx2 v[14:15], v[40:41], off
	s_waitcnt vmcnt(4)
	v_mul_f32_e64 v14, v11, -v43
	v_fmac_f32_e32 v14, v42, v23
	v_mul_f32_e32 v40, v11, v42
	s_waitcnt vmcnt(3)
	v_mul_f32_e64 v42, v11, -v47
	v_fmac_f32_e32 v40, v43, v23
	v_fmac_f32_e32 v42, v46, v23
	v_mul_f32_e32 v46, v11, v46
	v_fmac_f32_e32 v46, v47, v23
	v_pk_mul_f32 v[50:51], v[40:41], v[50:51] op_sel_hi:[0,1]
	v_pk_fma_f32 v[6:7], v[6:7], v[14:15], v[50:51] op_sel_hi:[1,0,1]
	v_pk_mul_f32 v[50:51], v[46:47], v[52:53] op_sel_hi:[0,1]
	v_pk_fma_f32 v[4:5], v[4:5], v[42:43], v[50:51] op_sel_hi:[1,0,1]
	v_pk_add_f32 v[62:63], v[2:3], 0 neg_lo:[1,1] neg_hi:[1,1]
	v_pk_add_f32 v[4:5], v[6:7], v[4:5] neg_lo:[0,1] neg_hi:[0,1]
	global_store_dwordx2 v[12:13], v[4:5], off
	v_pk_mov_b32 v[4:5], v[2:3], v[62:63] op_sel:[1,0]
                                        ; implicit-def: $vgpr12
	s_nop 0
	v_pk_mul_f32 v[6:7], v[4:5], v[54:55] op_sel_hi:[1,0]
	s_nop 0
	v_pk_fma_f32 v[6:7], v[2:3], v[10:11], v[6:7] op_sel_hi:[1,0,1] neg_lo:[1,0,0] neg_hi:[1,0,0]
	v_pk_mul_f32 v[10:11], v[28:29], v[48:49] op_sel_hi:[0,1]
	v_pk_fma_f32 v[10:11], v[8:9], v[26:27], v[10:11] op_sel_hi:[1,0,1]
	s_nop 0
	v_pk_add_f32 v[6:7], v[6:7], v[10:11]
	global_store_dwordx2 v[30:31], v[6:7], off
	v_pk_mul_f32 v[6:7], v[4:5], v[58:59] op_sel_hi:[1,0]
	v_pk_mul_f32 v[10:11], v[32:33], v[48:49] op_sel_hi:[0,1]
	v_pk_fma_f32 v[6:7], v[2:3], v[56:57], v[6:7] op_sel_hi:[1,0,1] neg_lo:[1,0,0] neg_hi:[1,0,0]
	v_pk_fma_f32 v[10:11], v[8:9], v[18:19], v[10:11] op_sel_hi:[1,0,1]
                                        ; implicit-def: $vgpr18
	s_nop 0
	v_pk_add_f32 v[6:7], v[6:7], v[10:11]
	global_store_dwordx2 v[34:35], v[6:7], off
	v_pk_mul_f32 v[6:7], v[4:5], v[20:21] op_sel_hi:[1,0]
	v_pk_mul_f32 v[4:5], v[4:5], v[40:41] op_sel_hi:[1,0]
	v_pk_fma_f32 v[6:7], v[2:3], v[60:61], v[6:7] op_sel_hi:[1,0,1] neg_lo:[1,0,0] neg_hi:[1,0,0]
	v_pk_mul_f32 v[10:11], v[36:37], v[48:49] op_sel_hi:[0,1]
	v_pk_fma_f32 v[2:3], v[2:3], v[14:15], v[4:5] op_sel_hi:[1,0,1] neg_lo:[1,0,0] neg_hi:[1,0,0]
	v_pk_mul_f32 v[4:5], v[46:47], v[48:49] op_sel_hi:[0,1]
	v_pk_fma_f32 v[10:11], v[8:9], v[16:17], v[10:11] op_sel_hi:[1,0,1]
	v_pk_fma_f32 v[4:5], v[8:9], v[42:43], v[4:5] op_sel_hi:[1,0,1]
	v_pk_add_f32 v[6:7], v[6:7], v[10:11]
	v_pk_add_f32 v[2:3], v[2:3], v[4:5]
	global_store_dwordx2 v[38:39], v[6:7], off
	global_store_dwordx2 v[44:45], v[2:3], off
                                        ; implicit-def: $vgpr8_vgpr9
                                        ; implicit-def: $vgpr4_vgpr5
                                        ; implicit-def: $vgpr2
                                        ; implicit-def: $vgpr6_vgpr7
                                        ; implicit-def: $vgpr16
                                        ; implicit-def: $vgpr14
                                        ; implicit-def: $vgpr10
.LBB181_11:                             ;   in Loop: Header=BB181_5 Depth=1
	s_or_saveexec_b64 s[2:3], s[2:3]
	v_mov_b32_e32 v25, v24
	v_mov_b32_e32 v11, s27
	v_mov_b64_e32 v[20:21], v[24:25]
	s_xor_b64 exec, exec, s[2:3]
	s_cbranch_execz .LBB181_4
; %bb.12:                               ;   in Loop: Header=BB181_5 Depth=1
	v_mov_b32_e32 v19, v24
	v_lshl_add_u64 v[26:27], v[18:19], 3, s[4:5]
	v_mov_b32_e32 v17, v24
	v_mov_b32_e32 v15, v24
	;; [unrolled: 1-line block ×3, first 2 shown]
	v_lshl_add_u64 v[28:29], v[16:17], 3, s[4:5]
	v_lshl_add_u64 v[30:31], v[14:15], 3, s[4:5]
	;; [unrolled: 1-line block ×3, first 2 shown]
	global_load_dwordx2 v[14:15], v[26:27], off
	global_load_dwordx2 v[16:17], v[28:29], off
	;; [unrolled: 1-line block ×4, first 2 shown]
	v_mul_f32_e32 v11, v9, v9
	v_fmac_f32_e32 v11, v8, v8
	v_div_scale_f32 v13, s[18:19], v11, v11, 1.0
	v_rcp_f32_e32 v18, v13
	v_fma_f32 v12, 0, v9, v8
	v_fma_f32 v9, v8, 0, -v9
	v_div_scale_f32 v8, vcc, 1.0, v11, 1.0
	v_fma_f32 v19, -v13, v18, 1.0
	v_fmac_f32_e32 v18, v19, v18
	v_mul_f32_e32 v19, v8, v18
	v_fma_f32 v20, -v13, v19, v8
	v_fmac_f32_e32 v19, v20, v18
	v_fma_f32 v8, -v13, v19, v8
	v_div_fmas_f32 v8, v8, v18, v19
	v_div_fixup_f32 v11, v8, v11, 1.0
	v_mul_f32_e32 v8, v12, v11
	v_mul_f32_e32 v12, v9, v11
	s_waitcnt vmcnt(3)
	v_pk_mul_f32 v[18:19], v[12:13], v[14:15] op_sel:[0,1] op_sel_hi:[0,0] neg_lo:[0,1]
	s_waitcnt vmcnt(2)
	v_pk_mul_f32 v[20:21], v[12:13], v[16:17] op_sel:[0,1] op_sel_hi:[0,0] neg_lo:[0,1]
	;; [unrolled: 2-line block ×4, first 2 shown]
	v_pk_fma_f32 v[18:19], v[14:15], v[8:9], v[18:19] op_sel_hi:[1,0,1]
	v_pk_fma_f32 v[20:21], v[16:17], v[8:9], v[20:21] op_sel_hi:[1,0,1]
	;; [unrolled: 1-line block ×4, first 2 shown]
	global_store_dwordx2 v[26:27], v[18:19], off
	global_store_dwordx2 v[28:29], v[20:21], off
	;; [unrolled: 1-line block ×4, first 2 shown]
	s_and_saveexec_b64 s[18:19], s[0:1]
	s_cbranch_execz .LBB181_3
; %bb.13:                               ;   in Loop: Header=BB181_5 Depth=1
	v_add_u32_e32 v9, v22, v1
	v_add_u32_e32 v26, s23, v9
	v_mov_b32_e32 v27, v24
	v_lshl_add_u64 v[26:27], v[26:27], 3, s[4:5]
	v_add_u32_e32 v28, s24, v9
	v_mov_b32_e32 v29, v24
	v_lshl_add_u64 v[28:29], v[28:29], 3, s[4:5]
	global_load_dwordx2 v[30:31], v[26:27], off
	global_load_dwordx2 v[32:33], v[28:29], off
	v_xor_b32_e32 v34, 0x80000000, v2
	v_mov_b32_e32 v35, v10
	v_mov_b32_e32 v36, v3
	;; [unrolled: 1-line block ×4, first 2 shown]
	v_add_u32_e32 v38, s25, v9
	v_mov_b32_e32 v41, v24
	v_add_u32_e32 v40, s26, v9
	v_lshl_add_u64 v[38:39], v[38:39], 3, s[4:5]
	v_lshl_add_u64 v[40:41], v[40:41], 3, s[4:5]
	s_waitcnt vmcnt(1)
	v_pk_fma_f32 v[30:31], v[34:35], v[18:19], v[30:31] op_sel_hi:[1,0,1]
	s_waitcnt vmcnt(0)
	v_pk_fma_f32 v[32:33], v[34:35], v[20:21], v[32:33] op_sel_hi:[1,0,1]
	v_pk_fma_f32 v[18:19], v[36:37], v[18:19], v[30:31] op_sel:[0,1,0]
	v_pk_fma_f32 v[20:21], v[36:37], v[20:21], v[32:33] op_sel:[0,1,0]
	global_store_dwordx2 v[26:27], v[18:19], off
	global_store_dwordx2 v[28:29], v[20:21], off
	global_load_dwordx2 v[18:19], v[38:39], off
	s_nop 0
	global_load_dwordx2 v[20:21], v[40:41], off
	s_waitcnt vmcnt(1)
	v_pk_fma_f32 v[18:19], v[34:35], v[14:15], v[18:19] op_sel_hi:[1,0,1]
	s_waitcnt vmcnt(0)
	v_pk_fma_f32 v[20:21], v[34:35], v[16:17], v[20:21] op_sel_hi:[1,0,1]
	v_pk_fma_f32 v[14:15], v[36:37], v[14:15], v[18:19] op_sel:[0,1,0]
	v_pk_fma_f32 v[16:17], v[36:37], v[16:17], v[20:21] op_sel:[0,1,0]
	global_store_dwordx2 v[38:39], v[14:15], off
	global_store_dwordx2 v[40:41], v[16:17], off
	s_branch .LBB181_3
.LBB181_14:
	s_or_b64 exec, exec, s[16:17]
	s_branch .LBB181_16
.LBB181_15:
	v_mov_b32_e32 v1, 0
.LBB181_16:
	v_subrev_u32_e32 v1, s20, v1
	v_add_u32_e32 v2, v1, v0
	v_ashrrev_i32_e32 v3, 31, v2
	s_waitcnt lgkmcnt(0)
	v_lshl_add_u64 v[2:3], v[2:3], 2, s[12:13]
	buffer_wbl2 sc1
	s_waitcnt vmcnt(0)
	buffer_inv sc1
	global_load_dword v2, v[2:3], off
	s_waitcnt vmcnt(0)
	v_mul_lo_u32 v2, v2, s20
	v_sub_u32_e32 v1, v1, v2
	v_cmp_lt_i32_e32 vcc, -1, v1
	s_and_b64 exec, exec, vcc
	s_cbranch_execz .LBB181_23
; %bb.17:
	s_lshl_b32 s8, s22, 2
	s_add_i32 s9, s8, s21
	s_add_i32 s10, s9, s21
	;; [unrolled: 1-line block ×3, first 2 shown]
	s_and_b32 s14, s21, -2
	s_mov_b64 s[0:1], 0
	v_mov_b32_e32 v3, 0
	s_branch .LBB181_19
.LBB181_18:                             ;   in Loop: Header=BB181_19 Depth=1
	s_or_b64 exec, exec, s[2:3]
	v_sub_u32_e32 v1, v1, v2
	v_cmp_gt_i32_e32 vcc, 0, v1
	s_or_b64 s[0:1], vcc, s[0:1]
	s_andn2_b64 exec, exec, s[0:1]
	s_cbranch_execz .LBB181_23
.LBB181_19:                             ; =>This Inner Loop Header: Depth=1
	v_add_u32_e32 v4, v1, v0
	v_ashrrev_i32_e32 v5, 31, v4
	s_waitcnt vmcnt(0)
	v_lshl_add_u64 v[6:7], v[4:5], 2, s[12:13]
	global_load_dword v2, v[6:7], off
	v_lshl_add_u64 v[6:7], v[4:5], 3, s[6:7]
	global_load_dwordx2 v[6:7], v[6:7], off
	s_waitcnt vmcnt(1)
	v_cmp_ne_u32_e32 vcc, 1, v2
	s_and_saveexec_b64 s[2:3], vcc
	s_xor_b64 s[2:3], exec, s[2:3]
	s_cbranch_execz .LBB181_21
; %bb.20:                               ;   in Loop: Header=BB181_19 Depth=1
	v_add_u32_e32 v5, v22, v1
	v_add_u32_e32 v2, s8, v5
	v_lshl_add_u64 v[8:9], v[2:3], 3, s[4:5]
	v_add_u32_e32 v2, s9, v5
	v_lshl_add_u64 v[10:11], v[2:3], 3, s[4:5]
	;; [unrolled: 2-line block ×5, first 2 shown]
	global_load_dwordx2 v[8:9], v[8:9], off
	s_waitcnt vmcnt(1)
	v_pk_add_f32 v[20:21], v[6:7], 0 neg_lo:[1,1] neg_hi:[1,1]
	global_load_dwordx2 v[18:19], v[16:17], off
	v_xor_b32_e32 v25, 0x80000000, v7
	v_mov_b32_e32 v24, v20
	v_pk_mov_b32 v[6:7], v[6:7], v[20:21] op_sel:[1,0]
	global_load_dwordx2 v[20:21], v[10:11], off
	global_load_dwordx2 v[26:27], v[12:13], off
	;; [unrolled: 1-line block ×3, first 2 shown]
	v_add_u32_e32 v2, s9, v4
	v_lshl_add_u64 v[10:11], v[2:3], 3, s[4:5]
	v_add_u32_e32 v2, s10, v4
	v_lshl_add_u64 v[14:15], v[2:3], 3, s[4:5]
	;; [unrolled: 2-line block ×3, first 2 shown]
	v_subrev_u32_e32 v2, s20, v1
	s_waitcnt vmcnt(3)
	v_pk_fma_f32 v[12:13], v[24:25], v[8:9], v[18:19] op_sel_hi:[1,0,1]
	s_nop 0
	v_pk_fma_f32 v[12:13], v[6:7], v[8:9], v[12:13] op_sel:[0,1,0]
	global_store_dwordx2 v[16:17], v[12:13], off
	global_load_dwordx2 v[12:13], v[10:11], off
	s_waitcnt vmcnt(0)
	v_pk_fma_f32 v[12:13], v[24:25], v[20:21], v[12:13] op_sel_hi:[1,0,1]
	s_nop 0
	v_pk_fma_f32 v[12:13], v[6:7], v[20:21], v[12:13] op_sel:[0,1,0]
	global_store_dwordx2 v[10:11], v[12:13], off
	global_load_dwordx2 v[10:11], v[14:15], off
	v_add_u32_e32 v12, v2, v0
	v_ashrrev_i32_e32 v13, 31, v12
	v_add_u32_e32 v2, s8, v12
	v_lshl_add_u64 v[16:17], v[2:3], 3, s[4:5]
	v_add_u32_e32 v2, s9, v12
	s_waitcnt vmcnt(0)
	v_pk_fma_f32 v[10:11], v[24:25], v[26:27], v[10:11] op_sel_hi:[1,0,1]
	s_nop 0
	v_pk_fma_f32 v[10:11], v[6:7], v[26:27], v[10:11] op_sel:[0,1,0]
	global_store_dwordx2 v[14:15], v[10:11], off
	global_load_dwordx2 v[10:11], v[4:5], off
	v_lshl_add_u64 v[14:15], v[12:13], 3, s[6:7]
	global_load_dwordx2 v[14:15], v[14:15], off
	s_waitcnt vmcnt(1)
	v_pk_fma_f32 v[10:11], v[24:25], v[28:29], v[10:11] op_sel_hi:[1,0,1]
	s_nop 0
	v_pk_fma_f32 v[6:7], v[6:7], v[28:29], v[10:11] op_sel:[0,1,0]
	global_store_dwordx2 v[4:5], v[6:7], off
	global_load_dwordx2 v[4:5], v[16:17], off
	s_waitcnt vmcnt(2)
	v_pk_add_f32 v[10:11], v[14:15], 0 neg_lo:[1,1] neg_hi:[1,1]
	v_lshl_add_u64 v[6:7], v[2:3], 3, s[4:5]
	v_pk_mov_b32 v[10:11], v[14:15], v[10:11] op_sel:[1,0]
	v_add_u32_e32 v2, s10, v12
	s_waitcnt vmcnt(0)
	v_pk_fma_f32 v[4:5], v[14:15], v[8:9], v[4:5] op_sel_hi:[1,0,1] neg_lo:[1,0,0] neg_hi:[1,0,0]
	s_nop 0
	v_pk_fma_f32 v[4:5], v[10:11], v[8:9], v[4:5] op_sel:[0,1,0]
	global_store_dwordx2 v[16:17], v[4:5], off
	global_load_dwordx2 v[4:5], v[6:7], off
	v_lshl_add_u64 v[8:9], v[2:3], 3, s[4:5]
	v_add_u32_e32 v2, s11, v12
	s_waitcnt vmcnt(0)
	v_pk_fma_f32 v[4:5], v[14:15], v[20:21], v[4:5] op_sel_hi:[1,0,1] neg_lo:[1,0,0] neg_hi:[1,0,0]
	s_nop 0
	v_pk_fma_f32 v[4:5], v[10:11], v[20:21], v[4:5] op_sel:[0,1,0]
	global_store_dwordx2 v[6:7], v[4:5], off
	global_load_dwordx2 v[4:5], v[8:9], off
	v_lshl_add_u64 v[6:7], v[2:3], 3, s[4:5]
	s_waitcnt vmcnt(0)
	v_pk_fma_f32 v[4:5], v[14:15], v[26:27], v[4:5] op_sel_hi:[1,0,1] neg_lo:[1,0,0] neg_hi:[1,0,0]
	s_nop 0
	v_pk_fma_f32 v[4:5], v[10:11], v[26:27], v[4:5] op_sel:[0,1,0]
	global_store_dwordx2 v[8:9], v[4:5], off
	global_load_dwordx2 v[4:5], v[6:7], off
	s_waitcnt vmcnt(0)
	v_pk_fma_f32 v[4:5], v[14:15], v[28:29], v[4:5] op_sel_hi:[1,0,1] neg_lo:[1,0,0] neg_hi:[1,0,0]
	s_nop 0
	v_pk_fma_f32 v[4:5], v[10:11], v[28:29], v[4:5] op_sel:[0,1,0]
	global_store_dwordx2 v[6:7], v[4:5], off
                                        ; implicit-def: $vgpr4
                                        ; implicit-def: $vgpr6_vgpr7
.LBB181_21:                             ;   in Loop: Header=BB181_19 Depth=1
	s_or_saveexec_b64 s[2:3], s[2:3]
	v_mov_b32_e32 v2, s14
	s_xor_b64 exec, exec, s[2:3]
	s_cbranch_execz .LBB181_18
; %bb.22:                               ;   in Loop: Header=BB181_19 Depth=1
	v_add_u32_e32 v5, v22, v1
	v_add_u32_e32 v2, s8, v5
	v_lshl_add_u64 v[8:9], v[2:3], 3, s[4:5]
	v_add_u32_e32 v2, s8, v4
	v_lshl_add_u64 v[10:11], v[2:3], 3, s[4:5]
	global_load_dwordx2 v[12:13], v[8:9], off
	global_load_dwordx2 v[14:15], v[10:11], off
	s_waitcnt vmcnt(2)
	v_pk_add_f32 v[8:9], v[6:7], 0 neg_lo:[1,1] neg_hi:[1,1]
	v_xor_b32_e32 v17, 0x80000000, v7
	v_mov_b32_e32 v16, v8
	v_pk_mov_b32 v[8:9], v[6:7], v[8:9] op_sel:[1,0]
	v_add_u32_e32 v2, s9, v5
	v_lshl_add_u64 v[18:19], v[2:3], 3, s[4:5]
	v_add_u32_e32 v2, s9, v4
	v_lshl_add_u64 v[20:21], v[2:3], 3, s[4:5]
	v_add_u32_e32 v2, s10, v5
	s_waitcnt vmcnt(0)
	v_pk_fma_f32 v[14:15], v[16:17], v[12:13], v[14:15] op_sel_hi:[1,0,1]
	s_nop 0
	v_pk_fma_f32 v[12:13], v[8:9], v[12:13], v[14:15] op_sel:[0,1,0]
	global_store_dwordx2 v[10:11], v[12:13], off
	global_load_dwordx2 v[10:11], v[18:19], off
	s_nop 0
	global_load_dwordx2 v[12:13], v[20:21], off
	v_lshl_add_u64 v[14:15], v[2:3], 3, s[4:5]
	v_add_u32_e32 v2, s10, v4
	v_lshl_add_u64 v[18:19], v[2:3], 3, s[4:5]
	v_add_u32_e32 v2, s11, v5
	s_waitcnt vmcnt(0)
	v_pk_fma_f32 v[12:13], v[16:17], v[10:11], v[12:13] op_sel_hi:[1,0,1]
	s_nop 0
	v_pk_fma_f32 v[10:11], v[8:9], v[10:11], v[12:13] op_sel:[0,1,0]
	global_store_dwordx2 v[20:21], v[10:11], off
	global_load_dwordx2 v[10:11], v[14:15], off
	s_nop 0
	global_load_dwordx2 v[12:13], v[18:19], off
	v_lshl_add_u64 v[14:15], v[2:3], 3, s[4:5]
	v_add_u32_e32 v2, s11, v4
	v_lshl_add_u64 v[4:5], v[2:3], 3, s[4:5]
	v_mov_b32_e32 v2, s20
	s_waitcnt vmcnt(0)
	v_pk_fma_f32 v[12:13], v[16:17], v[10:11], v[12:13] op_sel_hi:[1,0,1]
	s_nop 0
	v_pk_fma_f32 v[10:11], v[8:9], v[10:11], v[12:13] op_sel:[0,1,0]
	global_store_dwordx2 v[18:19], v[10:11], off
	global_load_dwordx2 v[10:11], v[14:15], off
	s_nop 0
	global_load_dwordx2 v[12:13], v[4:5], off
	s_waitcnt vmcnt(0)
	v_pk_fma_f32 v[6:7], v[6:7], v[10:11], v[12:13] op_sel_hi:[1,0,1] neg_lo:[1,0,0] neg_hi:[1,0,0]
	s_nop 0
	v_pk_fma_f32 v[6:7], v[8:9], v[10:11], v[6:7] op_sel:[0,1,0]
	global_store_dwordx2 v[4:5], v[6:7], off
	s_branch .LBB181_18
.LBB181_23:
	s_endpgm
	.section	.rodata,"a",@progbits
	.p2align	6, 0x0
	.amdhsa_kernel _ZN9rocsparseL19gtsv_LBM_rhs_kernelILj256ELj2ELj4E21rocsparse_complex_numIfEEEviiiPKT2_S5_S5_PS3_S5_PKi
		.amdhsa_group_segment_fixed_size 0
		.amdhsa_private_segment_fixed_size 0
		.amdhsa_kernarg_size 64
		.amdhsa_user_sgpr_count 2
		.amdhsa_user_sgpr_dispatch_ptr 0
		.amdhsa_user_sgpr_queue_ptr 0
		.amdhsa_user_sgpr_kernarg_segment_ptr 1
		.amdhsa_user_sgpr_dispatch_id 0
		.amdhsa_user_sgpr_kernarg_preload_length 0
		.amdhsa_user_sgpr_kernarg_preload_offset 0
		.amdhsa_user_sgpr_private_segment_size 0
		.amdhsa_uses_dynamic_stack 0
		.amdhsa_enable_private_segment 0
		.amdhsa_system_sgpr_workgroup_id_x 1
		.amdhsa_system_sgpr_workgroup_id_y 1
		.amdhsa_system_sgpr_workgroup_id_z 0
		.amdhsa_system_sgpr_workgroup_info 0
		.amdhsa_system_vgpr_workitem_id 0
		.amdhsa_next_free_vgpr 64
		.amdhsa_next_free_sgpr 28
		.amdhsa_accum_offset 64
		.amdhsa_reserve_vcc 1
		.amdhsa_float_round_mode_32 0
		.amdhsa_float_round_mode_16_64 0
		.amdhsa_float_denorm_mode_32 3
		.amdhsa_float_denorm_mode_16_64 3
		.amdhsa_dx10_clamp 1
		.amdhsa_ieee_mode 1
		.amdhsa_fp16_overflow 0
		.amdhsa_tg_split 0
		.amdhsa_exception_fp_ieee_invalid_op 0
		.amdhsa_exception_fp_denorm_src 0
		.amdhsa_exception_fp_ieee_div_zero 0
		.amdhsa_exception_fp_ieee_overflow 0
		.amdhsa_exception_fp_ieee_underflow 0
		.amdhsa_exception_fp_ieee_inexact 0
		.amdhsa_exception_int_div_zero 0
	.end_amdhsa_kernel
	.section	.text._ZN9rocsparseL19gtsv_LBM_rhs_kernelILj256ELj2ELj4E21rocsparse_complex_numIfEEEviiiPKT2_S5_S5_PS3_S5_PKi,"axG",@progbits,_ZN9rocsparseL19gtsv_LBM_rhs_kernelILj256ELj2ELj4E21rocsparse_complex_numIfEEEviiiPKT2_S5_S5_PS3_S5_PKi,comdat
.Lfunc_end181:
	.size	_ZN9rocsparseL19gtsv_LBM_rhs_kernelILj256ELj2ELj4E21rocsparse_complex_numIfEEEviiiPKT2_S5_S5_PS3_S5_PKi, .Lfunc_end181-_ZN9rocsparseL19gtsv_LBM_rhs_kernelILj256ELj2ELj4E21rocsparse_complex_numIfEEEviiiPKT2_S5_S5_PS3_S5_PKi
                                        ; -- End function
	.set _ZN9rocsparseL19gtsv_LBM_rhs_kernelILj256ELj2ELj4E21rocsparse_complex_numIfEEEviiiPKT2_S5_S5_PS3_S5_PKi.num_vgpr, 64
	.set _ZN9rocsparseL19gtsv_LBM_rhs_kernelILj256ELj2ELj4E21rocsparse_complex_numIfEEEviiiPKT2_S5_S5_PS3_S5_PKi.num_agpr, 0
	.set _ZN9rocsparseL19gtsv_LBM_rhs_kernelILj256ELj2ELj4E21rocsparse_complex_numIfEEEviiiPKT2_S5_S5_PS3_S5_PKi.numbered_sgpr, 28
	.set _ZN9rocsparseL19gtsv_LBM_rhs_kernelILj256ELj2ELj4E21rocsparse_complex_numIfEEEviiiPKT2_S5_S5_PS3_S5_PKi.num_named_barrier, 0
	.set _ZN9rocsparseL19gtsv_LBM_rhs_kernelILj256ELj2ELj4E21rocsparse_complex_numIfEEEviiiPKT2_S5_S5_PS3_S5_PKi.private_seg_size, 0
	.set _ZN9rocsparseL19gtsv_LBM_rhs_kernelILj256ELj2ELj4E21rocsparse_complex_numIfEEEviiiPKT2_S5_S5_PS3_S5_PKi.uses_vcc, 1
	.set _ZN9rocsparseL19gtsv_LBM_rhs_kernelILj256ELj2ELj4E21rocsparse_complex_numIfEEEviiiPKT2_S5_S5_PS3_S5_PKi.uses_flat_scratch, 0
	.set _ZN9rocsparseL19gtsv_LBM_rhs_kernelILj256ELj2ELj4E21rocsparse_complex_numIfEEEviiiPKT2_S5_S5_PS3_S5_PKi.has_dyn_sized_stack, 0
	.set _ZN9rocsparseL19gtsv_LBM_rhs_kernelILj256ELj2ELj4E21rocsparse_complex_numIfEEEviiiPKT2_S5_S5_PS3_S5_PKi.has_recursion, 0
	.set _ZN9rocsparseL19gtsv_LBM_rhs_kernelILj256ELj2ELj4E21rocsparse_complex_numIfEEEviiiPKT2_S5_S5_PS3_S5_PKi.has_indirect_call, 0
	.section	.AMDGPU.csdata,"",@progbits
; Kernel info:
; codeLenInByte = 3140
; TotalNumSgprs: 34
; NumVgprs: 64
; NumAgprs: 0
; TotalNumVgprs: 64
; ScratchSize: 0
; MemoryBound: 0
; FloatMode: 240
; IeeeMode: 1
; LDSByteSize: 0 bytes/workgroup (compile time only)
; SGPRBlocks: 4
; VGPRBlocks: 7
; NumSGPRsForWavesPerEU: 34
; NumVGPRsForWavesPerEU: 64
; AccumOffset: 64
; Occupancy: 8
; WaveLimiterHint : 0
; COMPUTE_PGM_RSRC2:SCRATCH_EN: 0
; COMPUTE_PGM_RSRC2:USER_SGPR: 2
; COMPUTE_PGM_RSRC2:TRAP_HANDLER: 0
; COMPUTE_PGM_RSRC2:TGID_X_EN: 1
; COMPUTE_PGM_RSRC2:TGID_Y_EN: 1
; COMPUTE_PGM_RSRC2:TGID_Z_EN: 0
; COMPUTE_PGM_RSRC2:TIDIG_COMP_CNT: 0
; COMPUTE_PGM_RSRC3_GFX90A:ACCUM_OFFSET: 15
; COMPUTE_PGM_RSRC3_GFX90A:TG_SPLIT: 0
	.section	.text._ZN9rocsparseL19gtsv_LBM_rhs_kernelILj256ELj2ELj2E21rocsparse_complex_numIfEEEviiiPKT2_S5_S5_PS3_S5_PKi,"axG",@progbits,_ZN9rocsparseL19gtsv_LBM_rhs_kernelILj256ELj2ELj2E21rocsparse_complex_numIfEEEviiiPKT2_S5_S5_PS3_S5_PKi,comdat
	.globl	_ZN9rocsparseL19gtsv_LBM_rhs_kernelILj256ELj2ELj2E21rocsparse_complex_numIfEEEviiiPKT2_S5_S5_PS3_S5_PKi ; -- Begin function _ZN9rocsparseL19gtsv_LBM_rhs_kernelILj256ELj2ELj2E21rocsparse_complex_numIfEEEviiiPKT2_S5_S5_PS3_S5_PKi
	.p2align	8
	.type	_ZN9rocsparseL19gtsv_LBM_rhs_kernelILj256ELj2ELj2E21rocsparse_complex_numIfEEEviiiPKT2_S5_S5_PS3_S5_PKi,@function
_ZN9rocsparseL19gtsv_LBM_rhs_kernelILj256ELj2ELj2E21rocsparse_complex_numIfEEEviiiPKT2_S5_S5_PS3_S5_PKi: ; @_ZN9rocsparseL19gtsv_LBM_rhs_kernelILj256ELj2ELj2E21rocsparse_complex_numIfEEEviiiPKT2_S5_S5_PS3_S5_PKi
; %bb.0:
	s_load_dword s21, s[0:1], 0x0
	v_lshl_or_b32 v0, s2, 8, v0
	s_waitcnt lgkmcnt(0)
	s_lshr_b32 s20, s21, 1
	v_cmp_gt_i32_e32 vcc, s20, v0
	s_and_saveexec_b64 s[4:5], vcc
	s_cbranch_execz .LBB182_23
; %bb.1:
	s_load_dwordx4 s[4:7], s[0:1], 0x28
	s_load_dwordx2 s[12:13], s[0:1], 0x38
	s_cmp_lt_i32 s21, 1
	v_add_u32_e32 v18, s20, v0
	s_mul_i32 s22, s3, s21
	s_cbranch_scc1 .LBB182_15
; %bb.2:
	s_load_dwordx4 s[8:11], s[0:1], 0x10
	s_load_dwordx2 s[14:15], s[0:1], 0x20
	v_ashrrev_i32_e32 v1, 31, v0
	s_lshl_b32 s23, s22, 1
	s_add_i32 s24, s23, s21
	s_waitcnt lgkmcnt(0)
	v_lshl_add_u64 v[2:3], v[0:1], 3, s[10:11]
	global_load_dwordx2 v[8:9], v[2:3], off
	s_and_b32 s25, s21, 0x7ffffffe
	v_mov_b32_e32 v20, 0
	s_mov_b64 s[16:17], 0
	v_mov_b32_e32 v1, 0
	s_branch .LBB182_5
.LBB182_3:                              ;   in Loop: Header=BB182_5 Depth=1
	s_or_b64 exec, exec, s[18:19]
	v_mov_b32_e32 v11, v4
	v_pk_mul_f32 v[10:11], v[2:3], v[10:11] op_sel:[1,0]
	s_nop 0
	v_pk_fma_f32 v[2:3], v[4:5], v[2:3], v[10:11] op_sel_hi:[1,0,1]
	v_mov_b32_e32 v11, s20
	v_xor_b32_e32 v4, 0x80000000, v3
	v_mov_b32_e32 v5, v2
	v_pk_mul_f32 v[4:5], v[12:13], v[4:5] op_sel_hi:[0,1]
	v_pk_fma_f32 v[2:3], v[2:3], v[8:9], v[4:5] op_sel_hi:[1,0,1]
	s_nop 0
	v_pk_add_f32 v[16:17], v[6:7], v[2:3] neg_lo:[0,1] neg_hi:[0,1]
.LBB182_4:                              ;   in Loop: Header=BB182_5 Depth=1
	s_or_b64 exec, exec, s[2:3]
	v_add_u32_e32 v1, v11, v1
	v_cmp_le_i32_e32 vcc, s21, v1
	s_or_b64 s[16:17], vcc, s[16:17]
	v_mov_b64_e32 v[8:9], v[16:17]
	s_andn2_b64 exec, exec, s[16:17]
	s_cbranch_execz .LBB182_14
.LBB182_5:                              ; =>This Inner Loop Header: Depth=1
	v_add_u32_e32 v10, v1, v0
	v_ashrrev_i32_e32 v11, 31, v10
	v_lshl_add_u64 v[2:3], v[10:11], 3, s[14:15]
	global_load_dwordx2 v[2:3], v[2:3], off
	v_cmp_gt_u32_e64 s[0:1], s20, v1
	v_mov_b32_e32 v4, 0
	v_mov_b32_e32 v5, 0
	s_and_saveexec_b64 s[2:3], s[0:1]
	s_cbranch_execz .LBB182_7
; %bb.6:                                ;   in Loop: Header=BB182_5 Depth=1
	v_add_u32_e32 v4, v18, v1
	v_ashrrev_i32_e32 v5, 31, v4
	v_lshl_add_u64 v[4:5], v[4:5], 3, s[8:9]
	global_load_dwordx2 v[4:5], v[4:5], off
.LBB182_7:                              ;   in Loop: Header=BB182_5 Depth=1
	s_or_b64 exec, exec, s[2:3]
	v_mov_b32_e32 v6, 0
	v_mov_b32_e32 v7, v6
	s_and_saveexec_b64 s[2:3], s[0:1]
	s_cbranch_execz .LBB182_9
; %bb.8:                                ;   in Loop: Header=BB182_5 Depth=1
	v_add_u32_e32 v6, v18, v1
	v_ashrrev_i32_e32 v7, 31, v6
	v_lshl_add_u64 v[6:7], v[6:7], 3, s[10:11]
	global_load_dwordx2 v[6:7], v[6:7], off
.LBB182_9:                              ;   in Loop: Header=BB182_5 Depth=1
	s_or_b64 exec, exec, s[2:3]
	v_lshl_add_u64 v[12:13], v[10:11], 2, s[12:13]
	global_load_dword v11, v[12:13], off
	v_cmp_ne_u32_e32 vcc, s20, v1
	v_add_u32_e32 v14, s23, v10
	v_add_u32_e32 v12, s24, v10
	s_waitcnt vmcnt(1)
	v_xor_b32_e32 v10, 0x80000000, v5
	s_waitcnt vmcnt(0)
	v_cmp_ne_u32_e64 s[2:3], 1, v11
	s_and_b64 s[2:3], vcc, s[2:3]
	s_and_saveexec_b64 s[18:19], s[2:3]
	s_xor_b64 s[2:3], exec, s[18:19]
	s_cbranch_execz .LBB182_11
; %bb.10:                               ;   in Loop: Header=BB182_5 Depth=1
	v_mov_b32_e32 v15, v20
	v_add_u32_e32 v11, v18, v1
	v_lshl_add_u64 v[14:15], v[14:15], 3, s[4:5]
	v_mov_b32_e32 v13, v20
	v_add_u32_e32 v24, s23, v11
	v_mov_b32_e32 v25, v20
	v_add_u32_e32 v28, s24, v11
	v_mov_b32_e32 v29, v20
	v_lshl_add_u64 v[12:13], v[12:13], 3, s[4:5]
	global_load_dwordx2 v[16:17], v[14:15], off
	global_load_dwordx2 v[22:23], v[12:13], off
	v_lshl_add_u64 v[24:25], v[24:25], 3, s[4:5]
	v_lshl_add_u64 v[28:29], v[28:29], 3, s[4:5]
	global_load_dwordx2 v[26:27], v[24:25], off
	global_load_dwordx2 v[30:31], v[28:29], off
	v_xor_b32_e32 v32, 0x80000000, v9
	v_mov_b32_e32 v33, v8
	v_mov_b32_e32 v11, v4
	v_pk_mul_f32 v[40:41], v[6:7], v[32:33] op_sel:[1,0]
	v_pk_mul_f32 v[10:11], v[2:3], v[10:11] op_sel:[1,0]
	v_pk_fma_f32 v[40:41], v[8:9], v[6:7], v[40:41] op_sel_hi:[1,0,1]
	v_pk_fma_f32 v[10:11], v[4:5], v[2:3], v[10:11] op_sel_hi:[1,0,1]
	v_xor_b32_e32 v34, 0x80000000, v7
	v_pk_add_f32 v[10:11], v[40:41], v[10:11] neg_lo:[0,1] neg_hi:[0,1]
	v_pk_add_f32 v[38:39], v[4:5], 0 neg_lo:[1,1] neg_hi:[1,1]
	v_mul_f32_e32 v19, v11, v11
	v_fmac_f32_e32 v19, v10, v10
	v_div_scale_f32 v40, s[18:19], v19, v19, 1.0
	v_rcp_f32_e32 v41, v40
	v_fma_f32 v21, 0, v11, v10
	v_fma_f32 v10, v10, 0, -v11
	v_div_scale_f32 v11, vcc, 1.0, v19, 1.0
	v_fma_f32 v42, -v40, v41, 1.0
	v_fmac_f32_e32 v41, v42, v41
	v_mul_f32_e32 v42, v11, v41
	v_fma_f32 v43, -v40, v42, v11
	v_fmac_f32_e32 v42, v43, v41
	v_fma_f32 v11, -v40, v42, v11
	v_div_fmas_f32 v11, v11, v41, v42
	v_div_fixup_f32 v11, v11, v19, 1.0
	v_mul_f32_e32 v19, v21, v11
	v_mul_f32_e32 v11, v10, v11
	v_mov_b32_e32 v35, v6
	v_xor_b32_e32 v36, 0x80000000, v3
	v_mov_b32_e32 v37, v2
	v_pk_mov_b32 v[38:39], v[4:5], v[38:39] op_sel:[1,0]
	s_waitcnt vmcnt(3)
	v_mul_f32_e64 v10, v11, -v17
	v_mul_f32_e32 v40, v11, v16
	s_waitcnt vmcnt(2)
	v_mul_f32_e64 v42, v11, -v23
	v_mul_f32_e32 v44, v11, v22
	v_fmac_f32_e32 v10, v16, v19
	v_fmac_f32_e32 v40, v17, v19
	;; [unrolled: 1-line block ×4, first 2 shown]
	s_waitcnt vmcnt(1)
	v_mul_f32_e64 v16, v11, -v27
	v_mul_f32_e32 v22, v11, v26
	s_waitcnt vmcnt(0)
	v_mul_f32_e64 v46, v11, -v31
	v_mul_f32_e32 v48, v11, v30
	v_fmac_f32_e32 v16, v26, v19
	v_fmac_f32_e32 v22, v27, v19
	;; [unrolled: 1-line block ×4, first 2 shown]
	v_pk_mul_f32 v[26:27], v[40:41], v[34:35] op_sel_hi:[0,1]
	v_pk_mul_f32 v[30:31], v[44:45], v[34:35] op_sel_hi:[0,1]
	;; [unrolled: 1-line block ×4, first 2 shown]
	v_pk_fma_f32 v[26:27], v[6:7], v[10:11], v[26:27] op_sel_hi:[1,0,1]
	v_pk_mul_f32 v[40:41], v[22:23], v[36:37] op_sel_hi:[0,1]
	v_pk_fma_f32 v[6:7], v[6:7], v[42:43], v[30:31] op_sel_hi:[1,0,1]
	v_pk_mul_f32 v[30:31], v[48:49], v[36:37] op_sel_hi:[0,1]
	v_pk_mul_f32 v[22:23], v[22:23], v[32:33] op_sel_hi:[0,1]
	;; [unrolled: 1-line block ×3, first 2 shown]
	v_pk_fma_f32 v[10:11], v[4:5], v[10:11], v[34:35] op_sel_hi:[1,0,1] neg_lo:[1,0,0] neg_hi:[1,0,0]
	v_pk_fma_f32 v[4:5], v[4:5], v[42:43], v[38:39] op_sel_hi:[1,0,1] neg_lo:[1,0,0] neg_hi:[1,0,0]
	v_pk_fma_f32 v[34:35], v[2:3], v[16:17], v[40:41] op_sel_hi:[1,0,1]
	v_pk_fma_f32 v[2:3], v[2:3], v[46:47], v[30:31] op_sel_hi:[1,0,1]
	;; [unrolled: 1-line block ×4, first 2 shown]
	v_pk_add_f32 v[22:23], v[26:27], v[34:35] neg_lo:[0,1] neg_hi:[0,1]
	v_pk_add_f32 v[2:3], v[6:7], v[2:3] neg_lo:[0,1] neg_hi:[0,1]
	v_pk_add_f32 v[6:7], v[10:11], v[16:17]
	v_pk_add_f32 v[4:5], v[4:5], v[8:9]
	global_store_dwordx2 v[14:15], v[22:23], off
	global_store_dwordx2 v[12:13], v[2:3], off
	;; [unrolled: 1-line block ×4, first 2 shown]
                                        ; implicit-def: $vgpr8_vgpr9
                                        ; implicit-def: $vgpr2_vgpr3
                                        ; implicit-def: $vgpr4
                                        ; implicit-def: $vgpr6_vgpr7
                                        ; implicit-def: $vgpr14
                                        ; implicit-def: $vgpr12
                                        ; implicit-def: $vgpr10
.LBB182_11:                             ;   in Loop: Header=BB182_5 Depth=1
	s_or_saveexec_b64 s[2:3], s[2:3]
	v_mov_b32_e32 v21, v20
	v_mov_b32_e32 v11, s25
	v_mov_b64_e32 v[16:17], v[20:21]
	s_xor_b64 exec, exec, s[2:3]
	s_cbranch_execz .LBB182_4
; %bb.12:                               ;   in Loop: Header=BB182_5 Depth=1
	v_mov_b32_e32 v15, v20
	v_lshl_add_u64 v[22:23], v[14:15], 3, s[4:5]
	v_mov_b32_e32 v13, v20
	v_lshl_add_u64 v[24:25], v[12:13], 3, s[4:5]
	global_load_dwordx2 v[14:15], v[22:23], off
	global_load_dwordx2 v[16:17], v[24:25], off
	v_mul_f32_e32 v11, v9, v9
	v_fmac_f32_e32 v11, v8, v8
	v_div_scale_f32 v13, s[18:19], v11, v11, 1.0
	v_rcp_f32_e32 v19, v13
	v_fma_f32 v12, 0, v9, v8
	v_fma_f32 v9, v8, 0, -v9
	v_div_scale_f32 v8, vcc, 1.0, v11, 1.0
	v_fma_f32 v21, -v13, v19, 1.0
	v_fmac_f32_e32 v19, v21, v19
	v_mul_f32_e32 v21, v8, v19
	v_fma_f32 v26, -v13, v21, v8
	v_fmac_f32_e32 v21, v26, v19
	v_fma_f32 v8, -v13, v21, v8
	v_div_fmas_f32 v8, v8, v19, v21
	v_div_fixup_f32 v11, v8, v11, 1.0
	v_mul_f32_e32 v8, v12, v11
	v_mul_f32_e32 v12, v9, v11
	s_waitcnt vmcnt(1)
	v_pk_mul_f32 v[26:27], v[12:13], v[14:15] op_sel:[0,1] op_sel_hi:[0,0] neg_lo:[0,1]
	s_waitcnt vmcnt(0)
	v_pk_mul_f32 v[28:29], v[12:13], v[16:17] op_sel:[0,1] op_sel_hi:[0,0] neg_lo:[0,1]
	v_pk_fma_f32 v[14:15], v[14:15], v[8:9], v[26:27] op_sel_hi:[1,0,1]
	v_pk_fma_f32 v[16:17], v[16:17], v[8:9], v[28:29] op_sel_hi:[1,0,1]
	global_store_dwordx2 v[22:23], v[14:15], off
	global_store_dwordx2 v[24:25], v[16:17], off
	s_and_saveexec_b64 s[18:19], s[0:1]
	s_cbranch_execz .LBB182_3
; %bb.13:                               ;   in Loop: Header=BB182_5 Depth=1
	v_add_u32_e32 v9, v18, v1
	v_add_u32_e32 v22, s23, v9
	v_mov_b32_e32 v23, v20
	v_lshl_add_u64 v[22:23], v[22:23], 3, s[4:5]
	v_add_u32_e32 v24, s24, v9
	v_mov_b32_e32 v25, v20
	v_lshl_add_u64 v[24:25], v[24:25], 3, s[4:5]
	global_load_dwordx2 v[26:27], v[22:23], off
	global_load_dwordx2 v[28:29], v[24:25], off
	v_xor_b32_e32 v30, 0x80000000, v4
	v_mov_b32_e32 v31, v10
	v_mov_b32_e32 v32, v5
	;; [unrolled: 1-line block ×3, first 2 shown]
	s_waitcnt vmcnt(1)
	v_pk_fma_f32 v[26:27], v[30:31], v[14:15], v[26:27] op_sel_hi:[1,0,1]
	s_waitcnt vmcnt(0)
	v_pk_fma_f32 v[28:29], v[30:31], v[16:17], v[28:29] op_sel_hi:[1,0,1]
	v_pk_fma_f32 v[14:15], v[32:33], v[14:15], v[26:27] op_sel:[0,1,0]
	v_pk_fma_f32 v[16:17], v[32:33], v[16:17], v[28:29] op_sel:[0,1,0]
	global_store_dwordx2 v[22:23], v[14:15], off
	global_store_dwordx2 v[24:25], v[16:17], off
	s_branch .LBB182_3
.LBB182_14:
	s_or_b64 exec, exec, s[16:17]
	s_branch .LBB182_16
.LBB182_15:
	v_mov_b32_e32 v1, 0
.LBB182_16:
	v_subrev_u32_e32 v1, s20, v1
	v_add_u32_e32 v2, v1, v0
	v_ashrrev_i32_e32 v3, 31, v2
	s_waitcnt lgkmcnt(0)
	v_lshl_add_u64 v[2:3], v[2:3], 2, s[12:13]
	buffer_wbl2 sc1
	s_waitcnt vmcnt(0)
	buffer_inv sc1
	global_load_dword v2, v[2:3], off
	s_waitcnt vmcnt(0)
	v_mul_lo_u32 v2, v2, s20
	v_sub_u32_e32 v1, v1, v2
	v_cmp_lt_i32_e32 vcc, -1, v1
	s_and_b64 exec, exec, vcc
	s_cbranch_execz .LBB182_23
; %bb.17:
	s_lshl_b32 s8, s22, 1
	s_add_i32 s9, s8, s21
	s_and_b32 s10, s21, -2
	s_mov_b64 s[0:1], 0
	v_mov_b32_e32 v3, 0
	s_branch .LBB182_19
.LBB182_18:                             ;   in Loop: Header=BB182_19 Depth=1
	s_or_b64 exec, exec, s[2:3]
	v_sub_u32_e32 v1, v1, v2
	v_cmp_gt_i32_e32 vcc, 0, v1
	s_or_b64 s[0:1], vcc, s[0:1]
	s_andn2_b64 exec, exec, s[0:1]
	s_cbranch_execz .LBB182_23
.LBB182_19:                             ; =>This Inner Loop Header: Depth=1
	v_add_u32_e32 v4, v1, v0
	v_ashrrev_i32_e32 v5, 31, v4
	s_waitcnt vmcnt(0)
	v_lshl_add_u64 v[6:7], v[4:5], 2, s[12:13]
	global_load_dword v2, v[6:7], off
	v_lshl_add_u64 v[6:7], v[4:5], 3, s[6:7]
	global_load_dwordx2 v[6:7], v[6:7], off
	s_waitcnt vmcnt(1)
	v_cmp_ne_u32_e32 vcc, 1, v2
	s_and_saveexec_b64 s[2:3], vcc
	s_xor_b64 s[2:3], exec, s[2:3]
	s_cbranch_execz .LBB182_21
; %bb.20:                               ;   in Loop: Header=BB182_19 Depth=1
	v_add_u32_e32 v5, v18, v1
	v_add_u32_e32 v2, s8, v5
	v_lshl_add_u64 v[8:9], v[2:3], 3, s[4:5]
	v_add_u32_e32 v2, s9, v5
	v_lshl_add_u64 v[10:11], v[2:3], 3, s[4:5]
	;; [unrolled: 2-line block ×3, first 2 shown]
	global_load_dwordx2 v[14:15], v[8:9], off
	global_load_dwordx2 v[16:17], v[12:13], off
	;; [unrolled: 1-line block ×3, first 2 shown]
	s_waitcnt vmcnt(3)
	v_pk_add_f32 v[8:9], v[6:7], 0 neg_lo:[1,1] neg_hi:[1,1]
	v_xor_b32_e32 v11, 0x80000000, v7
	v_mov_b32_e32 v10, v8
	v_pk_mov_b32 v[6:7], v[6:7], v[8:9] op_sel:[1,0]
	v_add_u32_e32 v2, s9, v4
	v_lshl_add_u64 v[4:5], v[2:3], 3, s[4:5]
	v_subrev_u32_e32 v2, s20, v1
	s_waitcnt vmcnt(1)
	v_pk_fma_f32 v[8:9], v[10:11], v[14:15], v[16:17] op_sel_hi:[1,0,1]
	s_nop 0
	v_pk_fma_f32 v[8:9], v[6:7], v[14:15], v[8:9] op_sel:[0,1,0]
	global_store_dwordx2 v[12:13], v[8:9], off
	global_load_dwordx2 v[8:9], v[4:5], off
	v_add_u32_e32 v12, v2, v0
	v_ashrrev_i32_e32 v13, 31, v12
	v_lshl_add_u64 v[16:17], v[12:13], 3, s[6:7]
	v_add_u32_e32 v2, s8, v12
	global_load_dwordx2 v[16:17], v[16:17], off
	v_lshl_add_u64 v[22:23], v[2:3], 3, s[4:5]
	v_add_u32_e32 v2, s9, v12
	s_waitcnt vmcnt(1)
	v_pk_fma_f32 v[8:9], v[10:11], v[20:21], v[8:9] op_sel_hi:[1,0,1]
	s_nop 0
	v_pk_fma_f32 v[6:7], v[6:7], v[20:21], v[8:9] op_sel:[0,1,0]
	global_store_dwordx2 v[4:5], v[6:7], off
	global_load_dwordx2 v[4:5], v[22:23], off
	v_lshl_add_u64 v[6:7], v[2:3], 3, s[4:5]
	s_waitcnt vmcnt(2)
	v_pk_add_f32 v[8:9], v[16:17], 0 neg_lo:[1,1] neg_hi:[1,1]
	s_waitcnt vmcnt(0)
	v_pk_fma_f32 v[4:5], v[16:17], v[14:15], v[4:5] op_sel_hi:[1,0,1] neg_lo:[1,0,0] neg_hi:[1,0,0]
	v_pk_mov_b32 v[8:9], v[16:17], v[8:9] op_sel:[1,0]
	s_nop 0
	v_pk_fma_f32 v[4:5], v[8:9], v[14:15], v[4:5] op_sel:[0,1,0]
	global_store_dwordx2 v[22:23], v[4:5], off
	global_load_dwordx2 v[4:5], v[6:7], off
	s_waitcnt vmcnt(0)
	v_pk_fma_f32 v[4:5], v[16:17], v[20:21], v[4:5] op_sel_hi:[1,0,1] neg_lo:[1,0,0] neg_hi:[1,0,0]
	s_nop 0
	v_pk_fma_f32 v[4:5], v[8:9], v[20:21], v[4:5] op_sel:[0,1,0]
	global_store_dwordx2 v[6:7], v[4:5], off
                                        ; implicit-def: $vgpr4
                                        ; implicit-def: $vgpr6_vgpr7
.LBB182_21:                             ;   in Loop: Header=BB182_19 Depth=1
	s_or_saveexec_b64 s[2:3], s[2:3]
	v_mov_b32_e32 v2, s10
	s_xor_b64 exec, exec, s[2:3]
	s_cbranch_execz .LBB182_18
; %bb.22:                               ;   in Loop: Header=BB182_19 Depth=1
	v_add_u32_e32 v5, v18, v1
	v_add_u32_e32 v2, s8, v5
	v_lshl_add_u64 v[8:9], v[2:3], 3, s[4:5]
	v_add_u32_e32 v2, s8, v4
	v_lshl_add_u64 v[10:11], v[2:3], 3, s[4:5]
	global_load_dwordx2 v[12:13], v[8:9], off
	global_load_dwordx2 v[14:15], v[10:11], off
	s_waitcnt vmcnt(2)
	v_pk_add_f32 v[8:9], v[6:7], 0 neg_lo:[1,1] neg_hi:[1,1]
	v_xor_b32_e32 v17, 0x80000000, v7
	v_mov_b32_e32 v16, v8
	v_pk_mov_b32 v[8:9], v[6:7], v[8:9] op_sel:[1,0]
	v_add_u32_e32 v2, s9, v5
	v_lshl_add_u64 v[20:21], v[2:3], 3, s[4:5]
	v_add_u32_e32 v2, s9, v4
	v_lshl_add_u64 v[4:5], v[2:3], 3, s[4:5]
	v_mov_b32_e32 v2, s20
	s_waitcnt vmcnt(0)
	v_pk_fma_f32 v[14:15], v[16:17], v[12:13], v[14:15] op_sel_hi:[1,0,1]
	s_nop 0
	v_pk_fma_f32 v[12:13], v[8:9], v[12:13], v[14:15] op_sel:[0,1,0]
	global_store_dwordx2 v[10:11], v[12:13], off
	global_load_dwordx2 v[10:11], v[20:21], off
	s_nop 0
	global_load_dwordx2 v[12:13], v[4:5], off
	s_waitcnt vmcnt(0)
	v_pk_fma_f32 v[6:7], v[6:7], v[10:11], v[12:13] op_sel_hi:[1,0,1] neg_lo:[1,0,0] neg_hi:[1,0,0]
	s_nop 0
	v_pk_fma_f32 v[6:7], v[8:9], v[10:11], v[6:7] op_sel:[0,1,0]
	global_store_dwordx2 v[4:5], v[6:7], off
	s_branch .LBB182_18
.LBB182_23:
	s_endpgm
	.section	.rodata,"a",@progbits
	.p2align	6, 0x0
	.amdhsa_kernel _ZN9rocsparseL19gtsv_LBM_rhs_kernelILj256ELj2ELj2E21rocsparse_complex_numIfEEEviiiPKT2_S5_S5_PS3_S5_PKi
		.amdhsa_group_segment_fixed_size 0
		.amdhsa_private_segment_fixed_size 0
		.amdhsa_kernarg_size 64
		.amdhsa_user_sgpr_count 2
		.amdhsa_user_sgpr_dispatch_ptr 0
		.amdhsa_user_sgpr_queue_ptr 0
		.amdhsa_user_sgpr_kernarg_segment_ptr 1
		.amdhsa_user_sgpr_dispatch_id 0
		.amdhsa_user_sgpr_kernarg_preload_length 0
		.amdhsa_user_sgpr_kernarg_preload_offset 0
		.amdhsa_user_sgpr_private_segment_size 0
		.amdhsa_uses_dynamic_stack 0
		.amdhsa_enable_private_segment 0
		.amdhsa_system_sgpr_workgroup_id_x 1
		.amdhsa_system_sgpr_workgroup_id_y 1
		.amdhsa_system_sgpr_workgroup_id_z 0
		.amdhsa_system_sgpr_workgroup_info 0
		.amdhsa_system_vgpr_workitem_id 0
		.amdhsa_next_free_vgpr 50
		.amdhsa_next_free_sgpr 26
		.amdhsa_accum_offset 52
		.amdhsa_reserve_vcc 1
		.amdhsa_float_round_mode_32 0
		.amdhsa_float_round_mode_16_64 0
		.amdhsa_float_denorm_mode_32 3
		.amdhsa_float_denorm_mode_16_64 3
		.amdhsa_dx10_clamp 1
		.amdhsa_ieee_mode 1
		.amdhsa_fp16_overflow 0
		.amdhsa_tg_split 0
		.amdhsa_exception_fp_ieee_invalid_op 0
		.amdhsa_exception_fp_denorm_src 0
		.amdhsa_exception_fp_ieee_div_zero 0
		.amdhsa_exception_fp_ieee_overflow 0
		.amdhsa_exception_fp_ieee_underflow 0
		.amdhsa_exception_fp_ieee_inexact 0
		.amdhsa_exception_int_div_zero 0
	.end_amdhsa_kernel
	.section	.text._ZN9rocsparseL19gtsv_LBM_rhs_kernelILj256ELj2ELj2E21rocsparse_complex_numIfEEEviiiPKT2_S5_S5_PS3_S5_PKi,"axG",@progbits,_ZN9rocsparseL19gtsv_LBM_rhs_kernelILj256ELj2ELj2E21rocsparse_complex_numIfEEEviiiPKT2_S5_S5_PS3_S5_PKi,comdat
.Lfunc_end182:
	.size	_ZN9rocsparseL19gtsv_LBM_rhs_kernelILj256ELj2ELj2E21rocsparse_complex_numIfEEEviiiPKT2_S5_S5_PS3_S5_PKi, .Lfunc_end182-_ZN9rocsparseL19gtsv_LBM_rhs_kernelILj256ELj2ELj2E21rocsparse_complex_numIfEEEviiiPKT2_S5_S5_PS3_S5_PKi
                                        ; -- End function
	.set _ZN9rocsparseL19gtsv_LBM_rhs_kernelILj256ELj2ELj2E21rocsparse_complex_numIfEEEviiiPKT2_S5_S5_PS3_S5_PKi.num_vgpr, 50
	.set _ZN9rocsparseL19gtsv_LBM_rhs_kernelILj256ELj2ELj2E21rocsparse_complex_numIfEEEviiiPKT2_S5_S5_PS3_S5_PKi.num_agpr, 0
	.set _ZN9rocsparseL19gtsv_LBM_rhs_kernelILj256ELj2ELj2E21rocsparse_complex_numIfEEEviiiPKT2_S5_S5_PS3_S5_PKi.numbered_sgpr, 26
	.set _ZN9rocsparseL19gtsv_LBM_rhs_kernelILj256ELj2ELj2E21rocsparse_complex_numIfEEEviiiPKT2_S5_S5_PS3_S5_PKi.num_named_barrier, 0
	.set _ZN9rocsparseL19gtsv_LBM_rhs_kernelILj256ELj2ELj2E21rocsparse_complex_numIfEEEviiiPKT2_S5_S5_PS3_S5_PKi.private_seg_size, 0
	.set _ZN9rocsparseL19gtsv_LBM_rhs_kernelILj256ELj2ELj2E21rocsparse_complex_numIfEEEviiiPKT2_S5_S5_PS3_S5_PKi.uses_vcc, 1
	.set _ZN9rocsparseL19gtsv_LBM_rhs_kernelILj256ELj2ELj2E21rocsparse_complex_numIfEEEviiiPKT2_S5_S5_PS3_S5_PKi.uses_flat_scratch, 0
	.set _ZN9rocsparseL19gtsv_LBM_rhs_kernelILj256ELj2ELj2E21rocsparse_complex_numIfEEEviiiPKT2_S5_S5_PS3_S5_PKi.has_dyn_sized_stack, 0
	.set _ZN9rocsparseL19gtsv_LBM_rhs_kernelILj256ELj2ELj2E21rocsparse_complex_numIfEEEviiiPKT2_S5_S5_PS3_S5_PKi.has_recursion, 0
	.set _ZN9rocsparseL19gtsv_LBM_rhs_kernelILj256ELj2ELj2E21rocsparse_complex_numIfEEEviiiPKT2_S5_S5_PS3_S5_PKi.has_indirect_call, 0
	.section	.AMDGPU.csdata,"",@progbits
; Kernel info:
; codeLenInByte = 2120
; TotalNumSgprs: 32
; NumVgprs: 50
; NumAgprs: 0
; TotalNumVgprs: 50
; ScratchSize: 0
; MemoryBound: 0
; FloatMode: 240
; IeeeMode: 1
; LDSByteSize: 0 bytes/workgroup (compile time only)
; SGPRBlocks: 3
; VGPRBlocks: 6
; NumSGPRsForWavesPerEU: 32
; NumVGPRsForWavesPerEU: 50
; AccumOffset: 52
; Occupancy: 8
; WaveLimiterHint : 0
; COMPUTE_PGM_RSRC2:SCRATCH_EN: 0
; COMPUTE_PGM_RSRC2:USER_SGPR: 2
; COMPUTE_PGM_RSRC2:TRAP_HANDLER: 0
; COMPUTE_PGM_RSRC2:TGID_X_EN: 1
; COMPUTE_PGM_RSRC2:TGID_Y_EN: 1
; COMPUTE_PGM_RSRC2:TGID_Z_EN: 0
; COMPUTE_PGM_RSRC2:TIDIG_COMP_CNT: 0
; COMPUTE_PGM_RSRC3_GFX90A:ACCUM_OFFSET: 12
; COMPUTE_PGM_RSRC3_GFX90A:TG_SPLIT: 0
	.section	.text._ZN9rocsparseL19gtsv_LBM_rhs_kernelILj256ELj2ELj1E21rocsparse_complex_numIfEEEviiiPKT2_S5_S5_PS3_S5_PKi,"axG",@progbits,_ZN9rocsparseL19gtsv_LBM_rhs_kernelILj256ELj2ELj1E21rocsparse_complex_numIfEEEviiiPKT2_S5_S5_PS3_S5_PKi,comdat
	.globl	_ZN9rocsparseL19gtsv_LBM_rhs_kernelILj256ELj2ELj1E21rocsparse_complex_numIfEEEviiiPKT2_S5_S5_PS3_S5_PKi ; -- Begin function _ZN9rocsparseL19gtsv_LBM_rhs_kernelILj256ELj2ELj1E21rocsparse_complex_numIfEEEviiiPKT2_S5_S5_PS3_S5_PKi
	.p2align	8
	.type	_ZN9rocsparseL19gtsv_LBM_rhs_kernelILj256ELj2ELj1E21rocsparse_complex_numIfEEEviiiPKT2_S5_S5_PS3_S5_PKi,@function
_ZN9rocsparseL19gtsv_LBM_rhs_kernelILj256ELj2ELj1E21rocsparse_complex_numIfEEEviiiPKT2_S5_S5_PS3_S5_PKi: ; @_ZN9rocsparseL19gtsv_LBM_rhs_kernelILj256ELj2ELj1E21rocsparse_complex_numIfEEEviiiPKT2_S5_S5_PS3_S5_PKi
; %bb.0:
	s_load_dword s22, s[0:1], 0x0
	v_lshl_or_b32 v0, s2, 8, v0
	s_waitcnt lgkmcnt(0)
	s_lshr_b32 s20, s22, 1
	v_cmp_gt_i32_e32 vcc, s20, v0
	s_and_saveexec_b64 s[4:5], vcc
	s_cbranch_execz .LBB183_23
; %bb.1:
	s_load_dwordx4 s[4:7], s[0:1], 0x28
	s_load_dwordx2 s[12:13], s[0:1], 0x38
	s_cmp_lt_i32 s22, 1
	s_mul_i32 s21, s22, s3
	s_cbranch_scc1 .LBB183_15
; %bb.2:
	s_load_dwordx4 s[8:11], s[0:1], 0x10
	s_load_dwordx2 s[14:15], s[0:1], 0x20
	v_ashrrev_i32_e32 v1, 31, v0
	v_add_u32_e32 v16, s20, v0
	v_add_u32_e32 v17, s21, v16
	s_waitcnt lgkmcnt(0)
	v_lshl_add_u64 v[2:3], v[0:1], 3, s[10:11]
	global_load_dwordx2 v[6:7], v[2:3], off
	s_and_b32 s23, s22, 0x7ffffffe
	v_mov_b32_e32 v18, 0
	s_mov_b64 s[16:17], 0
	v_mov_b32_e32 v1, 0
	s_branch .LBB183_5
.LBB183_3:                              ;   in Loop: Header=BB183_5 Depth=1
	s_or_b64 exec, exec, s[18:19]
	v_mov_b32_e32 v11, v4
	v_pk_mul_f32 v[10:11], v[2:3], v[10:11] op_sel:[1,0]
	s_nop 0
	v_pk_fma_f32 v[2:3], v[4:5], v[2:3], v[10:11] op_sel_hi:[1,0,1]
	v_mov_b32_e32 v11, s20
	v_xor_b32_e32 v4, 0x80000000, v3
	v_mov_b32_e32 v5, v2
	v_pk_mul_f32 v[4:5], v[6:7], v[4:5] op_sel_hi:[0,1]
	v_pk_fma_f32 v[2:3], v[2:3], v[12:13], v[4:5] op_sel_hi:[1,0,1]
	s_nop 0
	v_pk_add_f32 v[14:15], v[8:9], v[2:3] neg_lo:[0,1] neg_hi:[0,1]
.LBB183_4:                              ;   in Loop: Header=BB183_5 Depth=1
	s_or_b64 exec, exec, s[2:3]
	v_add_u32_e32 v1, v11, v1
	v_cmp_le_i32_e32 vcc, s22, v1
	s_or_b64 s[16:17], vcc, s[16:17]
	v_mov_b64_e32 v[6:7], v[14:15]
	s_andn2_b64 exec, exec, s[16:17]
	s_cbranch_execz .LBB183_14
.LBB183_5:                              ; =>This Inner Loop Header: Depth=1
	v_add_u32_e32 v10, v1, v0
	v_ashrrev_i32_e32 v11, 31, v10
	v_lshl_add_u64 v[2:3], v[10:11], 3, s[14:15]
	global_load_dwordx2 v[2:3], v[2:3], off
	v_cmp_gt_u32_e64 s[0:1], s20, v1
	v_add_u32_e32 v12, v16, v1
	v_mov_b32_e32 v4, 0
	v_mov_b32_e32 v5, 0
	s_and_saveexec_b64 s[2:3], s[0:1]
	s_cbranch_execz .LBB183_7
; %bb.6:                                ;   in Loop: Header=BB183_5 Depth=1
	v_ashrrev_i32_e32 v13, 31, v12
	v_lshl_add_u64 v[4:5], v[12:13], 3, s[8:9]
	global_load_dwordx2 v[4:5], v[4:5], off
.LBB183_7:                              ;   in Loop: Header=BB183_5 Depth=1
	s_or_b64 exec, exec, s[2:3]
	v_mov_b32_e32 v8, 0
	v_mov_b32_e32 v9, v8
	s_and_saveexec_b64 s[2:3], s[0:1]
	s_cbranch_execz .LBB183_9
; %bb.8:                                ;   in Loop: Header=BB183_5 Depth=1
	v_ashrrev_i32_e32 v13, 31, v12
	v_lshl_add_u64 v[8:9], v[12:13], 3, s[10:11]
	global_load_dwordx2 v[8:9], v[8:9], off
.LBB183_9:                              ;   in Loop: Header=BB183_5 Depth=1
	s_or_b64 exec, exec, s[2:3]
	v_lshl_add_u64 v[12:13], v[10:11], 2, s[12:13]
	global_load_dword v11, v[12:13], off
	v_cmp_ne_u32_e32 vcc, s20, v1
	v_add_u32_e32 v12, s21, v10
	s_waitcnt vmcnt(1)
	v_xor_b32_e32 v10, 0x80000000, v5
	s_waitcnt vmcnt(0)
	v_cmp_ne_u32_e64 s[2:3], 1, v11
	s_and_b64 s[2:3], vcc, s[2:3]
	s_and_saveexec_b64 s[18:19], s[2:3]
	s_xor_b64 s[2:3], exec, s[18:19]
	s_cbranch_execz .LBB183_11
; %bb.10:                               ;   in Loop: Header=BB183_5 Depth=1
	v_mov_b32_e32 v13, v18
	v_add_u32_e32 v20, v17, v1
	v_mov_b32_e32 v21, v18
	v_lshl_add_u64 v[12:13], v[12:13], 3, s[4:5]
	v_lshl_add_u64 v[20:21], v[20:21], 3, s[4:5]
	global_load_dwordx2 v[14:15], v[12:13], off
	global_load_dwordx2 v[22:23], v[20:21], off
	v_xor_b32_e32 v24, 0x80000000, v7
	v_mov_b32_e32 v25, v6
	v_mov_b32_e32 v11, v4
	v_pk_mul_f32 v[32:33], v[8:9], v[24:25] op_sel:[1,0]
	v_pk_mul_f32 v[10:11], v[2:3], v[10:11] op_sel:[1,0]
	v_pk_fma_f32 v[32:33], v[6:7], v[8:9], v[32:33] op_sel_hi:[1,0,1]
	v_pk_fma_f32 v[10:11], v[4:5], v[2:3], v[10:11] op_sel_hi:[1,0,1]
	v_pk_add_f32 v[30:31], v[4:5], 0 neg_lo:[1,1] neg_hi:[1,1]
	v_pk_add_f32 v[10:11], v[32:33], v[10:11] neg_lo:[0,1] neg_hi:[0,1]
	v_xor_b32_e32 v26, 0x80000000, v9
	v_mul_f32_e32 v19, v11, v11
	v_fmac_f32_e32 v19, v10, v10
	v_div_scale_f32 v33, s[18:19], v19, v19, 1.0
	v_rcp_f32_e32 v34, v33
	v_fma_f32 v32, 0, v11, v10
	v_fma_f32 v10, v10, 0, -v11
	v_div_scale_f32 v11, vcc, 1.0, v19, 1.0
	v_fma_f32 v35, -v33, v34, 1.0
	v_fmac_f32_e32 v34, v35, v34
	v_mul_f32_e32 v35, v11, v34
	v_fma_f32 v36, -v33, v35, v11
	v_fmac_f32_e32 v35, v36, v34
	v_fma_f32 v11, -v33, v35, v11
	v_div_fmas_f32 v11, v11, v34, v35
	v_div_fixup_f32 v11, v11, v19, 1.0
	v_mul_f32_e32 v19, v32, v11
	v_mul_f32_e32 v11, v10, v11
	v_xor_b32_e32 v28, 0x80000000, v3
	v_mov_b32_e32 v27, v8
	v_mov_b32_e32 v29, v2
	v_pk_mov_b32 v[30:31], v[4:5], v[30:31] op_sel:[1,0]
	s_waitcnt vmcnt(1)
	v_mul_f32_e32 v32, v11, v14
	s_waitcnt vmcnt(0)
	v_mul_f32_e32 v36, v11, v22
	v_mul_f32_e64 v10, v11, -v15
	v_mul_f32_e64 v34, v11, -v23
	v_fmac_f32_e32 v32, v15, v19
	v_fmac_f32_e32 v36, v23, v19
	;; [unrolled: 1-line block ×4, first 2 shown]
	v_pk_mul_f32 v[14:15], v[32:33], v[26:27] op_sel_hi:[0,1]
	v_pk_mul_f32 v[22:23], v[36:37], v[28:29] op_sel_hi:[0,1]
	;; [unrolled: 1-line block ×4, first 2 shown]
	v_pk_fma_f32 v[8:9], v[8:9], v[10:11], v[14:15] op_sel_hi:[1,0,1]
	v_pk_fma_f32 v[2:3], v[2:3], v[34:35], v[22:23] op_sel_hi:[1,0,1]
	v_pk_fma_f32 v[4:5], v[4:5], v[10:11], v[26:27] op_sel_hi:[1,0,1] neg_lo:[1,0,0] neg_hi:[1,0,0]
	v_pk_fma_f32 v[6:7], v[6:7], v[34:35], v[24:25] op_sel_hi:[1,0,1]
	v_pk_add_f32 v[2:3], v[8:9], v[2:3] neg_lo:[0,1] neg_hi:[0,1]
	v_pk_add_f32 v[4:5], v[4:5], v[6:7]
	global_store_dwordx2 v[12:13], v[2:3], off
	global_store_dwordx2 v[20:21], v[4:5], off
                                        ; implicit-def: $vgpr10
                                        ; implicit-def: $vgpr4
                                        ; implicit-def: $vgpr2_vgpr3
                                        ; implicit-def: $vgpr8_vgpr9
                                        ; implicit-def: $vgpr6_vgpr7
                                        ; implicit-def: $vgpr12
.LBB183_11:                             ;   in Loop: Header=BB183_5 Depth=1
	s_or_saveexec_b64 s[2:3], s[2:3]
	v_mov_b32_e32 v19, v18
	v_mov_b32_e32 v11, s23
	v_mov_b64_e32 v[14:15], v[18:19]
	s_xor_b64 exec, exec, s[2:3]
	s_cbranch_execz .LBB183_4
; %bb.12:                               ;   in Loop: Header=BB183_5 Depth=1
	v_mov_b32_e32 v13, v18
	v_lshl_add_u64 v[20:21], v[12:13], 3, s[4:5]
	global_load_dwordx2 v[14:15], v[20:21], off
	v_mul_f32_e32 v11, v7, v7
	v_fmac_f32_e32 v11, v6, v6
	v_div_scale_f32 v12, s[18:19], v11, v11, 1.0
	v_rcp_f32_e32 v13, v12
	s_nop 0
	v_fma_f32 v19, -v12, v13, 1.0
	v_fmac_f32_e32 v13, v19, v13
	v_div_scale_f32 v19, vcc, 1.0, v11, 1.0
	v_mul_f32_e32 v22, v19, v13
	v_fma_f32 v23, -v12, v22, v19
	v_fmac_f32_e32 v22, v23, v13
	v_fma_f32 v12, -v12, v22, v19
	v_div_fmas_f32 v12, v12, v13, v22
	v_div_fixup_f32 v11, v12, v11, 1.0
	v_fma_f32 v12, 0, v7, v6
	v_fma_f32 v6, v6, 0, -v7
	v_mul_f32_e32 v6, v6, v11
	v_mul_f32_e32 v12, v12, v11
	s_waitcnt vmcnt(0)
	v_pk_mul_f32 v[22:23], v[6:7], v[14:15] op_sel:[0,1] op_sel_hi:[0,0] neg_lo:[0,1]
	v_pk_fma_f32 v[14:15], v[14:15], v[12:13], v[22:23] op_sel_hi:[1,0,1]
	global_store_dwordx2 v[20:21], v[14:15], off
	s_and_saveexec_b64 s[18:19], s[0:1]
	s_cbranch_execz .LBB183_3
; %bb.13:                               ;   in Loop: Header=BB183_5 Depth=1
	v_add_u32_e32 v20, v17, v1
	v_mov_b32_e32 v21, v18
	v_lshl_add_u64 v[20:21], v[20:21], 3, s[4:5]
	global_load_dwordx2 v[22:23], v[20:21], off
	v_xor_b32_e32 v24, 0x80000000, v4
	v_mov_b32_e32 v25, v10
	v_mov_b32_e32 v26, v5
	v_mov_b32_e32 v27, v24
	s_waitcnt vmcnt(0)
	v_pk_fma_f32 v[22:23], v[24:25], v[14:15], v[22:23] op_sel_hi:[1,0,1]
	s_nop 0
	v_pk_fma_f32 v[14:15], v[26:27], v[14:15], v[22:23] op_sel:[0,1,0]
	global_store_dwordx2 v[20:21], v[14:15], off
	s_branch .LBB183_3
.LBB183_14:
	s_or_b64 exec, exec, s[16:17]
	s_branch .LBB183_16
.LBB183_15:
	v_mov_b32_e32 v1, 0
.LBB183_16:
	v_subrev_u32_e32 v1, s20, v1
	v_add_u32_e32 v2, v1, v0
	v_ashrrev_i32_e32 v3, 31, v2
	s_waitcnt lgkmcnt(0)
	v_lshl_add_u64 v[2:3], v[2:3], 2, s[12:13]
	buffer_wbl2 sc1
	s_waitcnt vmcnt(0)
	buffer_inv sc1
	global_load_dword v2, v[2:3], off
	s_waitcnt vmcnt(0)
	v_mul_lo_u32 v2, v2, s20
	v_sub_u32_e32 v1, v1, v2
	v_cmp_lt_i32_e32 vcc, -1, v1
	s_and_b64 exec, exec, vcc
	s_cbranch_execz .LBB183_23
; %bb.17:
	s_add_i32 s0, s21, s20
	v_add_u32_e32 v8, s0, v0
	s_and_b32 s8, s22, -2
	s_mov_b64 s[0:1], 0
	v_mov_b32_e32 v3, 0
	s_branch .LBB183_19
.LBB183_18:                             ;   in Loop: Header=BB183_19 Depth=1
	s_or_b64 exec, exec, s[2:3]
	v_sub_u32_e32 v1, v1, v2
	v_cmp_gt_i32_e32 vcc, 0, v1
	s_or_b64 s[0:1], vcc, s[0:1]
	s_andn2_b64 exec, exec, s[0:1]
	s_cbranch_execz .LBB183_23
.LBB183_19:                             ; =>This Inner Loop Header: Depth=1
	v_add_u32_e32 v6, v1, v0
	v_ashrrev_i32_e32 v7, 31, v6
	s_waitcnt vmcnt(0)
	v_lshl_add_u64 v[4:5], v[6:7], 2, s[12:13]
	global_load_dword v2, v[4:5], off
	v_lshl_add_u64 v[4:5], v[6:7], 3, s[6:7]
	global_load_dwordx2 v[4:5], v[4:5], off
	s_waitcnt vmcnt(1)
	v_cmp_ne_u32_e32 vcc, 1, v2
	s_and_saveexec_b64 s[2:3], vcc
	s_xor_b64 s[2:3], exec, s[2:3]
	s_cbranch_execz .LBB183_21
; %bb.20:                               ;   in Loop: Header=BB183_19 Depth=1
	v_add_u32_e32 v2, v8, v1
	v_lshl_add_u64 v[10:11], v[2:3], 3, s[4:5]
	v_add_u32_e32 v2, s21, v6
	v_lshl_add_u64 v[6:7], v[2:3], 3, s[4:5]
	global_load_dwordx2 v[12:13], v[10:11], off
	global_load_dwordx2 v[14:15], v[6:7], off
	v_subrev_u32_e32 v2, s20, v1
	s_waitcnt vmcnt(2)
	v_pk_add_f32 v[10:11], v[4:5], 0 neg_lo:[1,1] neg_hi:[1,1]
	v_add_u32_e32 v16, v2, v0
	v_pk_mov_b32 v[10:11], v[4:5], v[10:11] op_sel:[1,0]
	v_ashrrev_i32_e32 v17, 31, v16
	v_add_u32_e32 v2, s21, v16
	v_lshl_add_u64 v[16:17], v[16:17], 3, s[6:7]
	v_lshl_add_u64 v[18:19], v[2:3], 3, s[4:5]
	global_load_dwordx2 v[16:17], v[16:17], off
	s_waitcnt vmcnt(1)
	v_pk_fma_f32 v[4:5], v[4:5], v[12:13], v[14:15] op_sel_hi:[1,0,1] neg_lo:[1,0,0] neg_hi:[1,0,0]
	s_nop 0
	v_pk_fma_f32 v[4:5], v[10:11], v[12:13], v[4:5] op_sel:[0,1,0]
	global_store_dwordx2 v[6:7], v[4:5], off
	global_load_dwordx2 v[4:5], v[18:19], off
	s_waitcnt vmcnt(2)
	v_pk_add_f32 v[6:7], v[16:17], 0 neg_lo:[1,1] neg_hi:[1,1]
	s_nop 0
	v_pk_mov_b32 v[6:7], v[16:17], v[6:7] op_sel:[1,0]
	s_waitcnt vmcnt(0)
	v_pk_fma_f32 v[4:5], v[16:17], v[12:13], v[4:5] op_sel_hi:[1,0,1] neg_lo:[1,0,0] neg_hi:[1,0,0]
	s_nop 0
	v_pk_fma_f32 v[4:5], v[6:7], v[12:13], v[4:5] op_sel:[0,1,0]
	global_store_dwordx2 v[18:19], v[4:5], off
                                        ; implicit-def: $vgpr6
                                        ; implicit-def: $vgpr4_vgpr5
.LBB183_21:                             ;   in Loop: Header=BB183_19 Depth=1
	s_or_saveexec_b64 s[2:3], s[2:3]
	v_mov_b32_e32 v2, s8
	s_xor_b64 exec, exec, s[2:3]
	s_cbranch_execz .LBB183_18
; %bb.22:                               ;   in Loop: Header=BB183_19 Depth=1
	v_add_u32_e32 v2, v8, v1
	v_lshl_add_u64 v[10:11], v[2:3], 3, s[4:5]
	v_add_u32_e32 v2, s21, v6
	v_lshl_add_u64 v[6:7], v[2:3], 3, s[4:5]
	global_load_dwordx2 v[12:13], v[10:11], off
	global_load_dwordx2 v[14:15], v[6:7], off
	s_waitcnt vmcnt(2)
	v_pk_add_f32 v[10:11], v[4:5], 0 neg_lo:[1,1] neg_hi:[1,1]
	v_mov_b32_e32 v2, s20
	v_pk_mov_b32 v[10:11], v[4:5], v[10:11] op_sel:[1,0]
	s_waitcnt vmcnt(0)
	v_pk_fma_f32 v[4:5], v[4:5], v[12:13], v[14:15] op_sel_hi:[1,0,1] neg_lo:[1,0,0] neg_hi:[1,0,0]
	s_nop 0
	v_pk_fma_f32 v[4:5], v[10:11], v[12:13], v[4:5] op_sel:[0,1,0]
	global_store_dwordx2 v[6:7], v[4:5], off
	s_branch .LBB183_18
.LBB183_23:
	s_endpgm
	.section	.rodata,"a",@progbits
	.p2align	6, 0x0
	.amdhsa_kernel _ZN9rocsparseL19gtsv_LBM_rhs_kernelILj256ELj2ELj1E21rocsparse_complex_numIfEEEviiiPKT2_S5_S5_PS3_S5_PKi
		.amdhsa_group_segment_fixed_size 0
		.amdhsa_private_segment_fixed_size 0
		.amdhsa_kernarg_size 64
		.amdhsa_user_sgpr_count 2
		.amdhsa_user_sgpr_dispatch_ptr 0
		.amdhsa_user_sgpr_queue_ptr 0
		.amdhsa_user_sgpr_kernarg_segment_ptr 1
		.amdhsa_user_sgpr_dispatch_id 0
		.amdhsa_user_sgpr_kernarg_preload_length 0
		.amdhsa_user_sgpr_kernarg_preload_offset 0
		.amdhsa_user_sgpr_private_segment_size 0
		.amdhsa_uses_dynamic_stack 0
		.amdhsa_enable_private_segment 0
		.amdhsa_system_sgpr_workgroup_id_x 1
		.amdhsa_system_sgpr_workgroup_id_y 1
		.amdhsa_system_sgpr_workgroup_id_z 0
		.amdhsa_system_sgpr_workgroup_info 0
		.amdhsa_system_vgpr_workitem_id 0
		.amdhsa_next_free_vgpr 38
		.amdhsa_next_free_sgpr 24
		.amdhsa_accum_offset 40
		.amdhsa_reserve_vcc 1
		.amdhsa_float_round_mode_32 0
		.amdhsa_float_round_mode_16_64 0
		.amdhsa_float_denorm_mode_32 3
		.amdhsa_float_denorm_mode_16_64 3
		.amdhsa_dx10_clamp 1
		.amdhsa_ieee_mode 1
		.amdhsa_fp16_overflow 0
		.amdhsa_tg_split 0
		.amdhsa_exception_fp_ieee_invalid_op 0
		.amdhsa_exception_fp_denorm_src 0
		.amdhsa_exception_fp_ieee_div_zero 0
		.amdhsa_exception_fp_ieee_overflow 0
		.amdhsa_exception_fp_ieee_underflow 0
		.amdhsa_exception_fp_ieee_inexact 0
		.amdhsa_exception_int_div_zero 0
	.end_amdhsa_kernel
	.section	.text._ZN9rocsparseL19gtsv_LBM_rhs_kernelILj256ELj2ELj1E21rocsparse_complex_numIfEEEviiiPKT2_S5_S5_PS3_S5_PKi,"axG",@progbits,_ZN9rocsparseL19gtsv_LBM_rhs_kernelILj256ELj2ELj1E21rocsparse_complex_numIfEEEviiiPKT2_S5_S5_PS3_S5_PKi,comdat
.Lfunc_end183:
	.size	_ZN9rocsparseL19gtsv_LBM_rhs_kernelILj256ELj2ELj1E21rocsparse_complex_numIfEEEviiiPKT2_S5_S5_PS3_S5_PKi, .Lfunc_end183-_ZN9rocsparseL19gtsv_LBM_rhs_kernelILj256ELj2ELj1E21rocsparse_complex_numIfEEEviiiPKT2_S5_S5_PS3_S5_PKi
                                        ; -- End function
	.set _ZN9rocsparseL19gtsv_LBM_rhs_kernelILj256ELj2ELj1E21rocsparse_complex_numIfEEEviiiPKT2_S5_S5_PS3_S5_PKi.num_vgpr, 38
	.set _ZN9rocsparseL19gtsv_LBM_rhs_kernelILj256ELj2ELj1E21rocsparse_complex_numIfEEEviiiPKT2_S5_S5_PS3_S5_PKi.num_agpr, 0
	.set _ZN9rocsparseL19gtsv_LBM_rhs_kernelILj256ELj2ELj1E21rocsparse_complex_numIfEEEviiiPKT2_S5_S5_PS3_S5_PKi.numbered_sgpr, 24
	.set _ZN9rocsparseL19gtsv_LBM_rhs_kernelILj256ELj2ELj1E21rocsparse_complex_numIfEEEviiiPKT2_S5_S5_PS3_S5_PKi.num_named_barrier, 0
	.set _ZN9rocsparseL19gtsv_LBM_rhs_kernelILj256ELj2ELj1E21rocsparse_complex_numIfEEEviiiPKT2_S5_S5_PS3_S5_PKi.private_seg_size, 0
	.set _ZN9rocsparseL19gtsv_LBM_rhs_kernelILj256ELj2ELj1E21rocsparse_complex_numIfEEEviiiPKT2_S5_S5_PS3_S5_PKi.uses_vcc, 1
	.set _ZN9rocsparseL19gtsv_LBM_rhs_kernelILj256ELj2ELj1E21rocsparse_complex_numIfEEEviiiPKT2_S5_S5_PS3_S5_PKi.uses_flat_scratch, 0
	.set _ZN9rocsparseL19gtsv_LBM_rhs_kernelILj256ELj2ELj1E21rocsparse_complex_numIfEEEviiiPKT2_S5_S5_PS3_S5_PKi.has_dyn_sized_stack, 0
	.set _ZN9rocsparseL19gtsv_LBM_rhs_kernelILj256ELj2ELj1E21rocsparse_complex_numIfEEEviiiPKT2_S5_S5_PS3_S5_PKi.has_recursion, 0
	.set _ZN9rocsparseL19gtsv_LBM_rhs_kernelILj256ELj2ELj1E21rocsparse_complex_numIfEEEviiiPKT2_S5_S5_PS3_S5_PKi.has_indirect_call, 0
	.section	.AMDGPU.csdata,"",@progbits
; Kernel info:
; codeLenInByte = 1592
; TotalNumSgprs: 30
; NumVgprs: 38
; NumAgprs: 0
; TotalNumVgprs: 38
; ScratchSize: 0
; MemoryBound: 0
; FloatMode: 240
; IeeeMode: 1
; LDSByteSize: 0 bytes/workgroup (compile time only)
; SGPRBlocks: 3
; VGPRBlocks: 4
; NumSGPRsForWavesPerEU: 30
; NumVGPRsForWavesPerEU: 38
; AccumOffset: 40
; Occupancy: 8
; WaveLimiterHint : 0
; COMPUTE_PGM_RSRC2:SCRATCH_EN: 0
; COMPUTE_PGM_RSRC2:USER_SGPR: 2
; COMPUTE_PGM_RSRC2:TRAP_HANDLER: 0
; COMPUTE_PGM_RSRC2:TGID_X_EN: 1
; COMPUTE_PGM_RSRC2:TGID_Y_EN: 1
; COMPUTE_PGM_RSRC2:TGID_Z_EN: 0
; COMPUTE_PGM_RSRC2:TIDIG_COMP_CNT: 0
; COMPUTE_PGM_RSRC3_GFX90A:ACCUM_OFFSET: 9
; COMPUTE_PGM_RSRC3_GFX90A:TG_SPLIT: 0
	.section	.text._ZN9rocsparseL29gtsv_spike_block_level_kernelILj256ELj2E21rocsparse_complex_numIfEEEviiiPT1_PKS3_S6_S4_S4_S4_S4_S4_,"axG",@progbits,_ZN9rocsparseL29gtsv_spike_block_level_kernelILj256ELj2E21rocsparse_complex_numIfEEEviiiPT1_PKS3_S6_S4_S4_S4_S4_S4_,comdat
	.globl	_ZN9rocsparseL29gtsv_spike_block_level_kernelILj256ELj2E21rocsparse_complex_numIfEEEviiiPT1_PKS3_S6_S4_S4_S4_S4_S4_ ; -- Begin function _ZN9rocsparseL29gtsv_spike_block_level_kernelILj256ELj2E21rocsparse_complex_numIfEEEviiiPT1_PKS3_S6_S4_S4_S4_S4_S4_
	.p2align	8
	.type	_ZN9rocsparseL29gtsv_spike_block_level_kernelILj256ELj2E21rocsparse_complex_numIfEEEviiiPT1_PKS3_S6_S4_S4_S4_S4_S4_,@function
_ZN9rocsparseL29gtsv_spike_block_level_kernelILj256ELj2E21rocsparse_complex_numIfEEEviiiPT1_PKS3_S6_S4_S4_S4_S4_S4_: ; @_ZN9rocsparseL29gtsv_spike_block_level_kernelILj256ELj2E21rocsparse_complex_numIfEEEviiiPT1_PKS3_S6_S4_S4_S4_S4_S4_
; %bb.0:
	s_load_dword s19, s[0:1], 0x0
	s_load_dwordx2 s[8:9], s[0:1], 0x18
	v_lshl_or_b32 v2, s2, 8, v0
	v_mov_b32_e32 v6, 0
	v_mov_b32_e32 v8, 0
	s_waitcnt lgkmcnt(0)
	s_lshr_b32 s18, s19, 1
	v_cmp_gt_i32_e64 s[4:5], s18, v2
	v_mov_b32_e32 v9, 0
	s_and_saveexec_b64 s[6:7], s[4:5]
	s_cbranch_execz .LBB184_2
; %bb.1:
	v_ashrrev_i32_e32 v3, 31, v2
	v_lshl_add_u64 v[4:5], v[2:3], 3, s[8:9]
	global_load_dwordx2 v[8:9], v[4:5], off
.LBB184_2:
	s_or_b64 exec, exec, s[6:7]
	s_load_dwordx2 s[6:7], s[0:1], 0x20
	v_lshlrev_b32_e32 v1, 3, v0
	v_or_b32_e32 v5, 0x1000, v1
	v_add_u32_e32 v4, s18, v2
	v_mov_b32_e32 v7, 0
	s_waitcnt vmcnt(0)
	ds_write_b64 v1, v[8:9] offset:4096
	s_and_saveexec_b64 s[10:11], s[4:5]
	s_cbranch_execz .LBB184_4
; %bb.3:
	v_add_u32_e32 v6, s18, v2
	v_mov_b32_e32 v7, 0
	v_lshl_add_u64 v[6:7], v[6:7], 3, s[8:9]
	global_load_dwordx2 v[6:7], v[6:7], off
.LBB184_4:
	s_or_b64 exec, exec, s[10:11]
	s_waitcnt vmcnt(0)
	ds_write_b64 v5, v[6:7] offset:2048
	v_mov_b32_e32 v6, 0
	v_mov_b32_e32 v8, 0
	;; [unrolled: 1-line block ×3, first 2 shown]
	s_and_saveexec_b64 s[8:9], s[4:5]
	s_cbranch_execz .LBB184_6
; %bb.5:
	v_ashrrev_i32_e32 v3, 31, v2
	s_waitcnt lgkmcnt(0)
	v_lshl_add_u64 v[8:9], v[2:3], 3, s[6:7]
	global_load_dwordx2 v[8:9], v[8:9], off
.LBB184_6:
	s_or_b64 exec, exec, s[8:9]
	s_load_dwordx2 s[12:13], s[0:1], 0x10
	v_mov_b32_e32 v7, 0
	s_waitcnt vmcnt(0)
	ds_write_b64 v1, v[8:9]
	s_and_saveexec_b64 s[8:9], s[4:5]
	s_cbranch_execz .LBB184_8
; %bb.7:
	v_add_u32_e32 v6, s18, v2
	v_mov_b32_e32 v7, 0
	s_waitcnt lgkmcnt(0)
	v_lshl_add_u64 v[6:7], v[6:7], 3, s[6:7]
	global_load_dwordx2 v[6:7], v[6:7], off
.LBB184_8:
	s_or_b64 exec, exec, s[8:9]
	s_mul_i32 s19, s19, s3
	s_waitcnt vmcnt(0)
	ds_write_b64 v1, v[6:7] offset:2048
	v_mov_b32_e32 v8, 0
	v_add_u32_e32 v6, s19, v2
	v_mov_b32_e32 v10, 0
	v_mov_b32_e32 v11, 0
	s_waitcnt lgkmcnt(0)
	s_and_saveexec_b64 s[6:7], s[4:5]
	s_cbranch_execz .LBB184_10
; %bb.9:
	v_ashrrev_i32_e32 v7, 31, v6
	v_lshl_add_u64 v[10:11], v[6:7], 3, s[12:13]
	global_load_dwordx2 v[10:11], v[10:11], off
.LBB184_10:
	s_or_b64 exec, exec, s[6:7]
	v_or_b32_e32 v7, 0x2000, v1
	v_mov_b32_e32 v9, 0
	s_waitcnt vmcnt(0)
	ds_write_b64 v1, v[10:11] offset:8192
	s_and_saveexec_b64 s[6:7], s[4:5]
	s_cbranch_execz .LBB184_12
; %bb.11:
	s_add_i32 s8, s19, s18
	v_add_u32_e32 v8, s8, v2
	v_mov_b32_e32 v9, 0
	v_lshl_add_u64 v[8:9], v[8:9], 3, s[12:13]
	global_load_dwordx2 v[8:9], v[8:9], off
.LBB184_12:
	s_or_b64 exec, exec, s[6:7]
	s_movk_i32 s6, 0x80
	v_cmp_gt_u32_e32 vcc, s6, v0
	s_waitcnt vmcnt(0)
	ds_write_b64 v7, v[8:9] offset:2048
	s_waitcnt lgkmcnt(0)
	s_barrier
	s_and_saveexec_b64 s[6:7], vcc
	s_cbranch_execz .LBB184_14
; %bb.13:
	v_add_u32_e32 v3, v5, v1
	ds_read2_b64 v[8:11], v3 offset1:1
	v_add_u32_e32 v47, v1, v1
	ds_read_b128 v[12:15], v47 offset:2048
	ds_read_b64 v[36:37], v3 offset:2056
	s_mov_b64 s[8:9], 0x3f800000
	v_add_u32_e32 v49, v7, v1
	s_waitcnt lgkmcnt(2)
	v_xor_b32_e32 v20, 0x80000000, v11
	v_mov_b32_e32 v21, v10
	s_waitcnt lgkmcnt(1)
	v_pk_mul_f32 v[20:21], v[12:13], v[20:21] op_sel:[1,0]
	ds_read_b128 v[16:19], v47
	v_pk_fma_f32 v[12:13], v[10:11], v[12:13], v[20:21] op_sel_hi:[1,0,1]
	v_add_u32_e32 v28, 0x800, v49
	v_pk_add_f32 v[12:13], v[12:13], s[8:9] neg_lo:[1,0] neg_hi:[1,0]
	s_nop 0
	v_mul_f32_e32 v20, v13, v13
	v_fmac_f32_e32 v20, v12, v12
	v_div_scale_f32 v21, s[8:9], v20, v20, 1.0
	v_rcp_f32_e32 v22, v21
	v_fma_f32 v39, v12, 0, -v13
	v_fmac_f32_e32 v12, 0, v13
	v_add_u32_e32 v13, 0x800, v3
	v_fma_f32 v23, -v21, v22, 1.0
	v_fmac_f32_e32 v22, v23, v22
	v_div_scale_f32 v23, vcc, 1.0, v20, 1.0
	v_mul_f32_e32 v24, v23, v22
	v_fma_f32 v25, -v21, v24, v23
	v_fmac_f32_e32 v24, v25, v22
	v_fma_f32 v21, -v21, v24, v23
	v_div_fmas_f32 v21, v21, v22, v24
	v_div_fixup_f32 v38, v21, v20, 1.0
	ds_read_b128 v[20:23], v49
	ds_read2st64_b64 v[24:27], v47 offset1:4
	ds_read2_b64 v[28:31], v28 offset1:1
	s_waitcnt lgkmcnt(2)
	v_mov_b32_e32 v32, v23
	s_waitcnt lgkmcnt(1)
	v_pk_mul_f32 v[32:33], v[32:33], v[26:27] op_sel:[0,1] op_sel_hi:[0,0] neg_lo:[0,1]
	v_pk_fma_f32 v[32:33], v[26:27], v[22:23], v[32:33] op_sel_hi:[1,0,1]
	s_waitcnt lgkmcnt(0)
	v_pk_mul_f32 v[44:45], v[10:11], v[28:29] op_sel:[1,1] op_sel_hi:[1,0] neg_lo:[0,1]
	v_pk_add_f32 v[40:41], v[28:29], v[32:33] neg_lo:[0,1] neg_hi:[0,1]
	ds_read2_b64 v[32:35], v13 offset1:1
	v_pk_fma_f32 v[28:29], v[28:29], v[10:11], v[44:45] op_sel_hi:[1,0,1]
	v_mov_b32_e32 v13, v39
	v_xor_b32_e32 v42, 0x80000000, v41
	v_mov_b32_e32 v43, v40
	v_pk_add_f32 v[22:23], v[22:23], v[28:29] neg_lo:[0,1] neg_hi:[0,1]
	v_pk_mul_f32 v[38:39], v[12:13], v[38:39] op_sel_hi:[1,0]
	v_xor_b32_e32 v28, 0x80000000, v23
	v_mov_b32_e32 v29, v22
	v_mul_f32_e64 v46, v19, -v27
	v_mul_f32_e32 v48, v19, v26
	v_pk_mul_f32 v[12:13], v[38:39], v[42:43] op_sel:[1,0]
	v_fmac_f32_e32 v46, v26, v18
	v_fmac_f32_e32 v48, v27, v18
	v_pk_fma_f32 v[26:27], v[40:41], v[38:39], v[12:13] op_sel_hi:[1,0,1]
	v_pk_mul_f32 v[12:13], v[38:39], v[28:29] op_sel:[1,0]
	s_waitcnt lgkmcnt(0)
	v_xor_b32_e32 v44, 0x80000000, v35
	v_pk_fma_f32 v[22:23], v[22:23], v[38:39], v[12:13] op_sel_hi:[1,0,1]
	v_mov_b32_e32 v45, v34
	v_pk_mul_f32 v[12:13], v[22:23], v[16:17] op_sel:[1,1] op_sel_hi:[1,0] neg_lo:[0,1]
	s_nop 0
	v_pk_fma_f32 v[12:13], v[16:17], v[22:23], v[12:13] op_sel_hi:[1,0,1]
	v_pk_add_f32 v[16:17], v[38:39], 0 neg_lo:[1,1] neg_hi:[1,1]
	v_pk_add_f32 v[20:21], v[20:21], v[12:13] neg_lo:[0,1] neg_hi:[0,1]
	ds_write_b128 v49, v[20:23]
	v_pk_mov_b32 v[20:21], v[38:39], v[16:17] op_sel:[1,0]
	v_mov_b32_e32 v22, v19
	v_pk_mov_b32 v[16:17], v[16:17], v[38:39] op_sel:[1,0]
	v_pk_mul_f32 v[12:13], v[26:27], v[44:45] op_sel:[1,0]
	v_pk_mul_f32 v[16:17], v[22:23], v[16:17] op_sel_hi:[0,1]
	v_mul_f32_e32 v22, v11, v32
	v_pk_fma_f32 v[18:19], v[38:39], v[18:19], v[16:17] op_sel_hi:[1,0,1]
	v_mul_f32_e64 v16, v11, -v33
	v_fmac_f32_e32 v22, v33, v10
	v_pk_fma_f32 v[12:13], v[34:35], v[26:27], v[12:13] op_sel_hi:[1,0,1]
	v_fmac_f32_e32 v16, v32, v10
	v_pk_mul_f32 v[10:11], v[20:21], v[22:23] op_sel_hi:[1,0]
	v_pk_add_f32 v[28:29], v[30:31], v[12:13] neg_lo:[0,1] neg_hi:[0,1]
	v_pk_fma_f32 v[10:11], v[38:39], v[16:17], v[10:11] op_sel_hi:[1,0,1] neg_lo:[1,0,0] neg_hi:[1,0,0]
	ds_write_b128 v49, v[26:29] offset:2048
	v_xor_b32_e32 v26, 0x80000000, v39
	v_mov_b32_e32 v27, v38
	v_pk_mul_f32 v[22:23], v[10:11], v[24:25] op_sel:[1,1] op_sel_hi:[1,0] neg_lo:[0,1]
	v_pk_mul_f32 v[16:17], v[32:33], v[26:27] op_sel:[1,0]
	v_pk_fma_f32 v[22:23], v[24:25], v[10:11], v[22:23] op_sel_hi:[1,0,1]
	v_pk_mul_f32 v[12:13], v[20:21], v[48:49] op_sel_hi:[1,0]
	v_pk_fma_f32 v[20:21], v[38:39], v[32:33], v[16:17] op_sel_hi:[1,0,1]
	v_pk_add_f32 v[16:17], v[24:25], 0 neg_lo:[1,1] neg_hi:[1,1]
	v_pk_add_f32 v[8:9], v[8:9], v[22:23] neg_lo:[0,1] neg_hi:[0,1]
	ds_write_b128 v3, v[8:11]
	v_pk_mov_b32 v[8:9], v[24:25], v[16:17] op_sel:[1,0]
	v_pk_fma_f32 v[12:13], v[38:39], v[46:47], v[12:13] op_sel_hi:[1,0,1] neg_lo:[1,0,0] neg_hi:[1,0,0]
	v_pk_mul_f32 v[8:9], v[18:19], v[8:9] op_sel:[1,0]
	s_nop 0
	v_pk_fma_f32 v[16:17], v[24:25], v[18:19], v[8:9] op_sel_hi:[1,0,1] neg_lo:[1,0,0] neg_hi:[1,0,0]
	v_xor_b32_e32 v8, 0x80000000, v13
	v_mov_b32_e32 v9, v12
	v_pk_mul_f32 v[8:9], v[36:37], v[8:9] op_sel:[1,0]
	ds_write_b128 v47, v[16:19]
	v_pk_fma_f32 v[8:9], v[12:13], v[36:37], v[8:9] op_sel_hi:[1,0,1]
	s_nop 0
	v_pk_add_f32 v[14:15], v[14:15], v[8:9] neg_lo:[0,1] neg_hi:[0,1]
	v_pk_add_f32 v[8:9], v[36:37], 0 neg_lo:[1,1] neg_hi:[1,1]
	ds_write_b128 v47, v[12:15] offset:2048
	v_pk_mov_b32 v[8:9], v[36:37], v[8:9] op_sel:[1,0]
	s_nop 0
	v_pk_mul_f32 v[8:9], v[20:21], v[8:9] op_sel:[1,0]
	s_nop 0
	v_pk_fma_f32 v[22:23], v[36:37], v[20:21], v[8:9] op_sel_hi:[1,0,1] neg_lo:[1,0,0] neg_hi:[1,0,0]
	ds_write_b128 v3, v[20:23] offset:2048
.LBB184_14:
	s_or_b64 exec, exec, s[6:7]
	v_cmp_gt_u32_e32 vcc, 64, v0
	s_waitcnt lgkmcnt(0)
	s_barrier
	s_and_saveexec_b64 s[6:7], vcc
	s_cbranch_execz .LBB184_16
; %bb.15:
	v_lshlrev_b32_e32 v3, 5, v0
	v_add_u32_e32 v45, 0x1000, v3
	ds_read2_b64 v[8:11], v45 offset1:2
	v_add_u32_e32 v48, 0x800, v3
	ds_read2_b64 v[12:15], v48 offset0:1 offset1:3
	s_mov_b64 s[8:9], 0x3f800000
	v_add_u32_e32 v49, 0x1800, v3
	s_waitcnt lgkmcnt(1)
	v_xor_b32_e32 v16, 0x80000000, v11
	v_mov_b32_e32 v17, v10
	s_waitcnt lgkmcnt(0)
	v_pk_mul_f32 v[16:17], v[12:13], v[16:17] op_sel:[1,0]
	ds_read_b64 v[36:37], v3
	v_pk_fma_f32 v[16:17], v[10:11], v[12:13], v[16:17] op_sel_hi:[1,0,1]
	s_waitcnt lgkmcnt(0)
	v_xor_b32_e32 v40, 0x80000000, v37
	v_pk_add_f32 v[24:25], v[16:17], s[8:9] neg_lo:[1,0] neg_hi:[1,0]
	v_mov_b32_e32 v41, v36
	v_mul_f32_e32 v20, v25, v25
	v_fmac_f32_e32 v20, v24, v24
	v_div_scale_f32 v16, s[8:9], v20, v20, 1.0
	v_rcp_f32_e32 v21, v16
	v_fma_f32 v27, v24, 0, -v25
	v_fmac_f32_e32 v24, 0, v25
	v_mov_b32_e32 v25, v27
	v_fma_f32 v17, -v16, v21, 1.0
	v_fmac_f32_e32 v21, v17, v21
	v_div_scale_f32 v17, vcc, 1.0, v20, 1.0
	v_mul_f32_e32 v22, v17, v21
	v_fma_f32 v18, -v16, v22, v17
	v_fmac_f32_e32 v22, v18, v21
	v_fma_f32 v23, -v16, v22, v17
	v_add_u32_e32 v16, 0x2010, v3
	ds_read2_b64 v[16:19], v16 offset1:255
	v_div_fmas_f32 v21, v23, v21, v22
	v_div_fixup_f32 v26, v21, v20, 1.0
	v_pk_mul_f32 v[46:47], v[24:25], v[26:27] op_sel_hi:[1,0]
	s_waitcnt lgkmcnt(0)
	v_pk_mul_f32 v[20:21], v[16:17], v[12:13] op_sel:[1,1] op_sel_hi:[1,0] neg_lo:[0,1]
	s_nop 0
	v_pk_fma_f32 v[20:21], v[12:13], v[16:17], v[20:21] op_sel_hi:[1,0,1]
	s_nop 0
	v_pk_add_f32 v[28:29], v[18:19], v[20:21] neg_lo:[0,1] neg_hi:[0,1]
	v_pk_mul_f32 v[20:21], v[10:11], v[18:19] op_sel:[1,1] op_sel_hi:[1,0] neg_lo:[0,1]
	v_xor_b32_e32 v30, 0x80000000, v29
	v_pk_fma_f32 v[18:19], v[18:19], v[10:11], v[20:21] op_sel_hi:[1,0,1]
	v_mov_b32_e32 v31, v28
	v_pk_add_f32 v[32:33], v[16:17], v[18:19] neg_lo:[0,1] neg_hi:[0,1]
	ds_read2_b64 v[16:19], v49 offset0:1 offset1:3
	ds_read2_b64 v[20:23], v3 offset1:2
	ds_read_b64 v[38:39], v3 offset:10264
	v_pk_mul_f32 v[24:25], v[46:47], v[30:31] op_sel:[1,0]
	v_xor_b32_e32 v34, 0x80000000, v33
	v_mov_b32_e32 v35, v32
	s_waitcnt lgkmcnt(1)
	v_mul_f32_e64 v44, v23, -v13
	v_fmac_f32_e32 v44, v12, v22
	v_mul_f32_e32 v12, v23, v12
	v_fmac_f32_e32 v12, v13, v22
	v_add_u32_e32 v13, 0x1810, v3
	v_pk_fma_f32 v[28:29], v[28:29], v[46:47], v[24:25] op_sel_hi:[1,0,1]
	ds_read2_b64 v[24:27], v13 offset0:1 offset1:254
	v_pk_mul_f32 v[30:31], v[46:47], v[34:35] op_sel:[1,0]
	v_xor_b32_e32 v42, 0x80000000, v19
	v_pk_fma_f32 v[30:31], v[32:33], v[46:47], v[30:31] op_sel_hi:[1,0,1]
	v_mov_b32_e32 v43, v18
	v_pk_mul_f32 v[32:33], v[30:31], v[40:41] op_sel:[1,0]
	v_add_u32_e32 v13, 0x2000, v3
	v_pk_fma_f32 v[32:33], v[36:37], v[30:31], v[32:33] op_sel_hi:[1,0,1]
	s_waitcnt lgkmcnt(0)
	v_pk_add_f32 v[26:27], v[26:27], v[32:33] neg_lo:[0,1] neg_hi:[0,1]
	ds_write2_b64 v13, v[26:27], v[30:31] offset1:2
	v_pk_mul_f32 v[26:27], v[28:29], v[42:43] op_sel:[1,0]
	v_add_u32_e32 v13, 0x2800, v3
	v_pk_fma_f32 v[18:19], v[18:19], v[28:29], v[26:27] op_sel_hi:[1,0,1]
	s_nop 0
	v_pk_add_f32 v[18:19], v[38:39], v[18:19] neg_lo:[0,1] neg_hi:[0,1]
	ds_write2_b64 v13, v[28:29], v[18:19] offset0:1 offset1:3
	v_pk_add_f32 v[18:19], v[46:47], 0 neg_lo:[1,1] neg_hi:[1,1]
	v_mul_f32_e32 v28, v11, v16
	v_pk_mov_b32 v[26:27], v[46:47], v[18:19] op_sel:[1,0]
	v_pk_mov_b32 v[18:19], v[18:19], v[46:47] op_sel:[1,0]
	v_fmac_f32_e32 v28, v17, v10
	v_pk_mul_f32 v[18:19], v[22:23], v[18:19] op_sel:[1,0]
	v_pk_mul_f32 v[12:13], v[26:27], v[12:13] op_sel_hi:[1,0]
	v_pk_fma_f32 v[18:19], v[46:47], v[22:23], v[18:19] op_sel_hi:[1,0,1]
	v_mul_f32_e64 v22, v11, -v17
	v_fmac_f32_e32 v22, v16, v10
	v_pk_mul_f32 v[26:27], v[26:27], v[28:29] op_sel_hi:[1,0]
	v_xor_b32_e32 v10, 0x80000000, v47
	v_pk_fma_f32 v[22:23], v[46:47], v[22:23], v[26:27] op_sel_hi:[1,0,1] neg_lo:[1,0,0] neg_hi:[1,0,0]
	v_mov_b32_e32 v11, v46
	v_pk_mul_f32 v[26:27], v[22:23], v[20:21] op_sel:[1,1] op_sel_hi:[1,0] neg_lo:[0,1]
	v_pk_mul_f32 v[10:11], v[16:17], v[10:11] op_sel:[1,0]
	v_pk_fma_f32 v[26:27], v[20:21], v[22:23], v[26:27] op_sel_hi:[1,0,1]
	v_pk_fma_f32 v[10:11], v[46:47], v[16:17], v[10:11] op_sel_hi:[1,0,1]
	v_pk_add_f32 v[16:17], v[20:21], 0 neg_lo:[1,1] neg_hi:[1,1]
	v_pk_add_f32 v[8:9], v[8:9], v[26:27] neg_lo:[0,1] neg_hi:[0,1]
	ds_write2_b64 v45, v[8:9], v[22:23] offset1:2
	v_pk_mov_b32 v[8:9], v[20:21], v[16:17] op_sel:[1,0]
	v_pk_fma_f32 v[12:13], v[46:47], v[44:45], v[12:13] op_sel_hi:[1,0,1] neg_lo:[1,0,0] neg_hi:[1,0,0]
	v_pk_mul_f32 v[8:9], v[18:19], v[8:9] op_sel:[1,0]
	s_nop 0
	v_pk_fma_f32 v[8:9], v[20:21], v[18:19], v[8:9] op_sel_hi:[1,0,1] neg_lo:[1,0,0] neg_hi:[1,0,0]
	ds_write2_b64 v3, v[8:9], v[18:19] offset1:2
	v_xor_b32_e32 v8, 0x80000000, v13
	v_mov_b32_e32 v9, v12
	v_pk_mul_f32 v[8:9], v[24:25], v[8:9] op_sel:[1,0]
	s_nop 0
	v_pk_fma_f32 v[8:9], v[12:13], v[24:25], v[8:9] op_sel_hi:[1,0,1]
	s_nop 0
	v_pk_add_f32 v[8:9], v[14:15], v[8:9] neg_lo:[0,1] neg_hi:[0,1]
	ds_write2_b64 v48, v[12:13], v[8:9] offset0:1 offset1:3
	v_pk_add_f32 v[8:9], v[24:25], 0 neg_lo:[1,1] neg_hi:[1,1]
	s_nop 0
	v_pk_mov_b32 v[8:9], v[24:25], v[8:9] op_sel:[1,0]
	s_nop 0
	v_pk_mul_f32 v[8:9], v[10:11], v[8:9] op_sel:[1,0]
	s_nop 0
	v_pk_fma_f32 v[8:9], v[24:25], v[10:11], v[8:9] op_sel_hi:[1,0,1] neg_lo:[1,0,0] neg_hi:[1,0,0]
	ds_write2_b64 v49, v[10:11], v[8:9] offset0:1 offset1:3
.LBB184_16:
	s_or_b64 exec, exec, s[6:7]
	v_cmp_gt_u32_e32 vcc, 32, v0
	s_waitcnt lgkmcnt(0)
	s_barrier
	s_and_saveexec_b64 s[6:7], vcc
	s_cbranch_execz .LBB184_18
; %bb.17:
	v_lshlrev_b32_e32 v3, 6, v0
	v_add_u32_e32 v45, 0x1000, v3
	ds_read2_b64 v[8:11], v45 offset1:4
	v_add_u32_e32 v48, 0x800, v3
	ds_read2_b64 v[12:15], v48 offset0:3 offset1:7
	s_mov_b64 s[8:9], 0x3f800000
	v_add_u32_e32 v49, 0x1800, v3
	s_waitcnt lgkmcnt(1)
	v_xor_b32_e32 v16, 0x80000000, v11
	v_mov_b32_e32 v17, v10
	s_waitcnt lgkmcnt(0)
	v_pk_mul_f32 v[16:17], v[12:13], v[16:17] op_sel:[1,0]
	ds_read_b64 v[36:37], v3
	v_pk_fma_f32 v[16:17], v[10:11], v[12:13], v[16:17] op_sel_hi:[1,0,1]
	s_waitcnt lgkmcnt(0)
	v_xor_b32_e32 v40, 0x80000000, v37
	v_pk_add_f32 v[24:25], v[16:17], s[8:9] neg_lo:[1,0] neg_hi:[1,0]
	v_mov_b32_e32 v41, v36
	v_mul_f32_e32 v20, v25, v25
	v_fmac_f32_e32 v20, v24, v24
	v_div_scale_f32 v16, s[8:9], v20, v20, 1.0
	v_rcp_f32_e32 v21, v16
	v_fma_f32 v27, v24, 0, -v25
	v_fmac_f32_e32 v24, 0, v25
	v_mov_b32_e32 v25, v27
	v_fma_f32 v17, -v16, v21, 1.0
	v_fmac_f32_e32 v21, v17, v21
	v_div_scale_f32 v17, vcc, 1.0, v20, 1.0
	v_mul_f32_e32 v22, v17, v21
	v_fma_f32 v18, -v16, v22, v17
	v_fmac_f32_e32 v22, v18, v21
	v_fma_f32 v23, -v16, v22, v17
	v_add_u32_e32 v16, 0x2020, v3
	ds_read2_b64 v[16:19], v16 offset1:255
	v_div_fmas_f32 v21, v23, v21, v22
	v_div_fixup_f32 v26, v21, v20, 1.0
	v_pk_mul_f32 v[46:47], v[24:25], v[26:27] op_sel_hi:[1,0]
	s_waitcnt lgkmcnt(0)
	v_pk_mul_f32 v[20:21], v[16:17], v[12:13] op_sel:[1,1] op_sel_hi:[1,0] neg_lo:[0,1]
	s_nop 0
	v_pk_fma_f32 v[20:21], v[12:13], v[16:17], v[20:21] op_sel_hi:[1,0,1]
	s_nop 0
	v_pk_add_f32 v[28:29], v[18:19], v[20:21] neg_lo:[0,1] neg_hi:[0,1]
	v_pk_mul_f32 v[20:21], v[10:11], v[18:19] op_sel:[1,1] op_sel_hi:[1,0] neg_lo:[0,1]
	v_xor_b32_e32 v30, 0x80000000, v29
	v_pk_fma_f32 v[18:19], v[18:19], v[10:11], v[20:21] op_sel_hi:[1,0,1]
	v_mov_b32_e32 v31, v28
	v_pk_add_f32 v[32:33], v[16:17], v[18:19] neg_lo:[0,1] neg_hi:[0,1]
	ds_read2_b64 v[16:19], v49 offset0:3 offset1:7
	ds_read2_b64 v[20:23], v3 offset1:4
	ds_read_b64 v[38:39], v3 offset:10296
	v_pk_mul_f32 v[24:25], v[46:47], v[30:31] op_sel:[1,0]
	v_xor_b32_e32 v34, 0x80000000, v33
	v_mov_b32_e32 v35, v32
	s_waitcnt lgkmcnt(1)
	v_mul_f32_e64 v44, v23, -v13
	v_fmac_f32_e32 v44, v12, v22
	v_mul_f32_e32 v12, v23, v12
	v_fmac_f32_e32 v12, v13, v22
	v_add_u32_e32 v13, 0x1820, v3
	v_pk_fma_f32 v[28:29], v[28:29], v[46:47], v[24:25] op_sel_hi:[1,0,1]
	ds_read2_b64 v[24:27], v13 offset0:3 offset1:252
	v_pk_mul_f32 v[30:31], v[46:47], v[34:35] op_sel:[1,0]
	v_xor_b32_e32 v42, 0x80000000, v19
	v_pk_fma_f32 v[30:31], v[32:33], v[46:47], v[30:31] op_sel_hi:[1,0,1]
	v_mov_b32_e32 v43, v18
	v_pk_mul_f32 v[32:33], v[30:31], v[40:41] op_sel:[1,0]
	v_add_u32_e32 v13, 0x2000, v3
	v_pk_fma_f32 v[32:33], v[36:37], v[30:31], v[32:33] op_sel_hi:[1,0,1]
	s_waitcnt lgkmcnt(0)
	v_pk_add_f32 v[26:27], v[26:27], v[32:33] neg_lo:[0,1] neg_hi:[0,1]
	ds_write2_b64 v13, v[26:27], v[30:31] offset1:4
	v_pk_mul_f32 v[26:27], v[28:29], v[42:43] op_sel:[1,0]
	v_add_u32_e32 v13, 0x2800, v3
	v_pk_fma_f32 v[18:19], v[18:19], v[28:29], v[26:27] op_sel_hi:[1,0,1]
	s_nop 0
	v_pk_add_f32 v[18:19], v[38:39], v[18:19] neg_lo:[0,1] neg_hi:[0,1]
	ds_write2_b64 v13, v[28:29], v[18:19] offset0:3 offset1:7
	v_pk_add_f32 v[18:19], v[46:47], 0 neg_lo:[1,1] neg_hi:[1,1]
	v_mul_f32_e32 v28, v11, v16
	v_pk_mov_b32 v[26:27], v[46:47], v[18:19] op_sel:[1,0]
	v_pk_mov_b32 v[18:19], v[18:19], v[46:47] op_sel:[1,0]
	v_fmac_f32_e32 v28, v17, v10
	v_pk_mul_f32 v[18:19], v[22:23], v[18:19] op_sel:[1,0]
	v_pk_mul_f32 v[12:13], v[26:27], v[12:13] op_sel_hi:[1,0]
	v_pk_fma_f32 v[18:19], v[46:47], v[22:23], v[18:19] op_sel_hi:[1,0,1]
	v_mul_f32_e64 v22, v11, -v17
	v_fmac_f32_e32 v22, v16, v10
	v_pk_mul_f32 v[26:27], v[26:27], v[28:29] op_sel_hi:[1,0]
	v_xor_b32_e32 v10, 0x80000000, v47
	v_pk_fma_f32 v[22:23], v[46:47], v[22:23], v[26:27] op_sel_hi:[1,0,1] neg_lo:[1,0,0] neg_hi:[1,0,0]
	v_mov_b32_e32 v11, v46
	v_pk_mul_f32 v[26:27], v[22:23], v[20:21] op_sel:[1,1] op_sel_hi:[1,0] neg_lo:[0,1]
	v_pk_mul_f32 v[10:11], v[16:17], v[10:11] op_sel:[1,0]
	v_pk_fma_f32 v[26:27], v[20:21], v[22:23], v[26:27] op_sel_hi:[1,0,1]
	v_pk_fma_f32 v[10:11], v[46:47], v[16:17], v[10:11] op_sel_hi:[1,0,1]
	v_pk_add_f32 v[16:17], v[20:21], 0 neg_lo:[1,1] neg_hi:[1,1]
	v_pk_add_f32 v[8:9], v[8:9], v[26:27] neg_lo:[0,1] neg_hi:[0,1]
	ds_write2_b64 v45, v[8:9], v[22:23] offset1:4
	v_pk_mov_b32 v[8:9], v[20:21], v[16:17] op_sel:[1,0]
	v_pk_fma_f32 v[12:13], v[46:47], v[44:45], v[12:13] op_sel_hi:[1,0,1] neg_lo:[1,0,0] neg_hi:[1,0,0]
	v_pk_mul_f32 v[8:9], v[18:19], v[8:9] op_sel:[1,0]
	s_nop 0
	v_pk_fma_f32 v[8:9], v[20:21], v[18:19], v[8:9] op_sel_hi:[1,0,1] neg_lo:[1,0,0] neg_hi:[1,0,0]
	ds_write2_b64 v3, v[8:9], v[18:19] offset1:4
	v_xor_b32_e32 v8, 0x80000000, v13
	v_mov_b32_e32 v9, v12
	v_pk_mul_f32 v[8:9], v[24:25], v[8:9] op_sel:[1,0]
	s_nop 0
	v_pk_fma_f32 v[8:9], v[12:13], v[24:25], v[8:9] op_sel_hi:[1,0,1]
	s_nop 0
	v_pk_add_f32 v[8:9], v[14:15], v[8:9] neg_lo:[0,1] neg_hi:[0,1]
	ds_write2_b64 v48, v[12:13], v[8:9] offset0:3 offset1:7
	v_pk_add_f32 v[8:9], v[24:25], 0 neg_lo:[1,1] neg_hi:[1,1]
	s_nop 0
	v_pk_mov_b32 v[8:9], v[24:25], v[8:9] op_sel:[1,0]
	s_nop 0
	v_pk_mul_f32 v[8:9], v[10:11], v[8:9] op_sel:[1,0]
	s_nop 0
	v_pk_fma_f32 v[8:9], v[24:25], v[10:11], v[8:9] op_sel_hi:[1,0,1] neg_lo:[1,0,0] neg_hi:[1,0,0]
	ds_write2_b64 v49, v[10:11], v[8:9] offset0:3 offset1:7
.LBB184_18:
	s_or_b64 exec, exec, s[6:7]
	v_cmp_gt_u32_e32 vcc, 16, v0
	s_waitcnt lgkmcnt(0)
	s_barrier
	s_and_saveexec_b64 s[6:7], vcc
	s_cbranch_execz .LBB184_20
; %bb.19:
	v_lshlrev_b32_e32 v3, 7, v0
	v_add_u32_e32 v45, 0x1000, v3
	ds_read2_b64 v[8:11], v45 offset1:8
	v_add_u32_e32 v48, 0x800, v3
	ds_read2_b64 v[12:15], v48 offset0:7 offset1:15
	s_mov_b64 s[8:9], 0x3f800000
	v_add_u32_e32 v49, 0x1800, v3
	s_waitcnt lgkmcnt(1)
	v_xor_b32_e32 v16, 0x80000000, v11
	v_mov_b32_e32 v17, v10
	s_waitcnt lgkmcnt(0)
	v_pk_mul_f32 v[16:17], v[12:13], v[16:17] op_sel:[1,0]
	ds_read_b64 v[36:37], v3
	v_pk_fma_f32 v[16:17], v[10:11], v[12:13], v[16:17] op_sel_hi:[1,0,1]
	s_waitcnt lgkmcnt(0)
	v_xor_b32_e32 v40, 0x80000000, v37
	v_pk_add_f32 v[24:25], v[16:17], s[8:9] neg_lo:[1,0] neg_hi:[1,0]
	v_mov_b32_e32 v41, v36
	v_mul_f32_e32 v20, v25, v25
	v_fmac_f32_e32 v20, v24, v24
	v_div_scale_f32 v16, s[8:9], v20, v20, 1.0
	v_rcp_f32_e32 v21, v16
	v_fma_f32 v27, v24, 0, -v25
	v_fmac_f32_e32 v24, 0, v25
	v_mov_b32_e32 v25, v27
	v_fma_f32 v17, -v16, v21, 1.0
	v_fmac_f32_e32 v21, v17, v21
	v_div_scale_f32 v17, vcc, 1.0, v20, 1.0
	v_mul_f32_e32 v22, v17, v21
	v_fma_f32 v18, -v16, v22, v17
	v_fmac_f32_e32 v22, v18, v21
	v_fma_f32 v23, -v16, v22, v17
	v_add_u32_e32 v16, 0x2040, v3
	ds_read2_b64 v[16:19], v16 offset1:255
	v_div_fmas_f32 v21, v23, v21, v22
	v_div_fixup_f32 v26, v21, v20, 1.0
	v_pk_mul_f32 v[46:47], v[24:25], v[26:27] op_sel_hi:[1,0]
	s_waitcnt lgkmcnt(0)
	v_pk_mul_f32 v[20:21], v[16:17], v[12:13] op_sel:[1,1] op_sel_hi:[1,0] neg_lo:[0,1]
	s_nop 0
	v_pk_fma_f32 v[20:21], v[12:13], v[16:17], v[20:21] op_sel_hi:[1,0,1]
	s_nop 0
	v_pk_add_f32 v[28:29], v[18:19], v[20:21] neg_lo:[0,1] neg_hi:[0,1]
	v_pk_mul_f32 v[20:21], v[10:11], v[18:19] op_sel:[1,1] op_sel_hi:[1,0] neg_lo:[0,1]
	v_xor_b32_e32 v30, 0x80000000, v29
	v_pk_fma_f32 v[18:19], v[18:19], v[10:11], v[20:21] op_sel_hi:[1,0,1]
	v_mov_b32_e32 v31, v28
	v_pk_add_f32 v[32:33], v[16:17], v[18:19] neg_lo:[0,1] neg_hi:[0,1]
	ds_read2_b64 v[16:19], v49 offset0:7 offset1:15
	ds_read2_b64 v[20:23], v3 offset1:8
	ds_read_b64 v[38:39], v3 offset:10360
	v_pk_mul_f32 v[24:25], v[46:47], v[30:31] op_sel:[1,0]
	v_xor_b32_e32 v34, 0x80000000, v33
	v_mov_b32_e32 v35, v32
	s_waitcnt lgkmcnt(1)
	v_mul_f32_e64 v44, v23, -v13
	v_fmac_f32_e32 v44, v12, v22
	v_mul_f32_e32 v12, v23, v12
	v_fmac_f32_e32 v12, v13, v22
	v_add_u32_e32 v13, 0x1840, v3
	v_pk_fma_f32 v[28:29], v[28:29], v[46:47], v[24:25] op_sel_hi:[1,0,1]
	ds_read2_b64 v[24:27], v13 offset0:7 offset1:248
	v_pk_mul_f32 v[30:31], v[46:47], v[34:35] op_sel:[1,0]
	v_xor_b32_e32 v42, 0x80000000, v19
	v_pk_fma_f32 v[30:31], v[32:33], v[46:47], v[30:31] op_sel_hi:[1,0,1]
	v_mov_b32_e32 v43, v18
	v_pk_mul_f32 v[32:33], v[30:31], v[40:41] op_sel:[1,0]
	v_add_u32_e32 v13, 0x2000, v3
	v_pk_fma_f32 v[32:33], v[36:37], v[30:31], v[32:33] op_sel_hi:[1,0,1]
	s_waitcnt lgkmcnt(0)
	v_pk_add_f32 v[26:27], v[26:27], v[32:33] neg_lo:[0,1] neg_hi:[0,1]
	ds_write2_b64 v13, v[26:27], v[30:31] offset1:8
	v_pk_mul_f32 v[26:27], v[28:29], v[42:43] op_sel:[1,0]
	v_add_u32_e32 v13, 0x2800, v3
	v_pk_fma_f32 v[18:19], v[18:19], v[28:29], v[26:27] op_sel_hi:[1,0,1]
	s_nop 0
	v_pk_add_f32 v[18:19], v[38:39], v[18:19] neg_lo:[0,1] neg_hi:[0,1]
	ds_write2_b64 v13, v[28:29], v[18:19] offset0:7 offset1:15
	v_pk_add_f32 v[18:19], v[46:47], 0 neg_lo:[1,1] neg_hi:[1,1]
	v_mul_f32_e32 v28, v11, v16
	v_pk_mov_b32 v[26:27], v[46:47], v[18:19] op_sel:[1,0]
	v_pk_mov_b32 v[18:19], v[18:19], v[46:47] op_sel:[1,0]
	v_fmac_f32_e32 v28, v17, v10
	v_pk_mul_f32 v[18:19], v[22:23], v[18:19] op_sel:[1,0]
	v_pk_mul_f32 v[12:13], v[26:27], v[12:13] op_sel_hi:[1,0]
	v_pk_fma_f32 v[18:19], v[46:47], v[22:23], v[18:19] op_sel_hi:[1,0,1]
	v_mul_f32_e64 v22, v11, -v17
	v_fmac_f32_e32 v22, v16, v10
	v_pk_mul_f32 v[26:27], v[26:27], v[28:29] op_sel_hi:[1,0]
	v_xor_b32_e32 v10, 0x80000000, v47
	v_pk_fma_f32 v[22:23], v[46:47], v[22:23], v[26:27] op_sel_hi:[1,0,1] neg_lo:[1,0,0] neg_hi:[1,0,0]
	v_mov_b32_e32 v11, v46
	v_pk_mul_f32 v[26:27], v[22:23], v[20:21] op_sel:[1,1] op_sel_hi:[1,0] neg_lo:[0,1]
	v_pk_mul_f32 v[10:11], v[16:17], v[10:11] op_sel:[1,0]
	v_pk_fma_f32 v[26:27], v[20:21], v[22:23], v[26:27] op_sel_hi:[1,0,1]
	v_pk_fma_f32 v[10:11], v[46:47], v[16:17], v[10:11] op_sel_hi:[1,0,1]
	v_pk_add_f32 v[16:17], v[20:21], 0 neg_lo:[1,1] neg_hi:[1,1]
	v_pk_add_f32 v[8:9], v[8:9], v[26:27] neg_lo:[0,1] neg_hi:[0,1]
	ds_write2_b64 v45, v[8:9], v[22:23] offset1:8
	v_pk_mov_b32 v[8:9], v[20:21], v[16:17] op_sel:[1,0]
	v_pk_fma_f32 v[12:13], v[46:47], v[44:45], v[12:13] op_sel_hi:[1,0,1] neg_lo:[1,0,0] neg_hi:[1,0,0]
	v_pk_mul_f32 v[8:9], v[18:19], v[8:9] op_sel:[1,0]
	s_nop 0
	v_pk_fma_f32 v[8:9], v[20:21], v[18:19], v[8:9] op_sel_hi:[1,0,1] neg_lo:[1,0,0] neg_hi:[1,0,0]
	ds_write2_b64 v3, v[8:9], v[18:19] offset1:8
	v_xor_b32_e32 v8, 0x80000000, v13
	v_mov_b32_e32 v9, v12
	v_pk_mul_f32 v[8:9], v[24:25], v[8:9] op_sel:[1,0]
	s_nop 0
	v_pk_fma_f32 v[8:9], v[12:13], v[24:25], v[8:9] op_sel_hi:[1,0,1]
	s_nop 0
	v_pk_add_f32 v[8:9], v[14:15], v[8:9] neg_lo:[0,1] neg_hi:[0,1]
	ds_write2_b64 v48, v[12:13], v[8:9] offset0:7 offset1:15
	v_pk_add_f32 v[8:9], v[24:25], 0 neg_lo:[1,1] neg_hi:[1,1]
	s_nop 0
	v_pk_mov_b32 v[8:9], v[24:25], v[8:9] op_sel:[1,0]
	s_nop 0
	v_pk_mul_f32 v[8:9], v[10:11], v[8:9] op_sel:[1,0]
	s_nop 0
	v_pk_fma_f32 v[8:9], v[24:25], v[10:11], v[8:9] op_sel_hi:[1,0,1] neg_lo:[1,0,0] neg_hi:[1,0,0]
	ds_write2_b64 v49, v[10:11], v[8:9] offset0:7 offset1:15
.LBB184_20:
	s_or_b64 exec, exec, s[6:7]
	v_cmp_gt_u32_e32 vcc, 8, v0
	s_waitcnt lgkmcnt(0)
	s_barrier
	s_and_saveexec_b64 s[6:7], vcc
	s_cbranch_execz .LBB184_22
; %bb.21:
	v_lshlrev_b32_e32 v3, 8, v0
	v_add_u32_e32 v45, 0x1000, v3
	ds_read2_b64 v[8:11], v45 offset1:16
	v_add_u32_e32 v48, 0x800, v3
	ds_read2_b64 v[12:15], v48 offset0:15 offset1:31
	s_mov_b64 s[8:9], 0x3f800000
	v_add_u32_e32 v49, 0x1800, v3
	s_waitcnt lgkmcnt(1)
	v_xor_b32_e32 v16, 0x80000000, v11
	v_mov_b32_e32 v17, v10
	s_waitcnt lgkmcnt(0)
	v_pk_mul_f32 v[16:17], v[12:13], v[16:17] op_sel:[1,0]
	ds_read_b64 v[36:37], v3
	v_pk_fma_f32 v[16:17], v[10:11], v[12:13], v[16:17] op_sel_hi:[1,0,1]
	s_waitcnt lgkmcnt(0)
	v_xor_b32_e32 v40, 0x80000000, v37
	v_pk_add_f32 v[24:25], v[16:17], s[8:9] neg_lo:[1,0] neg_hi:[1,0]
	v_mov_b32_e32 v41, v36
	v_mul_f32_e32 v20, v25, v25
	v_fmac_f32_e32 v20, v24, v24
	v_div_scale_f32 v16, s[8:9], v20, v20, 1.0
	v_rcp_f32_e32 v21, v16
	v_fma_f32 v27, v24, 0, -v25
	v_fmac_f32_e32 v24, 0, v25
	v_mov_b32_e32 v25, v27
	v_fma_f32 v17, -v16, v21, 1.0
	v_fmac_f32_e32 v21, v17, v21
	v_div_scale_f32 v17, vcc, 1.0, v20, 1.0
	v_mul_f32_e32 v22, v17, v21
	v_fma_f32 v18, -v16, v22, v17
	v_fmac_f32_e32 v22, v18, v21
	v_fma_f32 v23, -v16, v22, v17
	v_add_u32_e32 v16, 0x2080, v3
	ds_read2_b64 v[16:19], v16 offset1:255
	v_div_fmas_f32 v21, v23, v21, v22
	v_div_fixup_f32 v26, v21, v20, 1.0
	v_pk_mul_f32 v[46:47], v[24:25], v[26:27] op_sel_hi:[1,0]
	s_waitcnt lgkmcnt(0)
	v_pk_mul_f32 v[20:21], v[16:17], v[12:13] op_sel:[1,1] op_sel_hi:[1,0] neg_lo:[0,1]
	s_nop 0
	v_pk_fma_f32 v[20:21], v[12:13], v[16:17], v[20:21] op_sel_hi:[1,0,1]
	s_nop 0
	v_pk_add_f32 v[28:29], v[18:19], v[20:21] neg_lo:[0,1] neg_hi:[0,1]
	v_pk_mul_f32 v[20:21], v[10:11], v[18:19] op_sel:[1,1] op_sel_hi:[1,0] neg_lo:[0,1]
	v_xor_b32_e32 v30, 0x80000000, v29
	v_pk_fma_f32 v[18:19], v[18:19], v[10:11], v[20:21] op_sel_hi:[1,0,1]
	v_mov_b32_e32 v31, v28
	v_pk_add_f32 v[32:33], v[16:17], v[18:19] neg_lo:[0,1] neg_hi:[0,1]
	ds_read2_b64 v[16:19], v49 offset0:15 offset1:31
	ds_read2_b64 v[20:23], v3 offset1:16
	ds_read_b64 v[38:39], v3 offset:10488
	v_pk_mul_f32 v[24:25], v[46:47], v[30:31] op_sel:[1,0]
	v_xor_b32_e32 v34, 0x80000000, v33
	v_mov_b32_e32 v35, v32
	s_waitcnt lgkmcnt(1)
	v_mul_f32_e64 v44, v23, -v13
	v_fmac_f32_e32 v44, v12, v22
	v_mul_f32_e32 v12, v23, v12
	v_fmac_f32_e32 v12, v13, v22
	v_add_u32_e32 v13, 0x1880, v3
	v_pk_fma_f32 v[28:29], v[28:29], v[46:47], v[24:25] op_sel_hi:[1,0,1]
	ds_read2_b64 v[24:27], v13 offset0:15 offset1:240
	v_pk_mul_f32 v[30:31], v[46:47], v[34:35] op_sel:[1,0]
	v_xor_b32_e32 v42, 0x80000000, v19
	v_pk_fma_f32 v[30:31], v[32:33], v[46:47], v[30:31] op_sel_hi:[1,0,1]
	v_mov_b32_e32 v43, v18
	v_pk_mul_f32 v[32:33], v[30:31], v[40:41] op_sel:[1,0]
	v_add_u32_e32 v13, 0x2000, v3
	v_pk_fma_f32 v[32:33], v[36:37], v[30:31], v[32:33] op_sel_hi:[1,0,1]
	s_waitcnt lgkmcnt(0)
	v_pk_add_f32 v[26:27], v[26:27], v[32:33] neg_lo:[0,1] neg_hi:[0,1]
	ds_write2_b64 v13, v[26:27], v[30:31] offset1:16
	v_pk_mul_f32 v[26:27], v[28:29], v[42:43] op_sel:[1,0]
	v_add_u32_e32 v13, 0x2800, v3
	v_pk_fma_f32 v[18:19], v[18:19], v[28:29], v[26:27] op_sel_hi:[1,0,1]
	s_nop 0
	v_pk_add_f32 v[18:19], v[38:39], v[18:19] neg_lo:[0,1] neg_hi:[0,1]
	ds_write2_b64 v13, v[28:29], v[18:19] offset0:15 offset1:31
	v_pk_add_f32 v[18:19], v[46:47], 0 neg_lo:[1,1] neg_hi:[1,1]
	v_mul_f32_e32 v28, v11, v16
	v_pk_mov_b32 v[26:27], v[46:47], v[18:19] op_sel:[1,0]
	v_pk_mov_b32 v[18:19], v[18:19], v[46:47] op_sel:[1,0]
	v_fmac_f32_e32 v28, v17, v10
	v_pk_mul_f32 v[18:19], v[22:23], v[18:19] op_sel:[1,0]
	v_pk_mul_f32 v[12:13], v[26:27], v[12:13] op_sel_hi:[1,0]
	v_pk_fma_f32 v[18:19], v[46:47], v[22:23], v[18:19] op_sel_hi:[1,0,1]
	v_mul_f32_e64 v22, v11, -v17
	v_fmac_f32_e32 v22, v16, v10
	v_pk_mul_f32 v[26:27], v[26:27], v[28:29] op_sel_hi:[1,0]
	v_xor_b32_e32 v10, 0x80000000, v47
	v_pk_fma_f32 v[22:23], v[46:47], v[22:23], v[26:27] op_sel_hi:[1,0,1] neg_lo:[1,0,0] neg_hi:[1,0,0]
	v_mov_b32_e32 v11, v46
	v_pk_mul_f32 v[26:27], v[22:23], v[20:21] op_sel:[1,1] op_sel_hi:[1,0] neg_lo:[0,1]
	v_pk_mul_f32 v[10:11], v[16:17], v[10:11] op_sel:[1,0]
	v_pk_fma_f32 v[26:27], v[20:21], v[22:23], v[26:27] op_sel_hi:[1,0,1]
	v_pk_fma_f32 v[10:11], v[46:47], v[16:17], v[10:11] op_sel_hi:[1,0,1]
	v_pk_add_f32 v[16:17], v[20:21], 0 neg_lo:[1,1] neg_hi:[1,1]
	v_pk_add_f32 v[8:9], v[8:9], v[26:27] neg_lo:[0,1] neg_hi:[0,1]
	ds_write2_b64 v45, v[8:9], v[22:23] offset1:16
	v_pk_mov_b32 v[8:9], v[20:21], v[16:17] op_sel:[1,0]
	v_pk_fma_f32 v[12:13], v[46:47], v[44:45], v[12:13] op_sel_hi:[1,0,1] neg_lo:[1,0,0] neg_hi:[1,0,0]
	v_pk_mul_f32 v[8:9], v[18:19], v[8:9] op_sel:[1,0]
	s_nop 0
	v_pk_fma_f32 v[8:9], v[20:21], v[18:19], v[8:9] op_sel_hi:[1,0,1] neg_lo:[1,0,0] neg_hi:[1,0,0]
	ds_write2_b64 v3, v[8:9], v[18:19] offset1:16
	v_xor_b32_e32 v8, 0x80000000, v13
	v_mov_b32_e32 v9, v12
	v_pk_mul_f32 v[8:9], v[24:25], v[8:9] op_sel:[1,0]
	s_nop 0
	v_pk_fma_f32 v[8:9], v[12:13], v[24:25], v[8:9] op_sel_hi:[1,0,1]
	s_nop 0
	v_pk_add_f32 v[8:9], v[14:15], v[8:9] neg_lo:[0,1] neg_hi:[0,1]
	ds_write2_b64 v48, v[12:13], v[8:9] offset0:15 offset1:31
	v_pk_add_f32 v[8:9], v[24:25], 0 neg_lo:[1,1] neg_hi:[1,1]
	s_nop 0
	v_pk_mov_b32 v[8:9], v[24:25], v[8:9] op_sel:[1,0]
	s_nop 0
	v_pk_mul_f32 v[8:9], v[10:11], v[8:9] op_sel:[1,0]
	s_nop 0
	v_pk_fma_f32 v[8:9], v[24:25], v[10:11], v[8:9] op_sel_hi:[1,0,1] neg_lo:[1,0,0] neg_hi:[1,0,0]
	ds_write2_b64 v49, v[10:11], v[8:9] offset0:15 offset1:31
.LBB184_22:
	s_or_b64 exec, exec, s[6:7]
	v_cmp_gt_u32_e32 vcc, 4, v0
	s_waitcnt lgkmcnt(0)
	s_barrier
	s_and_saveexec_b64 s[6:7], vcc
	s_cbranch_execz .LBB184_24
; %bb.23:
	v_lshlrev_b32_e32 v3, 9, v0
	v_add_u32_e32 v45, 0x1000, v3
	ds_read2_b64 v[8:11], v45 offset1:32
	v_add_u32_e32 v48, 0x800, v3
	ds_read2_b64 v[12:15], v48 offset0:31 offset1:63
	s_mov_b64 s[8:9], 0x3f800000
	v_add_u32_e32 v49, 0x1800, v3
	s_waitcnt lgkmcnt(1)
	v_xor_b32_e32 v16, 0x80000000, v11
	v_mov_b32_e32 v17, v10
	s_waitcnt lgkmcnt(0)
	v_pk_mul_f32 v[16:17], v[12:13], v[16:17] op_sel:[1,0]
	ds_read_b64 v[36:37], v3
	v_pk_fma_f32 v[16:17], v[10:11], v[12:13], v[16:17] op_sel_hi:[1,0,1]
	s_waitcnt lgkmcnt(0)
	v_xor_b32_e32 v40, 0x80000000, v37
	v_pk_add_f32 v[24:25], v[16:17], s[8:9] neg_lo:[1,0] neg_hi:[1,0]
	v_mov_b32_e32 v41, v36
	v_mul_f32_e32 v20, v25, v25
	v_fmac_f32_e32 v20, v24, v24
	v_div_scale_f32 v16, s[8:9], v20, v20, 1.0
	v_rcp_f32_e32 v21, v16
	v_fma_f32 v27, v24, 0, -v25
	v_fmac_f32_e32 v24, 0, v25
	v_mov_b32_e32 v25, v27
	v_fma_f32 v17, -v16, v21, 1.0
	v_fmac_f32_e32 v21, v17, v21
	v_div_scale_f32 v17, vcc, 1.0, v20, 1.0
	v_mul_f32_e32 v22, v17, v21
	v_fma_f32 v18, -v16, v22, v17
	v_fmac_f32_e32 v22, v18, v21
	v_fma_f32 v23, -v16, v22, v17
	v_add_u32_e32 v16, 0x2100, v3
	ds_read2_b64 v[16:19], v16 offset1:255
	v_div_fmas_f32 v21, v23, v21, v22
	v_div_fixup_f32 v26, v21, v20, 1.0
	v_pk_mul_f32 v[46:47], v[24:25], v[26:27] op_sel_hi:[1,0]
	s_waitcnt lgkmcnt(0)
	v_pk_mul_f32 v[20:21], v[16:17], v[12:13] op_sel:[1,1] op_sel_hi:[1,0] neg_lo:[0,1]
	s_nop 0
	v_pk_fma_f32 v[20:21], v[12:13], v[16:17], v[20:21] op_sel_hi:[1,0,1]
	s_nop 0
	v_pk_add_f32 v[28:29], v[18:19], v[20:21] neg_lo:[0,1] neg_hi:[0,1]
	v_pk_mul_f32 v[20:21], v[10:11], v[18:19] op_sel:[1,1] op_sel_hi:[1,0] neg_lo:[0,1]
	v_xor_b32_e32 v30, 0x80000000, v29
	v_pk_fma_f32 v[18:19], v[18:19], v[10:11], v[20:21] op_sel_hi:[1,0,1]
	v_mov_b32_e32 v31, v28
	v_pk_add_f32 v[32:33], v[16:17], v[18:19] neg_lo:[0,1] neg_hi:[0,1]
	ds_read2_b64 v[16:19], v49 offset0:31 offset1:63
	ds_read2_b64 v[20:23], v3 offset1:32
	ds_read_b64 v[38:39], v3 offset:10744
	v_pk_mul_f32 v[24:25], v[46:47], v[30:31] op_sel:[1,0]
	v_xor_b32_e32 v34, 0x80000000, v33
	v_mov_b32_e32 v35, v32
	s_waitcnt lgkmcnt(1)
	v_mul_f32_e64 v44, v23, -v13
	v_fmac_f32_e32 v44, v12, v22
	v_mul_f32_e32 v12, v23, v12
	v_fmac_f32_e32 v12, v13, v22
	v_add_u32_e32 v13, 0x1900, v3
	v_pk_fma_f32 v[28:29], v[28:29], v[46:47], v[24:25] op_sel_hi:[1,0,1]
	ds_read2_b64 v[24:27], v13 offset0:31 offset1:224
	v_pk_mul_f32 v[30:31], v[46:47], v[34:35] op_sel:[1,0]
	v_xor_b32_e32 v42, 0x80000000, v19
	v_pk_fma_f32 v[30:31], v[32:33], v[46:47], v[30:31] op_sel_hi:[1,0,1]
	v_mov_b32_e32 v43, v18
	v_pk_mul_f32 v[32:33], v[30:31], v[40:41] op_sel:[1,0]
	v_add_u32_e32 v13, 0x2000, v3
	v_pk_fma_f32 v[32:33], v[36:37], v[30:31], v[32:33] op_sel_hi:[1,0,1]
	s_waitcnt lgkmcnt(0)
	v_pk_add_f32 v[26:27], v[26:27], v[32:33] neg_lo:[0,1] neg_hi:[0,1]
	ds_write2_b64 v13, v[26:27], v[30:31] offset1:32
	v_pk_mul_f32 v[26:27], v[28:29], v[42:43] op_sel:[1,0]
	v_add_u32_e32 v13, 0x2800, v3
	v_pk_fma_f32 v[18:19], v[18:19], v[28:29], v[26:27] op_sel_hi:[1,0,1]
	s_nop 0
	v_pk_add_f32 v[18:19], v[38:39], v[18:19] neg_lo:[0,1] neg_hi:[0,1]
	ds_write2_b64 v13, v[28:29], v[18:19] offset0:31 offset1:63
	v_pk_add_f32 v[18:19], v[46:47], 0 neg_lo:[1,1] neg_hi:[1,1]
	v_mul_f32_e32 v28, v11, v16
	v_pk_mov_b32 v[26:27], v[46:47], v[18:19] op_sel:[1,0]
	v_pk_mov_b32 v[18:19], v[18:19], v[46:47] op_sel:[1,0]
	v_fmac_f32_e32 v28, v17, v10
	v_pk_mul_f32 v[18:19], v[22:23], v[18:19] op_sel:[1,0]
	v_pk_mul_f32 v[12:13], v[26:27], v[12:13] op_sel_hi:[1,0]
	v_pk_fma_f32 v[18:19], v[46:47], v[22:23], v[18:19] op_sel_hi:[1,0,1]
	v_mul_f32_e64 v22, v11, -v17
	v_fmac_f32_e32 v22, v16, v10
	v_pk_mul_f32 v[26:27], v[26:27], v[28:29] op_sel_hi:[1,0]
	v_xor_b32_e32 v10, 0x80000000, v47
	v_pk_fma_f32 v[22:23], v[46:47], v[22:23], v[26:27] op_sel_hi:[1,0,1] neg_lo:[1,0,0] neg_hi:[1,0,0]
	v_mov_b32_e32 v11, v46
	v_pk_mul_f32 v[26:27], v[22:23], v[20:21] op_sel:[1,1] op_sel_hi:[1,0] neg_lo:[0,1]
	v_pk_mul_f32 v[10:11], v[16:17], v[10:11] op_sel:[1,0]
	v_pk_fma_f32 v[26:27], v[20:21], v[22:23], v[26:27] op_sel_hi:[1,0,1]
	v_pk_fma_f32 v[10:11], v[46:47], v[16:17], v[10:11] op_sel_hi:[1,0,1]
	v_pk_add_f32 v[16:17], v[20:21], 0 neg_lo:[1,1] neg_hi:[1,1]
	v_pk_add_f32 v[8:9], v[8:9], v[26:27] neg_lo:[0,1] neg_hi:[0,1]
	ds_write2_b64 v45, v[8:9], v[22:23] offset1:32
	v_pk_mov_b32 v[8:9], v[20:21], v[16:17] op_sel:[1,0]
	v_pk_fma_f32 v[12:13], v[46:47], v[44:45], v[12:13] op_sel_hi:[1,0,1] neg_lo:[1,0,0] neg_hi:[1,0,0]
	v_pk_mul_f32 v[8:9], v[18:19], v[8:9] op_sel:[1,0]
	s_nop 0
	v_pk_fma_f32 v[8:9], v[20:21], v[18:19], v[8:9] op_sel_hi:[1,0,1] neg_lo:[1,0,0] neg_hi:[1,0,0]
	ds_write2_b64 v3, v[8:9], v[18:19] offset1:32
	v_xor_b32_e32 v8, 0x80000000, v13
	v_mov_b32_e32 v9, v12
	v_pk_mul_f32 v[8:9], v[24:25], v[8:9] op_sel:[1,0]
	s_nop 0
	v_pk_fma_f32 v[8:9], v[12:13], v[24:25], v[8:9] op_sel_hi:[1,0,1]
	s_nop 0
	v_pk_add_f32 v[8:9], v[14:15], v[8:9] neg_lo:[0,1] neg_hi:[0,1]
	ds_write2_b64 v48, v[12:13], v[8:9] offset0:31 offset1:63
	v_pk_add_f32 v[8:9], v[24:25], 0 neg_lo:[1,1] neg_hi:[1,1]
	s_nop 0
	v_pk_mov_b32 v[8:9], v[24:25], v[8:9] op_sel:[1,0]
	s_nop 0
	v_pk_mul_f32 v[8:9], v[10:11], v[8:9] op_sel:[1,0]
	s_nop 0
	v_pk_fma_f32 v[8:9], v[24:25], v[10:11], v[8:9] op_sel_hi:[1,0,1] neg_lo:[1,0,0] neg_hi:[1,0,0]
	ds_write2_b64 v49, v[10:11], v[8:9] offset0:31 offset1:63
.LBB184_24:
	s_or_b64 exec, exec, s[6:7]
	v_cmp_gt_u32_e32 vcc, 2, v0
	s_waitcnt lgkmcnt(0)
	s_barrier
	s_and_saveexec_b64 s[6:7], vcc
	s_cbranch_execz .LBB184_26
; %bb.25:
	v_lshlrev_b32_e32 v3, 10, v0
	ds_read2st64_b64 v[8:11], v3 offset0:8 offset1:9
	v_add_u32_e32 v45, 0x1f8, v3
	ds_read2st64_b64 v[12:15], v45 offset0:4 offset1:5
	ds_read_b64 v[28:29], v3 offset:11256
	s_mov_b64 s[8:9], 0x3f800000
	ds_read2st64_b64 v[16:19], v45 offset0:12 offset1:13
	s_waitcnt lgkmcnt(3)
	v_xor_b32_e32 v20, 0x80000000, v11
	v_mov_b32_e32 v21, v10
	s_waitcnt lgkmcnt(2)
	v_pk_mul_f32 v[20:21], v[12:13], v[20:21] op_sel:[1,0]
	s_waitcnt lgkmcnt(0)
	v_xor_b32_e32 v42, 0x80000000, v19
	v_pk_fma_f32 v[20:21], v[10:11], v[12:13], v[20:21] op_sel_hi:[1,0,1]
	v_mov_b32_e32 v43, v18
	v_pk_add_f32 v[24:25], v[20:21], s[8:9] neg_lo:[1,0] neg_hi:[1,0]
	s_nop 0
	v_mul_f32_e32 v26, v25, v25
	v_fmac_f32_e32 v26, v24, v24
	v_div_scale_f32 v20, s[8:9], v26, v26, 1.0
	v_rcp_f32_e32 v27, v20
	s_nop 0
	v_fma_f32 v21, -v20, v27, 1.0
	v_fmac_f32_e32 v27, v21, v27
	v_div_scale_f32 v21, vcc, 1.0, v26, 1.0
	v_mul_f32_e32 v30, v21, v27
	v_fma_f32 v22, -v20, v30, v21
	v_fmac_f32_e32 v30, v22, v27
	v_fma_f32 v31, -v20, v30, v21
	v_add_u32_e32 v20, 0x2200, v3
	ds_read2_b64 v[20:23], v20 offset1:255
	v_div_fmas_f32 v27, v31, v27, v30
	v_div_fixup_f32 v26, v27, v26, 1.0
	v_fma_f32 v27, v24, 0, -v25
	v_fmac_f32_e32 v24, 0, v25
	s_waitcnt lgkmcnt(0)
	v_pk_mul_f32 v[30:31], v[20:21], v[12:13] op_sel:[1,1] op_sel_hi:[1,0] neg_lo:[0,1]
	v_pk_mul_f32 v[34:35], v[10:11], v[22:23] op_sel:[1,1] op_sel_hi:[1,0] neg_lo:[0,1]
	v_pk_fma_f32 v[30:31], v[12:13], v[20:21], v[30:31] op_sel_hi:[1,0,1]
	v_mov_b32_e32 v25, v27
	v_pk_add_f32 v[30:31], v[22:23], v[30:31] neg_lo:[0,1] neg_hi:[0,1]
	v_pk_fma_f32 v[22:23], v[22:23], v[10:11], v[34:35] op_sel_hi:[1,0,1]
	ds_read_b64 v[34:35], v3
	v_pk_add_f32 v[36:37], v[20:21], v[22:23] neg_lo:[0,1] neg_hi:[0,1]
	ds_read2st64_b64 v[20:23], v3 offset1:1
	v_xor_b32_e32 v32, 0x80000000, v31
	v_mov_b32_e32 v33, v30
	v_pk_mul_f32 v[46:47], v[24:25], v[26:27] op_sel_hi:[1,0]
	v_xor_b32_e32 v38, 0x80000000, v37
	s_waitcnt lgkmcnt(0)
	v_mul_f32_e64 v44, v23, -v13
	v_fmac_f32_e32 v44, v12, v22
	v_mul_f32_e32 v12, v23, v12
	v_fmac_f32_e32 v12, v13, v22
	v_pk_mul_f32 v[24:25], v[46:47], v[32:33] op_sel:[1,0]
	v_add_u32_e32 v13, 0x1a00, v3
	v_mov_b32_e32 v39, v36
	v_pk_fma_f32 v[30:31], v[30:31], v[46:47], v[24:25] op_sel_hi:[1,0,1]
	ds_read2_b64 v[24:27], v13 offset0:63 offset1:192
	v_pk_mul_f32 v[32:33], v[46:47], v[38:39] op_sel:[1,0]
	v_xor_b32_e32 v40, 0x80000000, v35
	v_mov_b32_e32 v41, v34
	v_pk_fma_f32 v[32:33], v[36:37], v[46:47], v[32:33] op_sel_hi:[1,0,1]
	s_nop 0
	v_pk_mul_f32 v[36:37], v[32:33], v[40:41] op_sel:[1,0]
	s_nop 0
	v_pk_fma_f32 v[34:35], v[34:35], v[32:33], v[36:37] op_sel_hi:[1,0,1]
	s_waitcnt lgkmcnt(0)
	v_pk_add_f32 v[26:27], v[26:27], v[34:35] neg_lo:[0,1] neg_hi:[0,1]
	ds_write2st64_b64 v3, v[26:27], v[32:33] offset0:16 offset1:17
	v_pk_mul_f32 v[26:27], v[30:31], v[42:43] op_sel:[1,0]
	s_nop 0
	v_pk_fma_f32 v[18:19], v[18:19], v[30:31], v[26:27] op_sel_hi:[1,0,1]
	s_nop 0
	v_pk_add_f32 v[18:19], v[28:29], v[18:19] neg_lo:[0,1] neg_hi:[0,1]
	ds_write2st64_b64 v45, v[30:31], v[18:19] offset0:20 offset1:21
	v_pk_add_f32 v[18:19], v[46:47], 0 neg_lo:[1,1] neg_hi:[1,1]
	v_mul_f32_e32 v28, v11, v16
	v_pk_mov_b32 v[26:27], v[46:47], v[18:19] op_sel:[1,0]
	v_pk_mov_b32 v[18:19], v[18:19], v[46:47] op_sel:[1,0]
	v_fmac_f32_e32 v28, v17, v10
	v_pk_mul_f32 v[18:19], v[22:23], v[18:19] op_sel:[1,0]
	v_pk_mul_f32 v[12:13], v[26:27], v[12:13] op_sel_hi:[1,0]
	v_pk_fma_f32 v[18:19], v[46:47], v[22:23], v[18:19] op_sel_hi:[1,0,1]
	v_mul_f32_e64 v22, v11, -v17
	v_fmac_f32_e32 v22, v16, v10
	v_pk_mul_f32 v[26:27], v[26:27], v[28:29] op_sel_hi:[1,0]
	v_xor_b32_e32 v10, 0x80000000, v47
	v_pk_fma_f32 v[22:23], v[46:47], v[22:23], v[26:27] op_sel_hi:[1,0,1] neg_lo:[1,0,0] neg_hi:[1,0,0]
	v_mov_b32_e32 v11, v46
	v_pk_mul_f32 v[26:27], v[22:23], v[20:21] op_sel:[1,1] op_sel_hi:[1,0] neg_lo:[0,1]
	v_pk_mul_f32 v[10:11], v[16:17], v[10:11] op_sel:[1,0]
	v_pk_fma_f32 v[26:27], v[20:21], v[22:23], v[26:27] op_sel_hi:[1,0,1]
	v_pk_fma_f32 v[10:11], v[46:47], v[16:17], v[10:11] op_sel_hi:[1,0,1]
	v_pk_add_f32 v[16:17], v[20:21], 0 neg_lo:[1,1] neg_hi:[1,1]
	v_pk_add_f32 v[8:9], v[8:9], v[26:27] neg_lo:[0,1] neg_hi:[0,1]
	ds_write2st64_b64 v3, v[8:9], v[22:23] offset0:8 offset1:9
	v_pk_mov_b32 v[8:9], v[20:21], v[16:17] op_sel:[1,0]
	v_pk_fma_f32 v[12:13], v[46:47], v[44:45], v[12:13] op_sel_hi:[1,0,1] neg_lo:[1,0,0] neg_hi:[1,0,0]
	v_pk_mul_f32 v[8:9], v[18:19], v[8:9] op_sel:[1,0]
	s_nop 0
	v_pk_fma_f32 v[8:9], v[20:21], v[18:19], v[8:9] op_sel_hi:[1,0,1] neg_lo:[1,0,0] neg_hi:[1,0,0]
	ds_write2st64_b64 v3, v[8:9], v[18:19] offset1:1
	v_xor_b32_e32 v8, 0x80000000, v13
	v_mov_b32_e32 v9, v12
	v_pk_mul_f32 v[8:9], v[24:25], v[8:9] op_sel:[1,0]
	s_nop 0
	v_pk_fma_f32 v[8:9], v[12:13], v[24:25], v[8:9] op_sel_hi:[1,0,1]
	s_nop 0
	v_pk_add_f32 v[8:9], v[14:15], v[8:9] neg_lo:[0,1] neg_hi:[0,1]
	ds_write2st64_b64 v45, v[12:13], v[8:9] offset0:4 offset1:5
	v_pk_add_f32 v[8:9], v[24:25], 0 neg_lo:[1,1] neg_hi:[1,1]
	s_nop 0
	v_pk_mov_b32 v[8:9], v[24:25], v[8:9] op_sel:[1,0]
	s_nop 0
	v_pk_mul_f32 v[8:9], v[10:11], v[8:9] op_sel:[1,0]
	s_nop 0
	v_pk_fma_f32 v[8:9], v[24:25], v[10:11], v[8:9] op_sel_hi:[1,0,1] neg_lo:[1,0,0] neg_hi:[1,0,0]
	ds_write2st64_b64 v45, v[10:11], v[8:9] offset0:12 offset1:13
.LBB184_26:
	s_or_b64 exec, exec, s[6:7]
	s_mov_b32 s11, 0
	v_cmp_eq_u32_e64 s[6:7], 0, v0
	s_waitcnt lgkmcnt(0)
	s_barrier
	s_and_saveexec_b64 s[8:9], s[6:7]
	s_cbranch_execz .LBB184_28
; %bb.27:
	v_mov_b32_e32 v3, 0
	s_movk_i32 s10, 0x1f8
	ds_read2st64_b64 v[8:11], v3 offset0:8 offset1:10
	v_add_u32_e64 v24, s10, 0
	ds_read2st64_b64 v[12:15], v24 offset0:5 offset1:7
	s_mov_b32 s10, 1.0
	v_mov_b32_e32 v42, 0x1ff8
	s_waitcnt lgkmcnt(1)
	v_xor_b32_e32 v16, 0x80000000, v11
	v_mov_b32_e32 v17, v10
	s_waitcnt lgkmcnt(0)
	v_pk_mul_f32 v[16:17], v[12:13], v[16:17] op_sel:[1,0]
	s_nop 0
	v_pk_fma_f32 v[16:17], v[10:11], v[12:13], v[16:17] op_sel_hi:[1,0,1]
	s_nop 0
	v_pk_add_f32 v[26:27], v[16:17], s[10:11] neg_lo:[1,0] neg_hi:[1,0]
	s_nop 0
	v_mul_f32_e32 v0, v27, v27
	v_fmac_f32_e32 v0, v26, v26
	v_div_scale_f32 v16, s[10:11], v0, v0, 1.0
	v_rcp_f32_e32 v20, v16
	s_movk_i32 s10, 0x2400
	v_add_u32_e64 v39, s10, 0
	v_fma_f32 v40, v26, 0, -v27
	v_fma_f32 v17, -v16, v20, 1.0
	v_fmac_f32_e32 v20, v17, v20
	v_div_scale_f32 v17, vcc, 1.0, v0, 1.0
	v_mul_f32_e32 v21, v17, v20
	v_fma_f32 v18, -v16, v21, v17
	v_fmac_f32_e32 v21, v18, v20
	v_fma_f32 v22, -v16, v21, v17
	ds_read2_b64 v[16:19], v39 offset1:255
	v_div_fmas_f32 v20, v22, v20, v21
	v_div_fixup_f32 v0, v20, v0, 1.0
	v_fmac_f32_e32 v26, 0, v27
	v_mov_b32_e32 v27, v40
	s_waitcnt lgkmcnt(0)
	v_pk_mul_f32 v[20:21], v[16:17], v[12:13] op_sel:[1,1] op_sel_hi:[1,0] neg_lo:[0,1]
	v_pk_mul_f32 v[40:41], v[26:27], v[0:1] op_sel_hi:[1,0]
	v_pk_fma_f32 v[20:21], v[12:13], v[16:17], v[20:21] op_sel_hi:[1,0,1]
	s_movk_i32 s10, 0x1400
	v_pk_add_f32 v[28:29], v[18:19], v[20:21] neg_lo:[0,1] neg_hi:[0,1]
	v_pk_mul_f32 v[20:21], v[10:11], v[18:19] op_sel:[1,1] op_sel_hi:[1,0] neg_lo:[0,1]
	v_xor_b32_e32 v30, 0x80000000, v29
	v_pk_fma_f32 v[22:23], v[18:19], v[10:11], v[20:21] op_sel_hi:[1,0,1]
	ds_read2st64_b64 v[18:21], v3 offset1:2
	v_mov_b32_e32 v31, v28
	v_pk_add_f32 v[16:17], v[16:17], v[22:23] neg_lo:[0,1] neg_hi:[0,1]
	v_pk_mul_f32 v[26:27], v[40:41], v[30:31] op_sel:[1,0]
	v_xor_b32_e32 v32, 0x80000000, v17
	v_mov_b32_e32 v33, v16
	ds_read2st64_b64 v[22:25], v24 offset0:13 offset1:15
	v_pk_fma_f32 v[30:31], v[28:29], v[40:41], v[26:27] op_sel_hi:[1,0,1]
	v_pk_mul_f32 v[26:27], v[40:41], v[32:33] op_sel:[1,0]
	s_waitcnt lgkmcnt(1)
	v_xor_b32_e32 v34, 0x80000000, v19
	v_pk_fma_f32 v[16:17], v[16:17], v[40:41], v[26:27] op_sel_hi:[1,0,1]
	ds_read2_b64 v[26:29], v42 offset1:1
	v_mov_b32_e32 v35, v18
	v_pk_mul_f32 v[32:33], v[16:17], v[34:35] op_sel:[1,0]
	ds_read_b64 v[34:35], v3 offset:12280
	s_waitcnt lgkmcnt(2)
	v_xor_b32_e32 v36, 0x80000000, v25
	v_mov_b32_e32 v37, v24
	ds_write2_b64 v39, v[16:17], v[30:31] offset1:255
	v_pk_fma_f32 v[16:17], v[18:19], v[16:17], v[32:33] op_sel_hi:[1,0,1]
	v_mul_f32_e64 v38, v21, -v13
	s_waitcnt lgkmcnt(2)
	v_pk_add_f32 v[16:17], v[28:29], v[16:17] neg_lo:[0,1] neg_hi:[0,1]
	v_pk_mul_f32 v[28:29], v[30:31], v[36:37] op_sel:[1,0]
	v_fmac_f32_e32 v38, v12, v20
	v_pk_fma_f32 v[24:25], v[24:25], v[30:31], v[28:29] op_sel_hi:[1,0,1]
	v_mul_f32_e32 v12, v21, v12
	s_waitcnt lgkmcnt(1)
	v_pk_add_f32 v[24:25], v[34:35], v[24:25] neg_lo:[0,1] neg_hi:[0,1]
	ds_write_b64 v3, v[24:25] offset:12280
	v_xor_b32_e32 v24, 0x80000000, v41
	v_mov_b32_e32 v25, v40
	v_pk_mul_f32 v[30:31], v[20:21], v[24:25] op_sel:[1,0]
	v_fmac_f32_e32 v12, v13, v20
	v_pk_fma_f32 v[20:21], v[40:41], v[20:21], v[30:31] op_sel_hi:[1,0,1]
	v_mul_f32_e32 v30, v11, v22
	v_xor_b32_e32 v29, 0x80000000, v40
	v_mov_b32_e32 v28, v41
	v_mul_f32_e64 v0, v11, -v23
	v_fmac_f32_e32 v30, v23, v10
	v_fmac_f32_e32 v0, v22, v10
	v_pk_mul_f32 v[10:11], v[28:29], v[30:31] op_sel_hi:[1,0]
	v_pk_mul_f32 v[24:25], v[22:23], v[24:25] op_sel:[1,0]
	v_pk_fma_f32 v[10:11], v[40:41], v[0:1], v[10:11] op_sel_hi:[1,0,1] neg_lo:[1,0,0] neg_hi:[1,0,0]
	v_pk_mul_f32 v[12:13], v[28:29], v[12:13] op_sel_hi:[1,0]
	v_pk_fma_f32 v[22:23], v[40:41], v[22:23], v[24:25] op_sel_hi:[1,0,1]
	v_add_u32_e64 v0, s10, 0
	v_pk_mul_f32 v[28:29], v[10:11], v[18:19] op_sel:[1,1] op_sel_hi:[1,0] neg_lo:[0,1]
	ds_write2_b64 v0, v[10:11], v[22:23] offset1:255
	v_xor_b32_e32 v25, 0x80000000, v18
	v_pk_fma_f32 v[10:11], v[18:19], v[10:11], v[28:29] op_sel_hi:[1,0,1]
	v_mov_b32_e32 v24, v19
	v_pk_add_f32 v[8:9], v[8:9], v[10:11] neg_lo:[0,1] neg_hi:[0,1]
	v_pk_mul_f32 v[10:11], v[20:21], v[24:25] op_sel:[1,0]
	v_pk_fma_f32 v[12:13], v[40:41], v[38:39], v[12:13] op_sel_hi:[1,0,1] neg_lo:[1,0,0] neg_hi:[1,0,0]
	v_pk_fma_f32 v[10:11], v[18:19], v[20:21], v[10:11] op_sel_hi:[1,0,1] neg_lo:[1,0,0] neg_hi:[1,0,0]
	ds_write2st64_b64 v3, v[10:11], v[20:21] offset1:2
	v_xor_b32_e32 v10, 0x80000000, v13
	v_mov_b32_e32 v11, v12
	v_pk_mul_f32 v[10:11], v[26:27], v[10:11] op_sel:[1,0]
	v_mov_b32_e32 v0, 0xff8
	v_pk_fma_f32 v[10:11], v[12:13], v[26:27], v[10:11] op_sel_hi:[1,0,1]
	ds_write_b64 v3, v[12:13] offset:3064
	v_pk_add_f32 v[10:11], v[14:15], v[10:11] neg_lo:[0,1] neg_hi:[0,1]
	ds_write2_b64 v0, v[10:11], v[8:9] offset1:1
	v_xor_b32_e32 v9, 0x80000000, v26
	v_mov_b32_e32 v8, v27
	v_pk_mul_f32 v[8:9], v[22:23], v[8:9] op_sel:[1,0]
	s_nop 0
	v_pk_fma_f32 v[8:9], v[26:27], v[22:23], v[8:9] op_sel_hi:[1,0,1] neg_lo:[1,0,0] neg_hi:[1,0,0]
	ds_write2_b64 v42, v[8:9], v[16:17] offset1:1
.LBB184_28:
	s_or_b64 exec, exec, s[8:9]
	s_load_dwordx2 s[14:15], s[0:1], 0x48
	s_load_dwordx4 s[8:11], s[0:1], 0x38
	s_waitcnt lgkmcnt(0)
	s_barrier
	s_and_saveexec_b64 s[16:17], s[4:5]
	s_cbranch_execnz .LBB184_31
; %bb.29:
	s_or_b64 exec, exec, s[16:17]
	s_and_saveexec_b64 s[4:5], s[6:7]
	s_cbranch_execnz .LBB184_35
.LBB184_30:
	s_endpgm
.LBB184_31:
	s_cmp_eq_u32 s3, 0
	s_cbranch_scc1 .LBB184_39
; %bb.32:
	v_add_u32_e32 v0, s18, v2
	s_cbranch_execnz .LBB184_34
.LBB184_33:
	s_load_dwordx4 s[20:23], s[0:1], 0x28
	ds_read2st64_b64 v[8:11], v5 offset1:4
	v_ashrrev_i32_e32 v3, 31, v2
	v_lshlrev_b64 v[12:13], 3, v[2:3]
	v_mov_b32_e32 v5, 0
	s_waitcnt lgkmcnt(0)
	v_lshl_add_u64 v[2:3], s[20:21], 0, v[12:13]
	global_store_dwordx2 v[2:3], v[8:9], off
	ds_read2st64_b64 v[0:3], v1 offset1:4
	v_lshlrev_b64 v[8:9], 3, v[4:5]
	v_lshl_add_u64 v[14:15], s[20:21], 0, v[8:9]
	global_store_dwordx2 v[14:15], v[10:11], off
	v_lshl_add_u64 v[10:11], s[22:23], 0, v[12:13]
	s_waitcnt lgkmcnt(0)
	global_store_dwordx2 v[10:11], v[0:1], off
	v_lshl_add_u64 v[0:1], s[22:23], 0, v[8:9]
	global_store_dwordx2 v[0:1], v[2:3], off
	v_mov_b32_e32 v0, v4
.LBB184_34:
	ds_read2st64_b64 v[2:5], v7 offset1:4
	v_ashrrev_i32_e32 v7, 31, v6
	v_add_u32_e32 v0, s19, v0
	v_mov_b32_e32 v1, 0
	v_lshl_add_u64 v[6:7], v[6:7], 3, s[12:13]
	v_lshl_add_u64 v[0:1], v[0:1], 3, s[12:13]
	s_waitcnt lgkmcnt(0)
	global_store_dwordx2 v[6:7], v[2:3], off
	global_store_dwordx2 v[0:1], v[4:5], off
	s_or_b64 exec, exec, s[16:17]
	s_and_saveexec_b64 s[4:5], s[6:7]
	s_cbranch_execz .LBB184_30
.LBB184_35:
	s_cmp_eq_u32 s3, 0
	s_cbranch_scc1 .LBB184_40
; %bb.36:
	s_load_dword s6, s[0:1], 0x50
	s_cbranch_execnz .LBB184_38
.LBB184_37:
	s_waitcnt lgkmcnt(0)
	s_load_dword s6, s[0:1], 0x50
	v_mov_b32_e32 v0, 0xff8
	s_mov_b32 s4, s3
	s_ashr_i32 s3, s2, 31
	ds_read2_b64 v[6:9], v0 offset1:1
	s_lshl_b64 s[12:13], s[2:3], 3
	v_mov_b32_e32 v4, 0
	s_mov_b32 s3, s4
	s_add_u32 s4, s10, s12
	ds_read_b64 v[2:3], v4 offset:8184
	s_addc_u32 s5, s11, s13
	s_waitcnt lgkmcnt(0)
	s_add_i32 s0, s6, s2
	s_mov_b32 s1, 0
	s_lshl_b64 s[0:1], s[0:1], 3
	global_store_dwordx2 v4, v[8:9], s[4:5]
	s_add_u32 s4, s10, s0
	ds_read_b64 v[0:1], v4
	s_addc_u32 s5, s11, s1
	global_store_dwordx2 v4, v[2:3], s[4:5]
	s_add_u32 s4, s14, s12
	s_addc_u32 s5, s15, s13
	s_add_u32 s0, s14, s0
	s_addc_u32 s1, s15, s1
	s_waitcnt lgkmcnt(0)
	global_store_dwordx2 v4, v[0:1], s[4:5]
	global_store_dwordx2 v4, v[6:7], s[0:1]
.LBB184_38:
	s_waitcnt lgkmcnt(0)
	s_mul_i32 s0, s6, s3
	s_lshl_b32 s0, s0, 1
	s_add_i32 s0, s0, s2
	s_mov_b32 s1, 0
	v_mov_b32_e32 v4, 0
	s_lshl_b64 s[2:3], s[0:1], 3
	ds_read_b64 v[0:1], v4 offset:8192
	ds_read_b64 v[2:3], v4 offset:12280
	s_add_u32 s2, s8, s2
	s_addc_u32 s3, s9, s3
	s_add_i32 s0, s0, s6
	s_lshl_b64 s[0:1], s[0:1], 3
	s_add_u32 s0, s8, s0
	s_addc_u32 s1, s9, s1
	s_waitcnt lgkmcnt(1)
	global_store_dwordx2 v4, v[0:1], s[2:3]
	s_waitcnt lgkmcnt(0)
	global_store_dwordx2 v4, v[2:3], s[0:1]
	s_endpgm
.LBB184_39:
                                        ; implicit-def: $vgpr0
	s_branch .LBB184_33
.LBB184_40:
                                        ; implicit-def: $sgpr6
	s_branch .LBB184_37
	.section	.rodata,"a",@progbits
	.p2align	6, 0x0
	.amdhsa_kernel _ZN9rocsparseL29gtsv_spike_block_level_kernelILj256ELj2E21rocsparse_complex_numIfEEEviiiPT1_PKS3_S6_S4_S4_S4_S4_S4_
		.amdhsa_group_segment_fixed_size 12288
		.amdhsa_private_segment_fixed_size 0
		.amdhsa_kernarg_size 336
		.amdhsa_user_sgpr_count 2
		.amdhsa_user_sgpr_dispatch_ptr 0
		.amdhsa_user_sgpr_queue_ptr 0
		.amdhsa_user_sgpr_kernarg_segment_ptr 1
		.amdhsa_user_sgpr_dispatch_id 0
		.amdhsa_user_sgpr_kernarg_preload_length 0
		.amdhsa_user_sgpr_kernarg_preload_offset 0
		.amdhsa_user_sgpr_private_segment_size 0
		.amdhsa_uses_dynamic_stack 0
		.amdhsa_enable_private_segment 0
		.amdhsa_system_sgpr_workgroup_id_x 1
		.amdhsa_system_sgpr_workgroup_id_y 1
		.amdhsa_system_sgpr_workgroup_id_z 0
		.amdhsa_system_sgpr_workgroup_info 0
		.amdhsa_system_vgpr_workitem_id 0
		.amdhsa_next_free_vgpr 50
		.amdhsa_next_free_sgpr 24
		.amdhsa_accum_offset 52
		.amdhsa_reserve_vcc 1
		.amdhsa_float_round_mode_32 0
		.amdhsa_float_round_mode_16_64 0
		.amdhsa_float_denorm_mode_32 3
		.amdhsa_float_denorm_mode_16_64 3
		.amdhsa_dx10_clamp 1
		.amdhsa_ieee_mode 1
		.amdhsa_fp16_overflow 0
		.amdhsa_tg_split 0
		.amdhsa_exception_fp_ieee_invalid_op 0
		.amdhsa_exception_fp_denorm_src 0
		.amdhsa_exception_fp_ieee_div_zero 0
		.amdhsa_exception_fp_ieee_overflow 0
		.amdhsa_exception_fp_ieee_underflow 0
		.amdhsa_exception_fp_ieee_inexact 0
		.amdhsa_exception_int_div_zero 0
	.end_amdhsa_kernel
	.section	.text._ZN9rocsparseL29gtsv_spike_block_level_kernelILj256ELj2E21rocsparse_complex_numIfEEEviiiPT1_PKS3_S6_S4_S4_S4_S4_S4_,"axG",@progbits,_ZN9rocsparseL29gtsv_spike_block_level_kernelILj256ELj2E21rocsparse_complex_numIfEEEviiiPT1_PKS3_S6_S4_S4_S4_S4_S4_,comdat
.Lfunc_end184:
	.size	_ZN9rocsparseL29gtsv_spike_block_level_kernelILj256ELj2E21rocsparse_complex_numIfEEEviiiPT1_PKS3_S6_S4_S4_S4_S4_S4_, .Lfunc_end184-_ZN9rocsparseL29gtsv_spike_block_level_kernelILj256ELj2E21rocsparse_complex_numIfEEEviiiPT1_PKS3_S6_S4_S4_S4_S4_S4_
                                        ; -- End function
	.set _ZN9rocsparseL29gtsv_spike_block_level_kernelILj256ELj2E21rocsparse_complex_numIfEEEviiiPT1_PKS3_S6_S4_S4_S4_S4_S4_.num_vgpr, 50
	.set _ZN9rocsparseL29gtsv_spike_block_level_kernelILj256ELj2E21rocsparse_complex_numIfEEEviiiPT1_PKS3_S6_S4_S4_S4_S4_S4_.num_agpr, 0
	.set _ZN9rocsparseL29gtsv_spike_block_level_kernelILj256ELj2E21rocsparse_complex_numIfEEEviiiPT1_PKS3_S6_S4_S4_S4_S4_S4_.numbered_sgpr, 24
	.set _ZN9rocsparseL29gtsv_spike_block_level_kernelILj256ELj2E21rocsparse_complex_numIfEEEviiiPT1_PKS3_S6_S4_S4_S4_S4_S4_.num_named_barrier, 0
	.set _ZN9rocsparseL29gtsv_spike_block_level_kernelILj256ELj2E21rocsparse_complex_numIfEEEviiiPT1_PKS3_S6_S4_S4_S4_S4_S4_.private_seg_size, 0
	.set _ZN9rocsparseL29gtsv_spike_block_level_kernelILj256ELj2E21rocsparse_complex_numIfEEEviiiPT1_PKS3_S6_S4_S4_S4_S4_S4_.uses_vcc, 1
	.set _ZN9rocsparseL29gtsv_spike_block_level_kernelILj256ELj2E21rocsparse_complex_numIfEEEviiiPT1_PKS3_S6_S4_S4_S4_S4_S4_.uses_flat_scratch, 0
	.set _ZN9rocsparseL29gtsv_spike_block_level_kernelILj256ELj2E21rocsparse_complex_numIfEEEviiiPT1_PKS3_S6_S4_S4_S4_S4_S4_.has_dyn_sized_stack, 0
	.set _ZN9rocsparseL29gtsv_spike_block_level_kernelILj256ELj2E21rocsparse_complex_numIfEEEviiiPT1_PKS3_S6_S4_S4_S4_S4_S4_.has_recursion, 0
	.set _ZN9rocsparseL29gtsv_spike_block_level_kernelILj256ELj2E21rocsparse_complex_numIfEEEviiiPT1_PKS3_S6_S4_S4_S4_S4_S4_.has_indirect_call, 0
	.section	.AMDGPU.csdata,"",@progbits
; Kernel info:
; codeLenInByte = 7608
; TotalNumSgprs: 30
; NumVgprs: 50
; NumAgprs: 0
; TotalNumVgprs: 50
; ScratchSize: 0
; MemoryBound: 0
; FloatMode: 240
; IeeeMode: 1
; LDSByteSize: 12288 bytes/workgroup (compile time only)
; SGPRBlocks: 3
; VGPRBlocks: 6
; NumSGPRsForWavesPerEU: 30
; NumVGPRsForWavesPerEU: 50
; AccumOffset: 52
; Occupancy: 8
; WaveLimiterHint : 0
; COMPUTE_PGM_RSRC2:SCRATCH_EN: 0
; COMPUTE_PGM_RSRC2:USER_SGPR: 2
; COMPUTE_PGM_RSRC2:TRAP_HANDLER: 0
; COMPUTE_PGM_RSRC2:TGID_X_EN: 1
; COMPUTE_PGM_RSRC2:TGID_Y_EN: 1
; COMPUTE_PGM_RSRC2:TGID_Z_EN: 0
; COMPUTE_PGM_RSRC2:TIDIG_COMP_CNT: 0
; COMPUTE_PGM_RSRC3_GFX90A:ACCUM_OFFSET: 12
; COMPUTE_PGM_RSRC3_GFX90A:TG_SPLIT: 0
	.section	.text._ZN9rocsparseL34gtsv_solve_spike_grid_level_kernelILj2E21rocsparse_complex_numIfEEEviiiPT0_PKS3_S6_,"axG",@progbits,_ZN9rocsparseL34gtsv_solve_spike_grid_level_kernelILj2E21rocsparse_complex_numIfEEEviiiPT0_PKS3_S6_,comdat
	.globl	_ZN9rocsparseL34gtsv_solve_spike_grid_level_kernelILj2E21rocsparse_complex_numIfEEEviiiPT0_PKS3_S6_ ; -- Begin function _ZN9rocsparseL34gtsv_solve_spike_grid_level_kernelILj2E21rocsparse_complex_numIfEEEviiiPT0_PKS3_S6_
	.p2align	8
	.type	_ZN9rocsparseL34gtsv_solve_spike_grid_level_kernelILj2E21rocsparse_complex_numIfEEEviiiPT0_PKS3_S6_,@function
_ZN9rocsparseL34gtsv_solve_spike_grid_level_kernelILj2E21rocsparse_complex_numIfEEEviiiPT0_PKS3_S6_: ; @_ZN9rocsparseL34gtsv_solve_spike_grid_level_kernelILj2E21rocsparse_complex_numIfEEEviiiPT0_PKS3_S6_
; %bb.0:
	s_load_dwordx4 s[4:7], s[0:1], 0x10
	s_load_dwordx2 s[8:9], s[0:1], 0x20
	v_lshl_or_b32 v4, s3, 2, v0
	v_mov_b32_e32 v5, 0
	v_lshlrev_b32_e32 v20, 3, v0
	s_waitcnt lgkmcnt(0)
	v_lshl_add_u64 v[2:3], v[4:5], 3, s[4:5]
	v_or_b32_e32 v4, 2, v4
	global_load_dwordx2 v[8:9], v20, s[6:7]
	global_load_dwordx2 v[10:11], v20, s[6:7] offset:16
	global_load_dwordx2 v[12:13], v20, s[8:9]
	global_load_dwordx2 v[14:15], v20, s[8:9] offset:16
	v_lshl_add_u64 v[6:7], v[4:5], 3, s[4:5]
	global_load_dwordx2 v[16:17], v[2:3], off
	global_load_dwordx2 v[18:19], v[6:7], off
	s_mov_b32 s3, 0
	v_or_b32_e32 v1, 64, v20
	v_cmp_eq_u32_e32 vcc, 0, v0
	s_waitcnt vmcnt(4)
	ds_write2_b64 v20, v[8:9], v[10:11] offset0:4 offset1:6
	s_waitcnt vmcnt(2)
	ds_write2_b64 v20, v[12:13], v[14:15] offset1:2
	s_waitcnt vmcnt(0)
	ds_write2_b64 v20, v[16:17], v[18:19] offset0:8 offset1:10
	s_waitcnt lgkmcnt(0)
	; wave barrier
	s_and_saveexec_b64 s[0:1], vcc
	s_cbranch_execz .LBB185_2
; %bb.1:
	ds_read2_b64 v[8:11], v5 offset0:5 offset1:6
	ds_read2_b64 v[12:15], v5 offset0:2 offset1:4
	s_mov_b32 s2, 1.0
	ds_read_b64 v[30:31], v5 offset:88
	s_waitcnt lgkmcnt(2)
	v_xor_b32_e32 v16, 0x80000000, v9
	v_mov_b32_e32 v17, v8
	s_waitcnt lgkmcnt(1)
	v_pk_mul_f32 v[16:17], v[12:13], v[16:17] op_sel:[1,0]
	s_nop 0
	v_pk_fma_f32 v[16:17], v[8:9], v[12:13], v[16:17] op_sel_hi:[1,0,1]
	s_nop 0
	v_pk_add_f32 v[24:25], v[16:17], s[2:3] neg_lo:[1,0] neg_hi:[1,0]
	ds_read_b128 v[16:19], v5
	v_mul_f32_e32 v0, v25, v25
	v_fmac_f32_e32 v0, v24, v24
	v_div_scale_f32 v4, s[2:3], v0, v0, 1.0
	v_rcp_f32_e32 v20, v4
	v_div_scale_f32 v21, vcc, 1.0, v0, 1.0
	v_fma_f32 v36, v24, 0, -v25
	v_fma_f32 v22, -v4, v20, 1.0
	v_fmac_f32_e32 v20, v22, v20
	v_mul_f32_e32 v22, v21, v20
	v_fma_f32 v23, -v4, v22, v21
	v_fmac_f32_e32 v22, v23, v20
	v_fma_f32 v4, -v4, v22, v21
	v_div_fmas_f32 v4, v4, v20, v22
	ds_read2_b64 v[20:23], v5 offset0:9 offset1:10
	v_div_fixup_f32 v0, v4, v0, 1.0
	v_fmac_f32_e32 v24, 0, v25
	v_mov_b32_e32 v25, v36
	v_pk_mul_f32 v[36:37], v[24:25], v[0:1] op_sel_hi:[1,0]
	s_waitcnt lgkmcnt(0)
	v_pk_mul_f32 v[26:27], v[20:21], v[12:13] op_sel:[1,1] op_sel_hi:[1,0] neg_lo:[0,1]
	v_pk_mul_f32 v[32:33], v[8:9], v[22:23] op_sel:[1,1] op_sel_hi:[1,0] neg_lo:[0,1]
	v_pk_fma_f32 v[26:27], v[12:13], v[20:21], v[26:27] op_sel_hi:[1,0,1]
	s_nop 0
	v_pk_add_f32 v[26:27], v[22:23], v[26:27] neg_lo:[0,1] neg_hi:[0,1]
	v_pk_fma_f32 v[22:23], v[22:23], v[8:9], v[32:33] op_sel_hi:[1,0,1]
	v_xor_b32_e32 v28, 0x80000000, v27
	v_mov_b32_e32 v29, v26
	v_pk_add_f32 v[32:33], v[20:21], v[22:23] neg_lo:[0,1] neg_hi:[0,1]
	ds_read2_b64 v[20:23], v5 offset0:7 offset1:8
	v_xor_b32_e32 v34, 0x80000000, v33
	v_mov_b32_e32 v35, v32
	v_pk_mul_f32 v[24:25], v[36:37], v[28:29] op_sel:[1,0]
	v_mul_f32_e64 v4, v19, -v13
	v_pk_fma_f32 v[38:39], v[26:27], v[36:37], v[24:25] op_sel_hi:[1,0,1]
	v_pk_mul_f32 v[24:25], v[36:37], v[34:35] op_sel:[1,0]
	v_fmac_f32_e32 v4, v12, v18
	v_pk_fma_f32 v[24:25], v[32:33], v[36:37], v[24:25] op_sel_hi:[1,0,1]
	v_mul_f32_e32 v12, v19, v12
	v_pk_mul_f32 v[26:27], v[24:25], v[16:17] op_sel:[1,1] op_sel_hi:[1,0] neg_lo:[0,1]
	v_fmac_f32_e32 v12, v13, v18
	v_pk_fma_f32 v[32:33], v[16:17], v[24:25], v[26:27] op_sel_hi:[1,0,1]
	v_xor_b32_e32 v35, 0x80000000, v36
	v_mov_b32_e32 v34, v37
	v_pk_mul_f32 v[12:13], v[34:35], v[12:13] op_sel_hi:[1,0]
	s_waitcnt lgkmcnt(0)
	v_pk_add_f32 v[22:23], v[22:23], v[32:33] neg_lo:[0,1] neg_hi:[0,1]
	v_pk_fma_f32 v[12:13], v[36:37], v[4:5], v[12:13] op_sel_hi:[1,0,1] neg_lo:[1,0,0] neg_hi:[1,0,0]
	ds_write_b128 v5, v[22:25] offset:64
	v_xor_b32_e32 v22, 0x80000000, v37
	v_mov_b32_e32 v0, v19
	v_mov_b32_e32 v23, v36
	v_mul_f32_e32 v4, v9, v10
	ds_write_b64 v5, v[12:13] offset:16
	v_pk_mul_f32 v[12:13], v[0:1], v[22:23] op_sel_hi:[0,1]
	v_mul_f32_e64 v0, v9, -v11
	v_fmac_f32_e32 v4, v11, v8
	v_fmac_f32_e32 v0, v10, v8
	v_pk_mul_f32 v[8:9], v[34:35], v[4:5] op_sel_hi:[1,0]
	ds_read_b128 v[26:29], v5 offset:16
	v_pk_fma_f32 v[12:13], v[36:37], v[18:19], v[12:13] op_sel_hi:[1,0,1]
	v_pk_fma_f32 v[8:9], v[36:37], v[0:1], v[8:9] op_sel_hi:[1,0,1] neg_lo:[1,0,0] neg_hi:[1,0,0]
	v_pk_mul_f32 v[18:19], v[10:11], v[22:23] op_sel:[1,0]
	s_nop 0
	v_pk_fma_f32 v[18:19], v[36:37], v[10:11], v[18:19] op_sel_hi:[1,0,1]
	v_pk_mul_f32 v[10:11], v[8:9], v[16:17] op_sel:[1,1] op_sel_hi:[1,0] neg_lo:[0,1]
	ds_write2_b64 v5, v[8:9], v[18:19] offset0:5 offset1:6
	v_pk_fma_f32 v[8:9], v[16:17], v[8:9], v[10:11] op_sel_hi:[1,0,1]
	v_xor_b32_e32 v11, 0x80000000, v16
	v_mov_b32_e32 v10, v17
	v_pk_mul_f32 v[10:11], v[10:11], v[12:13] op_sel:[0,1]
	v_pk_add_f32 v[8:9], v[14:15], v[8:9] neg_lo:[0,1] neg_hi:[0,1]
	v_pk_fma_f32 v[10:11], v[16:17], v[12:13], v[10:11] op_sel_hi:[1,0,1] neg_lo:[1,0,0] neg_hi:[1,0,0]
	ds_write_b128 v5, v[10:13]
	s_waitcnt lgkmcnt(2)
	v_pk_mul_f32 v[10:11], v[20:21], v[26:27] op_sel:[1,1] op_sel_hi:[1,0] neg_lo:[0,1]
	s_nop 0
	v_pk_fma_f32 v[10:11], v[26:27], v[20:21], v[10:11] op_sel_hi:[1,0,1]
	s_nop 0
	v_pk_add_f32 v[10:11], v[28:29], v[10:11] neg_lo:[0,1] neg_hi:[0,1]
	ds_write2_b64 v5, v[10:11], v[8:9] offset0:3 offset1:4
	v_xor_b32_e32 v8, 0x80000000, v21
	v_mov_b32_e32 v9, v20
	v_pk_mul_f32 v[8:9], v[38:39], v[8:9] op_sel:[1,0]
	v_xor_b32_e32 v11, 0x80000000, v20
	v_pk_fma_f32 v[8:9], v[20:21], v[38:39], v[8:9] op_sel_hi:[1,0,1]
	v_mov_b32_e32 v10, v21
	v_pk_add_f32 v[8:9], v[30:31], v[8:9] neg_lo:[0,1] neg_hi:[0,1]
	ds_write_b64 v5, v[8:9] offset:88
	v_pk_mul_f32 v[8:9], v[18:19], v[10:11] op_sel:[1,0]
	s_nop 0
	v_pk_fma_f32 v[8:9], v[20:21], v[18:19], v[8:9] op_sel_hi:[1,0,1] neg_lo:[1,0,0] neg_hi:[1,0,0]
	ds_write2_b64 v5, v[8:9], v[38:39] offset0:7 offset1:10
.LBB185_2:
	s_or_b64 exec, exec, s[0:1]
	s_waitcnt lgkmcnt(0)
	; wave barrier
	ds_read2_b64 v[8:11], v1 offset1:2
	s_waitcnt lgkmcnt(0)
	global_store_dwordx2 v[2:3], v[8:9], off
	global_store_dwordx2 v[6:7], v[10:11], off
	s_endpgm
	.section	.rodata,"a",@progbits
	.p2align	6, 0x0
	.amdhsa_kernel _ZN9rocsparseL34gtsv_solve_spike_grid_level_kernelILj2E21rocsparse_complex_numIfEEEviiiPT0_PKS3_S6_
		.amdhsa_group_segment_fixed_size 96
		.amdhsa_private_segment_fixed_size 0
		.amdhsa_kernarg_size 40
		.amdhsa_user_sgpr_count 2
		.amdhsa_user_sgpr_dispatch_ptr 0
		.amdhsa_user_sgpr_queue_ptr 0
		.amdhsa_user_sgpr_kernarg_segment_ptr 1
		.amdhsa_user_sgpr_dispatch_id 0
		.amdhsa_user_sgpr_kernarg_preload_length 0
		.amdhsa_user_sgpr_kernarg_preload_offset 0
		.amdhsa_user_sgpr_private_segment_size 0
		.amdhsa_uses_dynamic_stack 0
		.amdhsa_enable_private_segment 0
		.amdhsa_system_sgpr_workgroup_id_x 1
		.amdhsa_system_sgpr_workgroup_id_y 1
		.amdhsa_system_sgpr_workgroup_id_z 0
		.amdhsa_system_sgpr_workgroup_info 0
		.amdhsa_system_vgpr_workitem_id 0
		.amdhsa_next_free_vgpr 40
		.amdhsa_next_free_sgpr 10
		.amdhsa_accum_offset 40
		.amdhsa_reserve_vcc 1
		.amdhsa_float_round_mode_32 0
		.amdhsa_float_round_mode_16_64 0
		.amdhsa_float_denorm_mode_32 3
		.amdhsa_float_denorm_mode_16_64 3
		.amdhsa_dx10_clamp 1
		.amdhsa_ieee_mode 1
		.amdhsa_fp16_overflow 0
		.amdhsa_tg_split 0
		.amdhsa_exception_fp_ieee_invalid_op 0
		.amdhsa_exception_fp_denorm_src 0
		.amdhsa_exception_fp_ieee_div_zero 0
		.amdhsa_exception_fp_ieee_overflow 0
		.amdhsa_exception_fp_ieee_underflow 0
		.amdhsa_exception_fp_ieee_inexact 0
		.amdhsa_exception_int_div_zero 0
	.end_amdhsa_kernel
	.section	.text._ZN9rocsparseL34gtsv_solve_spike_grid_level_kernelILj2E21rocsparse_complex_numIfEEEviiiPT0_PKS3_S6_,"axG",@progbits,_ZN9rocsparseL34gtsv_solve_spike_grid_level_kernelILj2E21rocsparse_complex_numIfEEEviiiPT0_PKS3_S6_,comdat
.Lfunc_end185:
	.size	_ZN9rocsparseL34gtsv_solve_spike_grid_level_kernelILj2E21rocsparse_complex_numIfEEEviiiPT0_PKS3_S6_, .Lfunc_end185-_ZN9rocsparseL34gtsv_solve_spike_grid_level_kernelILj2E21rocsparse_complex_numIfEEEviiiPT0_PKS3_S6_
                                        ; -- End function
	.set _ZN9rocsparseL34gtsv_solve_spike_grid_level_kernelILj2E21rocsparse_complex_numIfEEEviiiPT0_PKS3_S6_.num_vgpr, 40
	.set _ZN9rocsparseL34gtsv_solve_spike_grid_level_kernelILj2E21rocsparse_complex_numIfEEEviiiPT0_PKS3_S6_.num_agpr, 0
	.set _ZN9rocsparseL34gtsv_solve_spike_grid_level_kernelILj2E21rocsparse_complex_numIfEEEviiiPT0_PKS3_S6_.numbered_sgpr, 10
	.set _ZN9rocsparseL34gtsv_solve_spike_grid_level_kernelILj2E21rocsparse_complex_numIfEEEviiiPT0_PKS3_S6_.num_named_barrier, 0
	.set _ZN9rocsparseL34gtsv_solve_spike_grid_level_kernelILj2E21rocsparse_complex_numIfEEEviiiPT0_PKS3_S6_.private_seg_size, 0
	.set _ZN9rocsparseL34gtsv_solve_spike_grid_level_kernelILj2E21rocsparse_complex_numIfEEEviiiPT0_PKS3_S6_.uses_vcc, 1
	.set _ZN9rocsparseL34gtsv_solve_spike_grid_level_kernelILj2E21rocsparse_complex_numIfEEEviiiPT0_PKS3_S6_.uses_flat_scratch, 0
	.set _ZN9rocsparseL34gtsv_solve_spike_grid_level_kernelILj2E21rocsparse_complex_numIfEEEviiiPT0_PKS3_S6_.has_dyn_sized_stack, 0
	.set _ZN9rocsparseL34gtsv_solve_spike_grid_level_kernelILj2E21rocsparse_complex_numIfEEEviiiPT0_PKS3_S6_.has_recursion, 0
	.set _ZN9rocsparseL34gtsv_solve_spike_grid_level_kernelILj2E21rocsparse_complex_numIfEEEviiiPT0_PKS3_S6_.has_indirect_call, 0
	.section	.AMDGPU.csdata,"",@progbits
; Kernel info:
; codeLenInByte = 908
; TotalNumSgprs: 16
; NumVgprs: 40
; NumAgprs: 0
; TotalNumVgprs: 40
; ScratchSize: 0
; MemoryBound: 0
; FloatMode: 240
; IeeeMode: 1
; LDSByteSize: 96 bytes/workgroup (compile time only)
; SGPRBlocks: 1
; VGPRBlocks: 4
; NumSGPRsForWavesPerEU: 16
; NumVGPRsForWavesPerEU: 40
; AccumOffset: 40
; Occupancy: 8
; WaveLimiterHint : 0
; COMPUTE_PGM_RSRC2:SCRATCH_EN: 0
; COMPUTE_PGM_RSRC2:USER_SGPR: 2
; COMPUTE_PGM_RSRC2:TRAP_HANDLER: 0
; COMPUTE_PGM_RSRC2:TGID_X_EN: 1
; COMPUTE_PGM_RSRC2:TGID_Y_EN: 1
; COMPUTE_PGM_RSRC2:TGID_Z_EN: 0
; COMPUTE_PGM_RSRC2:TIDIG_COMP_CNT: 0
; COMPUTE_PGM_RSRC3_GFX90A:ACCUM_OFFSET: 9
; COMPUTE_PGM_RSRC3_GFX90A:TG_SPLIT: 0
	.section	.text._ZN9rocsparseL34gtsv_solve_spike_grid_level_kernelILj4E21rocsparse_complex_numIfEEEviiiPT0_PKS3_S6_,"axG",@progbits,_ZN9rocsparseL34gtsv_solve_spike_grid_level_kernelILj4E21rocsparse_complex_numIfEEEviiiPT0_PKS3_S6_,comdat
	.globl	_ZN9rocsparseL34gtsv_solve_spike_grid_level_kernelILj4E21rocsparse_complex_numIfEEEviiiPT0_PKS3_S6_ ; -- Begin function _ZN9rocsparseL34gtsv_solve_spike_grid_level_kernelILj4E21rocsparse_complex_numIfEEEviiiPT0_PKS3_S6_
	.p2align	8
	.type	_ZN9rocsparseL34gtsv_solve_spike_grid_level_kernelILj4E21rocsparse_complex_numIfEEEviiiPT0_PKS3_S6_,@function
_ZN9rocsparseL34gtsv_solve_spike_grid_level_kernelILj4E21rocsparse_complex_numIfEEEviiiPT0_PKS3_S6_: ; @_ZN9rocsparseL34gtsv_solve_spike_grid_level_kernelILj4E21rocsparse_complex_numIfEEEviiiPT0_PKS3_S6_
; %bb.0:
	s_load_dwordx4 s[4:7], s[0:1], 0x10
	s_load_dwordx2 s[8:9], s[0:1], 0x20
	v_lshl_or_b32 v4, s3, 3, v0
	v_mov_b32_e32 v5, 0
	v_lshlrev_b32_e32 v6, 3, v0
	s_waitcnt lgkmcnt(0)
	v_lshl_add_u64 v[2:3], v[4:5], 3, s[4:5]
	v_or_b32_e32 v4, 4, v4
	global_load_dwordx2 v[8:9], v6, s[6:7]
	global_load_dwordx2 v[10:11], v6, s[6:7] offset:32
	global_load_dwordx2 v[12:13], v6, s[8:9]
	global_load_dwordx2 v[14:15], v6, s[8:9] offset:32
	v_lshl_add_u64 v[4:5], v[4:5], 3, s[4:5]
	global_load_dwordx2 v[16:17], v[2:3], off
	global_load_dwordx2 v[18:19], v[4:5], off
	v_or_b32_e32 v1, 0x80, v6
	v_cmp_gt_u32_e64 s[0:1], 2, v0
	s_waitcnt vmcnt(4)
	ds_write2_b64 v6, v[8:9], v[10:11] offset0:8 offset1:12
	s_waitcnt vmcnt(2)
	ds_write2_b64 v6, v[12:13], v[14:15] offset1:4
	s_waitcnt vmcnt(0)
	ds_write2_b64 v6, v[16:17], v[18:19] offset0:16 offset1:20
	s_waitcnt lgkmcnt(0)
	; wave barrier
	s_and_saveexec_b64 s[2:3], s[0:1]
	s_cbranch_execz .LBB186_2
; %bb.1:
	v_or_b32_e32 v7, 64, v6
	v_add_u32_e32 v43, v7, v6
	ds_read2_b64 v[8:11], v43 offset1:1
	v_add_u32_e32 v44, v6, v6
	ds_read_b64 v[28:29], v44 offset:32
	ds_read2_b64 v[12:15], v43 offset0:4 offset1:5
	v_add_u32_e32 v45, v1, v6
	s_mov_b64 s[4:5], 0x3f800000
	s_waitcnt lgkmcnt(2)
	v_xor_b32_e32 v20, 0x80000000, v11
	v_mov_b32_e32 v21, v10
	s_waitcnt lgkmcnt(1)
	v_pk_mul_f32 v[6:7], v[28:29], v[20:21] op_sel:[1,0]
	ds_read_b128 v[16:19], v45
	v_pk_fma_f32 v[6:7], v[10:11], v[28:29], v[6:7] op_sel_hi:[1,0,1]
	ds_read_b128 v[20:23], v44
	ds_read_b64 v[40:41], v43 offset:40
	v_pk_add_f32 v[6:7], v[6:7], s[4:5] neg_lo:[1,0] neg_hi:[1,0]
	s_waitcnt lgkmcnt(3)
	v_xor_b32_e32 v38, 0x80000000, v15
	v_mul_f32_e32 v24, v7, v7
	v_fmac_f32_e32 v24, v6, v6
	v_div_scale_f32 v25, s[4:5], v24, v24, 1.0
	v_rcp_f32_e32 v26, v25
	v_mov_b32_e32 v39, v14
	s_waitcnt lgkmcnt(1)
	v_mul_f32_e64 v42, v23, -v29
	v_fmac_f32_e32 v42, v28, v22
	v_fma_f32 v27, -v25, v26, 1.0
	v_fmac_f32_e32 v26, v27, v26
	v_div_scale_f32 v27, vcc, 1.0, v24, 1.0
	v_mul_f32_e32 v30, v27, v26
	v_fma_f32 v31, -v25, v30, v27
	v_fmac_f32_e32 v30, v31, v26
	v_fma_f32 v25, -v25, v30, v27
	v_div_fmas_f32 v25, v25, v26, v30
	v_div_fixup_f32 v30, v25, v24, 1.0
	ds_read2_b64 v[24:27], v45 offset0:4 offset1:5
	v_mov_b32_e32 v32, v19
	v_pk_mul_f32 v[32:33], v[32:33], v[28:29] op_sel:[0,1] op_sel_hi:[0,0] neg_lo:[0,1]
	v_pk_fma_f32 v[32:33], v[28:29], v[18:19], v[32:33] op_sel_hi:[1,0,1]
	v_fma_f32 v31, v6, 0, -v7
	s_waitcnt lgkmcnt(0)
	v_pk_mul_f32 v[36:37], v[10:11], v[24:25] op_sel:[1,1] op_sel_hi:[1,0] neg_lo:[0,1]
	v_pk_add_f32 v[32:33], v[24:25], v[32:33] neg_lo:[0,1] neg_hi:[0,1]
	v_pk_fma_f32 v[24:25], v[24:25], v[10:11], v[36:37] op_sel_hi:[1,0,1]
	v_fmac_f32_e32 v6, 0, v7
	v_pk_add_f32 v[18:19], v[18:19], v[24:25] neg_lo:[0,1] neg_hi:[0,1]
	v_mov_b32_e32 v7, v31
	v_xor_b32_e32 v36, 0x80000000, v19
	v_mov_b32_e32 v37, v18
	v_pk_mul_f32 v[6:7], v[6:7], v[30:31] op_sel_hi:[1,0]
	v_xor_b32_e32 v34, 0x80000000, v33
	v_pk_mul_f32 v[30:31], v[6:7], v[36:37] op_sel:[1,0]
	v_mov_b32_e32 v35, v32
	v_pk_fma_f32 v[18:19], v[18:19], v[6:7], v[30:31] op_sel_hi:[1,0,1]
	v_pk_mul_f32 v[24:25], v[6:7], v[34:35] op_sel:[1,0]
	v_pk_mul_f32 v[30:31], v[18:19], v[20:21] op_sel:[1,1] op_sel_hi:[1,0] neg_lo:[0,1]
	v_pk_fma_f32 v[24:25], v[32:33], v[6:7], v[24:25] op_sel_hi:[1,0,1]
	v_pk_fma_f32 v[30:31], v[20:21], v[18:19], v[30:31] op_sel_hi:[1,0,1]
	v_mul_f32_e32 v28, v23, v28
	v_pk_add_f32 v[16:17], v[16:17], v[30:31] neg_lo:[0,1] neg_hi:[0,1]
	ds_write_b128 v45, v[16:19]
	v_pk_mul_f32 v[16:17], v[24:25], v[38:39] op_sel:[1,0]
	v_fmac_f32_e32 v28, v29, v22
	v_pk_fma_f32 v[14:15], v[14:15], v[24:25], v[16:17] op_sel_hi:[1,0,1]
	s_nop 0
	v_pk_add_f32 v[26:27], v[26:27], v[14:15] neg_lo:[0,1] neg_hi:[0,1]
	v_pk_add_f32 v[14:15], v[6:7], 0 neg_lo:[1,1] neg_hi:[1,1]
	ds_write_b128 v45, v[24:27] offset:32
	v_pk_mov_b32 v[16:17], v[6:7], v[14:15] op_sel:[1,0]
	v_pk_mov_b32 v[14:15], v[14:15], v[6:7] op_sel:[1,0]
	v_pk_mul_f32 v[18:19], v[16:17], v[28:29] op_sel_hi:[1,0]
	v_xor_b32_e32 v24, 0x80000000, v7
	v_pk_fma_f32 v[18:19], v[6:7], v[42:43], v[18:19] op_sel_hi:[1,0,1] neg_lo:[1,0,0] neg_hi:[1,0,0]
	ds_write_b64 v44, v[18:19] offset:32
	v_mov_b32_e32 v18, v23
	v_pk_mul_f32 v[14:15], v[18:19], v[14:15] op_sel_hi:[0,1]
	v_pk_fma_f32 v[14:15], v[6:7], v[22:23], v[14:15] op_sel_hi:[1,0,1]
	v_mul_f32_e32 v22, v11, v12
	v_mul_f32_e64 v18, v11, -v13
	v_fmac_f32_e32 v22, v13, v10
	v_fmac_f32_e32 v18, v12, v10
	v_pk_mul_f32 v[10:11], v[16:17], v[22:23] op_sel_hi:[1,0]
	v_mov_b32_e32 v25, v6
	v_pk_fma_f32 v[10:11], v[6:7], v[18:19], v[10:11] op_sel_hi:[1,0,1] neg_lo:[1,0,0] neg_hi:[1,0,0]
	v_pk_mul_f32 v[16:17], v[12:13], v[24:25] op_sel:[1,0]
	s_nop 0
	v_pk_fma_f32 v[6:7], v[6:7], v[12:13], v[16:17] op_sel_hi:[1,0,1]
	v_pk_mul_f32 v[16:17], v[10:11], v[20:21] op_sel:[1,1] op_sel_hi:[1,0] neg_lo:[0,1]
	v_pk_add_f32 v[12:13], v[20:21], 0 neg_lo:[1,1] neg_hi:[1,1]
	v_pk_fma_f32 v[16:17], v[20:21], v[10:11], v[16:17] op_sel_hi:[1,0,1]
	v_pk_mov_b32 v[12:13], v[20:21], v[12:13] op_sel:[1,0]
	v_pk_add_f32 v[8:9], v[8:9], v[16:17] neg_lo:[0,1] neg_hi:[0,1]
	ds_write_b128 v43, v[8:11]
	ds_read_b128 v[8:11], v44 offset:32
	v_pk_mul_f32 v[12:13], v[14:15], v[12:13] op_sel:[1,0]
	s_nop 0
	v_pk_fma_f32 v[12:13], v[20:21], v[14:15], v[12:13] op_sel_hi:[1,0,1] neg_lo:[1,0,0] neg_hi:[1,0,0]
	ds_write_b128 v44, v[12:15]
	s_waitcnt lgkmcnt(1)
	v_pk_mul_f32 v[12:13], v[40:41], v[8:9] op_sel:[1,1] op_sel_hi:[1,0] neg_lo:[0,1]
	s_nop 0
	v_pk_fma_f32 v[8:9], v[8:9], v[40:41], v[12:13] op_sel_hi:[1,0,1]
	s_nop 0
	v_pk_add_f32 v[8:9], v[10:11], v[8:9] neg_lo:[0,1] neg_hi:[0,1]
	ds_write_b64 v44, v[8:9] offset:40
	v_pk_add_f32 v[8:9], v[40:41], 0 neg_lo:[1,1] neg_hi:[1,1]
	s_nop 0
	v_pk_mov_b32 v[8:9], v[40:41], v[8:9] op_sel:[1,0]
	s_nop 0
	v_pk_mul_f32 v[8:9], v[8:9], v[6:7] op_sel:[0,1]
	s_nop 0
	v_pk_fma_f32 v[8:9], v[40:41], v[6:7], v[8:9] op_sel_hi:[1,0,1] neg_lo:[1,0,0] neg_hi:[1,0,0]
	ds_write_b128 v43, v[6:9] offset:32
.LBB186_2:
	s_or_b64 exec, exec, s[2:3]
	s_mov_b32 s7, 0
	v_cmp_eq_u32_e64 s[2:3], 0, v0
	s_waitcnt lgkmcnt(0)
	; wave barrier
	s_and_saveexec_b64 s[4:5], s[2:3]
	s_cbranch_execz .LBB186_4
; %bb.3:
	v_mov_b32_e32 v45, 0
	ds_read2_b64 v[6:9], v45 offset0:8 offset1:10
	ds_read2_b64 v[10:13], v45 offset0:5 offset1:7
	s_mov_b32 s6, 1.0
	s_waitcnt lgkmcnt(1)
	v_xor_b32_e32 v14, 0x80000000, v9
	v_mov_b32_e32 v15, v8
	s_waitcnt lgkmcnt(0)
	v_pk_mul_f32 v[14:15], v[10:11], v[14:15] op_sel:[1,0]
	s_nop 0
	v_pk_fma_f32 v[14:15], v[8:9], v[10:11], v[14:15] op_sel_hi:[1,0,1]
	s_nop 0
	v_pk_add_f32 v[26:27], v[14:15], s[6:7] neg_lo:[1,0] neg_hi:[1,0]
	ds_read2_b64 v[14:17], v45 offset1:2
	v_mul_f32_e32 v22, v27, v27
	v_fmac_f32_e32 v22, v26, v26
	v_div_scale_f32 v18, s[6:7], v22, v22, 1.0
	v_rcp_f32_e32 v23, v18
	v_div_scale_f32 v19, vcc, 1.0, v22, 1.0
	v_fma_f32 v29, v26, 0, -v27
	v_fma_f32 v20, -v18, v23, 1.0
	v_fmac_f32_e32 v23, v20, v23
	v_mul_f32_e32 v24, v19, v23
	v_fma_f32 v20, -v18, v24, v19
	v_fmac_f32_e32 v24, v20, v23
	v_fma_f32 v25, -v18, v24, v19
	ds_read2_b64 v[18:21], v45 offset0:18 offset1:21
	v_div_fmas_f32 v23, v25, v23, v24
	v_div_fixup_f32 v28, v23, v22, 1.0
	v_fmac_f32_e32 v26, 0, v27
	v_mov_b32_e32 v27, v29
	s_waitcnt lgkmcnt(0)
	v_pk_mul_f32 v[22:23], v[18:19], v[10:11] op_sel:[1,1] op_sel_hi:[1,0] neg_lo:[0,1]
	v_pk_mul_f32 v[26:27], v[26:27], v[28:29] op_sel_hi:[1,0]
	v_pk_fma_f32 v[22:23], v[10:11], v[18:19], v[22:23] op_sel_hi:[1,0,1]
	v_xor_b32_e32 v38, 0x80000000, v15
	v_pk_add_f32 v[30:31], v[20:21], v[22:23] neg_lo:[0,1] neg_hi:[0,1]
	v_pk_mul_f32 v[22:23], v[8:9], v[20:21] op_sel:[1,1] op_sel_hi:[1,0] neg_lo:[0,1]
	v_xor_b32_e32 v32, 0x80000000, v31
	v_pk_fma_f32 v[20:21], v[20:21], v[8:9], v[22:23] op_sel_hi:[1,0,1]
	v_mov_b32_e32 v33, v30
	v_pk_add_f32 v[34:35], v[18:19], v[20:21] neg_lo:[0,1] neg_hi:[0,1]
	ds_read2_b64 v[18:21], v45 offset0:13 offset1:15
	v_xor_b32_e32 v36, 0x80000000, v35
	v_mov_b32_e32 v37, v34
	v_pk_mul_f32 v[28:29], v[26:27], v[32:33] op_sel:[1,0]
	ds_read2_b64 v[22:25], v45 offset0:15 offset1:16
	ds_read_b64 v[40:41], v45 offset:184
	v_pk_fma_f32 v[28:29], v[30:31], v[26:27], v[28:29] op_sel_hi:[1,0,1]
	v_pk_mul_f32 v[30:31], v[26:27], v[36:37] op_sel:[1,0]
	v_mov_b32_e32 v39, v14
	v_pk_fma_f32 v[30:31], v[34:35], v[26:27], v[30:31] op_sel_hi:[1,0,1]
	s_waitcnt lgkmcnt(2)
	v_xor_b32_e32 v42, 0x80000000, v21
	v_pk_mul_f32 v[32:33], v[30:31], v[38:39] op_sel:[1,0]
	v_mov_b32_e32 v43, v20
	v_pk_fma_f32 v[32:33], v[14:15], v[30:31], v[32:33] op_sel_hi:[1,0,1]
	v_mul_f32_e64 v44, v17, -v11
	s_waitcnt lgkmcnt(1)
	v_pk_add_f32 v[24:25], v[24:25], v[32:33] neg_lo:[0,1] neg_hi:[0,1]
	v_pk_mul_f32 v[32:33], v[28:29], v[42:43] op_sel:[1,0]
	v_fmac_f32_e32 v44, v10, v16
	v_pk_fma_f32 v[20:21], v[20:21], v[28:29], v[32:33] op_sel_hi:[1,0,1]
	v_mul_f32_e32 v10, v17, v10
	s_waitcnt lgkmcnt(0)
	v_pk_add_f32 v[20:21], v[40:41], v[20:21] neg_lo:[0,1] neg_hi:[0,1]
	ds_write2_b64 v45, v[28:29], v[20:21] offset0:21 offset1:23
	v_xor_b32_e32 v20, 0x80000000, v27
	v_mov_b32_e32 v21, v26
	v_pk_mul_f32 v[32:33], v[16:17], v[20:21] op_sel:[1,0]
	v_mul_f32_e32 v34, v9, v18
	v_fmac_f32_e32 v10, v11, v16
	v_xor_b32_e32 v29, 0x80000000, v26
	v_mov_b32_e32 v28, v27
	v_pk_fma_f32 v[16:17], v[26:27], v[16:17], v[32:33] op_sel_hi:[1,0,1]
	v_mul_f32_e64 v32, v9, -v19
	v_fmac_f32_e32 v34, v19, v8
	v_fmac_f32_e32 v32, v18, v8
	v_pk_mul_f32 v[8:9], v[28:29], v[34:35] op_sel_hi:[1,0]
	v_pk_mul_f32 v[10:11], v[28:29], v[10:11] op_sel_hi:[1,0]
	v_pk_fma_f32 v[8:9], v[26:27], v[32:33], v[8:9] op_sel_hi:[1,0,1] neg_lo:[1,0,0] neg_hi:[1,0,0]
	v_pk_mul_f32 v[20:21], v[18:19], v[20:21] op_sel:[1,0]
	v_pk_fma_f32 v[10:11], v[26:27], v[44:45], v[10:11] op_sel_hi:[1,0,1] neg_lo:[1,0,0] neg_hi:[1,0,0]
	v_pk_fma_f32 v[18:19], v[26:27], v[18:19], v[20:21] op_sel_hi:[1,0,1]
	v_pk_mul_f32 v[26:27], v[8:9], v[14:15] op_sel:[1,1] op_sel_hi:[1,0] neg_lo:[0,1]
	ds_write2_b64 v45, v[10:11], v[8:9] offset0:5 offset1:10
	v_xor_b32_e32 v21, 0x80000000, v14
	v_pk_fma_f32 v[8:9], v[14:15], v[8:9], v[26:27] op_sel_hi:[1,0,1]
	v_mov_b32_e32 v20, v15
	v_pk_add_f32 v[6:7], v[6:7], v[8:9] neg_lo:[0,1] neg_hi:[0,1]
	v_pk_mul_f32 v[8:9], v[16:17], v[20:21] op_sel:[1,0]
	ds_write2_b64 v45, v[18:19], v[30:31] offset0:13 offset1:18
	v_pk_fma_f32 v[8:9], v[14:15], v[16:17], v[8:9] op_sel_hi:[1,0,1] neg_lo:[1,0,0] neg_hi:[1,0,0]
	ds_write2_b64 v45, v[8:9], v[16:17] offset1:2
	v_xor_b32_e32 v8, 0x80000000, v11
	v_mov_b32_e32 v9, v10
	v_pk_mul_f32 v[8:9], v[22:23], v[8:9] op_sel:[1,0]
	s_nop 0
	v_pk_fma_f32 v[8:9], v[10:11], v[22:23], v[8:9] op_sel_hi:[1,0,1]
	s_nop 0
	v_pk_add_f32 v[8:9], v[12:13], v[8:9] neg_lo:[0,1] neg_hi:[0,1]
	ds_write2_b64 v45, v[8:9], v[6:7] offset0:7 offset1:8
	v_xor_b32_e32 v7, 0x80000000, v22
	v_mov_b32_e32 v6, v23
	v_pk_mul_f32 v[6:7], v[6:7], v[18:19] op_sel:[0,1]
	s_nop 0
	v_pk_fma_f32 v[6:7], v[22:23], v[18:19], v[6:7] op_sel_hi:[1,0,1] neg_lo:[1,0,0] neg_hi:[1,0,0]
	ds_write2_b64 v45, v[6:7], v[24:25] offset0:15 offset1:16
.LBB186_4:
	s_or_b64 exec, exec, s[4:5]
	s_waitcnt lgkmcnt(0)
	; wave barrier
	s_and_saveexec_b64 s[4:5], s[0:1]
	s_cbranch_execz .LBB186_6
; %bb.5:
	v_lshlrev_b32_e32 v10, 1, v0
	v_lshlrev_b32_e32 v0, 4, v0
	v_mov_b32_e32 v6, 0x98
	v_mov_b32_e32 v7, 0x90
	v_cndmask_b32_e64 v24, v6, v7, s[2:3]
	ds_read2_b64 v[6:9], v0 offset0:9 offset1:12
	v_max_u32_e32 v10, 1, v10
	v_lshlrev_b32_e32 v25, 3, v10
	ds_read_b64 v[18:19], v25 offset:152
	ds_read2_b64 v[10:13], v0 offset0:17 offset1:20
	ds_read2_b64 v[14:17], v0 offset0:1 offset1:4
	ds_read_b64 v[22:23], v24
	s_waitcnt lgkmcnt(4)
	v_xor_b32_e32 v20, 0x80000000, v9
	v_mov_b32_e32 v21, v8
	s_waitcnt lgkmcnt(3)
	v_pk_mul_f32 v[20:21], v[18:19], v[20:21] op_sel:[1,0]
	s_nop 0
	v_pk_fma_f32 v[8:9], v[8:9], v[18:19], v[20:21] op_sel_hi:[1,0,1]
	s_waitcnt lgkmcnt(2)
	v_pk_add_f32 v[8:9], v[12:13], v[8:9] neg_lo:[0,1] neg_hi:[0,1]
	s_waitcnt lgkmcnt(1)
	v_xor_b32_e32 v12, 0x80000000, v17
	v_mov_b32_e32 v13, v16
	s_waitcnt lgkmcnt(0)
	v_pk_mul_f32 v[12:13], v[22:23], v[12:13] op_sel:[1,0]
	s_nop 0
	v_pk_fma_f32 v[12:13], v[16:17], v[22:23], v[12:13] op_sel_hi:[1,0,1]
	s_nop 0
	v_pk_add_f32 v[8:9], v[8:9], v[12:13] neg_lo:[0,1] neg_hi:[0,1]
	ds_write_b64 v0, v[8:9] offset:160
	ds_read_b64 v[8:9], v25 offset:152
	v_xor_b32_e32 v12, 0x80000000, v7
	v_mov_b32_e32 v13, v6
	s_waitcnt lgkmcnt(0)
	v_pk_mul_f32 v[12:13], v[8:9], v[12:13] op_sel:[1,0]
	s_nop 0
	v_pk_fma_f32 v[6:7], v[6:7], v[8:9], v[12:13] op_sel_hi:[1,0,1]
	s_nop 0
	v_pk_add_f32 v[6:7], v[10:11], v[6:7] neg_lo:[0,1] neg_hi:[0,1]
	ds_write_b64 v0, v[6:7] offset:136
	ds_read_b64 v[8:9], v24
	v_xor_b32_e32 v10, 0x80000000, v15
	v_mov_b32_e32 v11, v14
	s_waitcnt lgkmcnt(0)
	v_pk_mul_f32 v[10:11], v[8:9], v[10:11] op_sel:[1,0]
	s_nop 0
	v_pk_fma_f32 v[8:9], v[14:15], v[8:9], v[10:11] op_sel_hi:[1,0,1]
	s_nop 0
	v_pk_add_f32 v[6:7], v[6:7], v[8:9] neg_lo:[0,1] neg_hi:[0,1]
	ds_write_b64 v0, v[6:7] offset:136
.LBB186_6:
	s_or_b64 exec, exec, s[4:5]
	s_waitcnt lgkmcnt(0)
	; wave barrier
	ds_read2_b64 v[6:9], v1 offset1:4
	s_waitcnt lgkmcnt(0)
	global_store_dwordx2 v[2:3], v[6:7], off
	global_store_dwordx2 v[4:5], v[8:9], off
	s_endpgm
	.section	.rodata,"a",@progbits
	.p2align	6, 0x0
	.amdhsa_kernel _ZN9rocsparseL34gtsv_solve_spike_grid_level_kernelILj4E21rocsparse_complex_numIfEEEviiiPT0_PKS3_S6_
		.amdhsa_group_segment_fixed_size 192
		.amdhsa_private_segment_fixed_size 0
		.amdhsa_kernarg_size 40
		.amdhsa_user_sgpr_count 2
		.amdhsa_user_sgpr_dispatch_ptr 0
		.amdhsa_user_sgpr_queue_ptr 0
		.amdhsa_user_sgpr_kernarg_segment_ptr 1
		.amdhsa_user_sgpr_dispatch_id 0
		.amdhsa_user_sgpr_kernarg_preload_length 0
		.amdhsa_user_sgpr_kernarg_preload_offset 0
		.amdhsa_user_sgpr_private_segment_size 0
		.amdhsa_uses_dynamic_stack 0
		.amdhsa_enable_private_segment 0
		.amdhsa_system_sgpr_workgroup_id_x 1
		.amdhsa_system_sgpr_workgroup_id_y 1
		.amdhsa_system_sgpr_workgroup_id_z 0
		.amdhsa_system_sgpr_workgroup_info 0
		.amdhsa_system_vgpr_workitem_id 0
		.amdhsa_next_free_vgpr 46
		.amdhsa_next_free_sgpr 10
		.amdhsa_accum_offset 48
		.amdhsa_reserve_vcc 1
		.amdhsa_float_round_mode_32 0
		.amdhsa_float_round_mode_16_64 0
		.amdhsa_float_denorm_mode_32 3
		.amdhsa_float_denorm_mode_16_64 3
		.amdhsa_dx10_clamp 1
		.amdhsa_ieee_mode 1
		.amdhsa_fp16_overflow 0
		.amdhsa_tg_split 0
		.amdhsa_exception_fp_ieee_invalid_op 0
		.amdhsa_exception_fp_denorm_src 0
		.amdhsa_exception_fp_ieee_div_zero 0
		.amdhsa_exception_fp_ieee_overflow 0
		.amdhsa_exception_fp_ieee_underflow 0
		.amdhsa_exception_fp_ieee_inexact 0
		.amdhsa_exception_int_div_zero 0
	.end_amdhsa_kernel
	.section	.text._ZN9rocsparseL34gtsv_solve_spike_grid_level_kernelILj4E21rocsparse_complex_numIfEEEviiiPT0_PKS3_S6_,"axG",@progbits,_ZN9rocsparseL34gtsv_solve_spike_grid_level_kernelILj4E21rocsparse_complex_numIfEEEviiiPT0_PKS3_S6_,comdat
.Lfunc_end186:
	.size	_ZN9rocsparseL34gtsv_solve_spike_grid_level_kernelILj4E21rocsparse_complex_numIfEEEviiiPT0_PKS3_S6_, .Lfunc_end186-_ZN9rocsparseL34gtsv_solve_spike_grid_level_kernelILj4E21rocsparse_complex_numIfEEEviiiPT0_PKS3_S6_
                                        ; -- End function
	.set _ZN9rocsparseL34gtsv_solve_spike_grid_level_kernelILj4E21rocsparse_complex_numIfEEEviiiPT0_PKS3_S6_.num_vgpr, 46
	.set _ZN9rocsparseL34gtsv_solve_spike_grid_level_kernelILj4E21rocsparse_complex_numIfEEEviiiPT0_PKS3_S6_.num_agpr, 0
	.set _ZN9rocsparseL34gtsv_solve_spike_grid_level_kernelILj4E21rocsparse_complex_numIfEEEviiiPT0_PKS3_S6_.numbered_sgpr, 10
	.set _ZN9rocsparseL34gtsv_solve_spike_grid_level_kernelILj4E21rocsparse_complex_numIfEEEviiiPT0_PKS3_S6_.num_named_barrier, 0
	.set _ZN9rocsparseL34gtsv_solve_spike_grid_level_kernelILj4E21rocsparse_complex_numIfEEEviiiPT0_PKS3_S6_.private_seg_size, 0
	.set _ZN9rocsparseL34gtsv_solve_spike_grid_level_kernelILj4E21rocsparse_complex_numIfEEEviiiPT0_PKS3_S6_.uses_vcc, 1
	.set _ZN9rocsparseL34gtsv_solve_spike_grid_level_kernelILj4E21rocsparse_complex_numIfEEEviiiPT0_PKS3_S6_.uses_flat_scratch, 0
	.set _ZN9rocsparseL34gtsv_solve_spike_grid_level_kernelILj4E21rocsparse_complex_numIfEEEviiiPT0_PKS3_S6_.has_dyn_sized_stack, 0
	.set _ZN9rocsparseL34gtsv_solve_spike_grid_level_kernelILj4E21rocsparse_complex_numIfEEEviiiPT0_PKS3_S6_.has_recursion, 0
	.set _ZN9rocsparseL34gtsv_solve_spike_grid_level_kernelILj4E21rocsparse_complex_numIfEEEviiiPT0_PKS3_S6_.has_indirect_call, 0
	.section	.AMDGPU.csdata,"",@progbits
; Kernel info:
; codeLenInByte = 2052
; TotalNumSgprs: 16
; NumVgprs: 46
; NumAgprs: 0
; TotalNumVgprs: 46
; ScratchSize: 0
; MemoryBound: 0
; FloatMode: 240
; IeeeMode: 1
; LDSByteSize: 192 bytes/workgroup (compile time only)
; SGPRBlocks: 1
; VGPRBlocks: 5
; NumSGPRsForWavesPerEU: 16
; NumVGPRsForWavesPerEU: 46
; AccumOffset: 48
; Occupancy: 8
; WaveLimiterHint : 0
; COMPUTE_PGM_RSRC2:SCRATCH_EN: 0
; COMPUTE_PGM_RSRC2:USER_SGPR: 2
; COMPUTE_PGM_RSRC2:TRAP_HANDLER: 0
; COMPUTE_PGM_RSRC2:TGID_X_EN: 1
; COMPUTE_PGM_RSRC2:TGID_Y_EN: 1
; COMPUTE_PGM_RSRC2:TGID_Z_EN: 0
; COMPUTE_PGM_RSRC2:TIDIG_COMP_CNT: 0
; COMPUTE_PGM_RSRC3_GFX90A:ACCUM_OFFSET: 11
; COMPUTE_PGM_RSRC3_GFX90A:TG_SPLIT: 0
	.section	.text._ZN9rocsparseL34gtsv_solve_spike_grid_level_kernelILj8E21rocsparse_complex_numIfEEEviiiPT0_PKS3_S6_,"axG",@progbits,_ZN9rocsparseL34gtsv_solve_spike_grid_level_kernelILj8E21rocsparse_complex_numIfEEEviiiPT0_PKS3_S6_,comdat
	.globl	_ZN9rocsparseL34gtsv_solve_spike_grid_level_kernelILj8E21rocsparse_complex_numIfEEEviiiPT0_PKS3_S6_ ; -- Begin function _ZN9rocsparseL34gtsv_solve_spike_grid_level_kernelILj8E21rocsparse_complex_numIfEEEviiiPT0_PKS3_S6_
	.p2align	8
	.type	_ZN9rocsparseL34gtsv_solve_spike_grid_level_kernelILj8E21rocsparse_complex_numIfEEEviiiPT0_PKS3_S6_,@function
_ZN9rocsparseL34gtsv_solve_spike_grid_level_kernelILj8E21rocsparse_complex_numIfEEEviiiPT0_PKS3_S6_: ; @_ZN9rocsparseL34gtsv_solve_spike_grid_level_kernelILj8E21rocsparse_complex_numIfEEEviiiPT0_PKS3_S6_
; %bb.0:
	s_load_dwordx4 s[4:7], s[0:1], 0x10
	s_load_dwordx2 s[8:9], s[0:1], 0x20
	v_lshl_or_b32 v4, s3, 4, v0
	v_mov_b32_e32 v5, 0
	v_lshlrev_b32_e32 v6, 3, v0
	s_waitcnt lgkmcnt(0)
	v_lshl_add_u64 v[2:3], v[4:5], 3, s[4:5]
	v_or_b32_e32 v4, 8, v4
	global_load_dwordx2 v[8:9], v6, s[6:7]
	global_load_dwordx2 v[10:11], v6, s[6:7] offset:64
	global_load_dwordx2 v[12:13], v6, s[8:9]
	global_load_dwordx2 v[14:15], v6, s[8:9] offset:64
	v_lshl_add_u64 v[4:5], v[4:5], 3, s[4:5]
	global_load_dwordx2 v[16:17], v[2:3], off
	global_load_dwordx2 v[18:19], v[4:5], off
	v_or_b32_e32 v1, 0x100, v6
	v_cmp_gt_u32_e64 s[0:1], 4, v0
	s_waitcnt vmcnt(4)
	ds_write2_b64 v6, v[8:9], v[10:11] offset0:16 offset1:24
	s_waitcnt vmcnt(2)
	ds_write2_b64 v6, v[12:13], v[14:15] offset1:8
	s_waitcnt vmcnt(0)
	ds_write2_b64 v6, v[16:17], v[18:19] offset0:32 offset1:40
	s_waitcnt lgkmcnt(0)
	; wave barrier
	s_and_saveexec_b64 s[2:3], s[0:1]
	s_cbranch_execz .LBB187_2
; %bb.1:
	v_or_b32_e32 v7, 0x80, v6
	v_add_u32_e32 v41, v7, v6
	ds_read2_b64 v[8:11], v41 offset1:1
	v_add_u32_e32 v43, v6, v6
	ds_read_b64 v[24:25], v43 offset:64
	ds_read2_b64 v[12:15], v41 offset0:8 offset1:9
	v_add_u32_e32 v44, v1, v6
	s_mov_b64 s[4:5], 0x3f800000
	s_waitcnt lgkmcnt(2)
	v_xor_b32_e32 v20, 0x80000000, v11
	v_mov_b32_e32 v21, v10
	s_waitcnt lgkmcnt(1)
	v_pk_mul_f32 v[6:7], v[24:25], v[20:21] op_sel:[1,0]
	ds_read_b128 v[16:19], v44
	v_pk_fma_f32 v[6:7], v[10:11], v[24:25], v[6:7] op_sel_hi:[1,0,1]
	s_waitcnt lgkmcnt(1)
	v_xor_b32_e32 v36, 0x80000000, v15
	v_pk_add_f32 v[6:7], v[6:7], s[4:5] neg_lo:[1,0] neg_hi:[1,0]
	v_mov_b32_e32 v37, v14
	v_mul_f32_e32 v20, v7, v7
	v_fmac_f32_e32 v20, v6, v6
	v_div_scale_f32 v21, s[4:5], v20, v20, 1.0
	v_rcp_f32_e32 v22, v21
	ds_read_b64 v[38:39], v41 offset:72
	v_fma_f32 v23, -v21, v22, 1.0
	v_fmac_f32_e32 v22, v23, v22
	v_div_scale_f32 v23, vcc, 1.0, v20, 1.0
	v_mul_f32_e32 v26, v23, v22
	v_fma_f32 v27, -v21, v26, v23
	v_fmac_f32_e32 v26, v27, v22
	v_fma_f32 v21, -v21, v26, v23
	v_div_fmas_f32 v21, v21, v22, v26
	v_div_fixup_f32 v26, v21, v20, 1.0
	ds_read2_b64 v[20:23], v44 offset0:8 offset1:9
	s_waitcnt lgkmcnt(2)
	v_mov_b32_e32 v28, v19
	v_pk_mul_f32 v[28:29], v[28:29], v[24:25] op_sel:[0,1] op_sel_hi:[0,0] neg_lo:[0,1]
	v_pk_fma_f32 v[28:29], v[24:25], v[18:19], v[28:29] op_sel_hi:[1,0,1]
	v_fma_f32 v27, v6, 0, -v7
	s_waitcnt lgkmcnt(0)
	v_pk_mul_f32 v[32:33], v[10:11], v[20:21] op_sel:[1,1] op_sel_hi:[1,0] neg_lo:[0,1]
	v_pk_add_f32 v[28:29], v[20:21], v[28:29] neg_lo:[0,1] neg_hi:[0,1]
	v_pk_fma_f32 v[20:21], v[20:21], v[10:11], v[32:33] op_sel_hi:[1,0,1]
	v_fmac_f32_e32 v6, 0, v7
	v_pk_add_f32 v[32:33], v[18:19], v[20:21] neg_lo:[0,1] neg_hi:[0,1]
	ds_read_b128 v[18:21], v43
	v_mov_b32_e32 v7, v27
	v_xor_b32_e32 v30, 0x80000000, v29
	v_mov_b32_e32 v31, v28
	v_xor_b32_e32 v34, 0x80000000, v33
	v_mov_b32_e32 v35, v32
	s_waitcnt lgkmcnt(0)
	v_mul_f32_e64 v40, v21, -v25
	v_mul_f32_e32 v42, v21, v24
	v_pk_mul_f32 v[6:7], v[6:7], v[26:27] op_sel_hi:[1,0]
	v_fmac_f32_e32 v40, v24, v20
	v_fmac_f32_e32 v42, v25, v20
	v_pk_mul_f32 v[24:25], v[6:7], v[30:31] op_sel:[1,0]
	v_pk_mul_f32 v[26:27], v[6:7], v[34:35] op_sel:[1,0]
	v_pk_fma_f32 v[24:25], v[28:29], v[6:7], v[24:25] op_sel_hi:[1,0,1]
	v_pk_fma_f32 v[28:29], v[32:33], v[6:7], v[26:27] op_sel_hi:[1,0,1]
	s_nop 0
	v_pk_mul_f32 v[26:27], v[28:29], v[18:19] op_sel:[1,1] op_sel_hi:[1,0] neg_lo:[0,1]
	s_nop 0
	v_pk_fma_f32 v[26:27], v[18:19], v[28:29], v[26:27] op_sel_hi:[1,0,1]
	s_nop 0
	v_pk_add_f32 v[26:27], v[16:17], v[26:27] neg_lo:[0,1] neg_hi:[0,1]
	v_pk_mul_f32 v[16:17], v[24:25], v[36:37] op_sel:[1,0]
	ds_write_b128 v44, v[26:29]
	v_pk_fma_f32 v[14:15], v[14:15], v[24:25], v[16:17] op_sel_hi:[1,0,1]
	s_nop 0
	v_pk_add_f32 v[26:27], v[22:23], v[14:15] neg_lo:[0,1] neg_hi:[0,1]
	v_pk_add_f32 v[14:15], v[6:7], 0 neg_lo:[1,1] neg_hi:[1,1]
	ds_write_b128 v44, v[24:27] offset:64
	v_pk_mov_b32 v[16:17], v[6:7], v[14:15] op_sel:[1,0]
	v_pk_mov_b32 v[14:15], v[14:15], v[6:7] op_sel:[1,0]
	v_pk_mul_f32 v[22:23], v[16:17], v[42:43] op_sel_hi:[1,0]
	v_xor_b32_e32 v24, 0x80000000, v7
	v_pk_fma_f32 v[22:23], v[6:7], v[40:41], v[22:23] op_sel_hi:[1,0,1] neg_lo:[1,0,0] neg_hi:[1,0,0]
	ds_write_b64 v43, v[22:23] offset:64
	v_mov_b32_e32 v22, v21
	v_pk_mul_f32 v[14:15], v[22:23], v[14:15] op_sel_hi:[0,1]
	v_mul_f32_e32 v22, v11, v12
	v_pk_fma_f32 v[14:15], v[6:7], v[20:21], v[14:15] op_sel_hi:[1,0,1]
	v_mul_f32_e64 v20, v11, -v13
	v_fmac_f32_e32 v22, v13, v10
	v_fmac_f32_e32 v20, v12, v10
	v_pk_mul_f32 v[10:11], v[16:17], v[22:23] op_sel_hi:[1,0]
	v_mov_b32_e32 v25, v6
	v_pk_fma_f32 v[10:11], v[6:7], v[20:21], v[10:11] op_sel_hi:[1,0,1] neg_lo:[1,0,0] neg_hi:[1,0,0]
	v_pk_mul_f32 v[16:17], v[12:13], v[24:25] op_sel:[1,0]
	s_nop 0
	v_pk_fma_f32 v[6:7], v[6:7], v[12:13], v[16:17] op_sel_hi:[1,0,1]
	v_pk_mul_f32 v[16:17], v[10:11], v[18:19] op_sel:[1,1] op_sel_hi:[1,0] neg_lo:[0,1]
	v_pk_add_f32 v[12:13], v[18:19], 0 neg_lo:[1,1] neg_hi:[1,1]
	v_pk_fma_f32 v[16:17], v[18:19], v[10:11], v[16:17] op_sel_hi:[1,0,1]
	v_pk_mov_b32 v[12:13], v[18:19], v[12:13] op_sel:[1,0]
	v_pk_add_f32 v[8:9], v[8:9], v[16:17] neg_lo:[0,1] neg_hi:[0,1]
	ds_write_b128 v41, v[8:11]
	ds_read_b128 v[8:11], v43 offset:64
	v_pk_mul_f32 v[12:13], v[14:15], v[12:13] op_sel:[1,0]
	s_nop 0
	v_pk_fma_f32 v[12:13], v[18:19], v[14:15], v[12:13] op_sel_hi:[1,0,1] neg_lo:[1,0,0] neg_hi:[1,0,0]
	ds_write_b128 v43, v[12:15]
	s_waitcnt lgkmcnt(1)
	v_pk_mul_f32 v[12:13], v[38:39], v[8:9] op_sel:[1,1] op_sel_hi:[1,0] neg_lo:[0,1]
	s_nop 0
	v_pk_fma_f32 v[8:9], v[8:9], v[38:39], v[12:13] op_sel_hi:[1,0,1]
	s_nop 0
	v_pk_add_f32 v[8:9], v[10:11], v[8:9] neg_lo:[0,1] neg_hi:[0,1]
	ds_write_b64 v43, v[8:9] offset:72
	v_pk_add_f32 v[8:9], v[38:39], 0 neg_lo:[1,1] neg_hi:[1,1]
	s_nop 0
	v_pk_mov_b32 v[8:9], v[38:39], v[8:9] op_sel:[1,0]
	s_nop 0
	v_pk_mul_f32 v[8:9], v[8:9], v[6:7] op_sel:[0,1]
	s_nop 0
	v_pk_fma_f32 v[8:9], v[38:39], v[6:7], v[8:9] op_sel_hi:[1,0,1] neg_lo:[1,0,0] neg_hi:[1,0,0]
	ds_write_b128 v41, v[6:9] offset:64
.LBB187_2:
	s_or_b64 exec, exec, s[2:3]
	v_cmp_gt_u32_e64 s[2:3], 2, v0
	v_lshlrev_b32_e32 v6, 5, v0
	s_waitcnt lgkmcnt(0)
	; wave barrier
	s_and_saveexec_b64 s[4:5], s[2:3]
	s_cbranch_execz .LBB187_4
; %bb.3:
	ds_read2_b64 v[8:11], v6 offset0:16 offset1:18
	ds_read2_b64 v[12:15], v6 offset0:9 offset1:11
	s_mov_b64 s[6:7], 0x3f800000
	v_mad_u32_u24 v45, v0, 24, v1
	s_waitcnt lgkmcnt(1)
	v_xor_b32_e32 v16, 0x80000000, v11
	v_mov_b32_e32 v17, v10
	s_waitcnt lgkmcnt(0)
	v_pk_mul_f32 v[16:17], v[12:13], v[16:17] op_sel:[1,0]
	s_nop 0
	v_pk_fma_f32 v[16:17], v[10:11], v[12:13], v[16:17] op_sel_hi:[1,0,1]
	s_nop 0
	v_pk_add_f32 v[28:29], v[16:17], s[6:7] neg_lo:[1,0] neg_hi:[1,0]
	s_nop 0
	v_mul_f32_e32 v7, v29, v29
	v_fmac_f32_e32 v7, v28, v28
	v_div_scale_f32 v16, s[6:7], v7, v7, 1.0
	v_rcp_f32_e32 v17, v16
	v_div_scale_f32 v18, vcc, 1.0, v7, 1.0
	v_fma_f32 v19, -v16, v17, 1.0
	v_fmac_f32_e32 v17, v19, v17
	v_mul_f32_e32 v19, v18, v17
	v_fma_f32 v20, -v16, v19, v18
	v_fmac_f32_e32 v19, v20, v17
	v_fma_f32 v16, -v16, v19, v18
	v_div_fmas_f32 v20, v16, v17, v19
	ds_read2_b64 v[16:19], v45 offset1:2
	v_div_fixup_f32 v30, v20, v7, 1.0
	ds_read2_b64 v[20:23], v45 offset0:9 offset1:11
	v_fma_f32 v7, v28, 0, -v29
	v_fmac_f32_e32 v28, 0, v29
	s_waitcnt lgkmcnt(1)
	v_pk_mul_f32 v[24:25], v[18:19], v[12:13] op_sel:[1,1] op_sel_hi:[1,0] neg_lo:[0,1]
	v_mov_b32_e32 v29, v7
	v_pk_fma_f32 v[24:25], v[12:13], v[18:19], v[24:25] op_sel_hi:[1,0,1]
	v_pk_mul_f32 v[28:29], v[28:29], v[30:31] op_sel_hi:[1,0]
	s_waitcnt lgkmcnt(0)
	v_pk_add_f32 v[32:33], v[20:21], v[24:25] neg_lo:[0,1] neg_hi:[0,1]
	v_pk_mul_f32 v[24:25], v[10:11], v[20:21] op_sel:[1,1] op_sel_hi:[1,0] neg_lo:[0,1]
	v_xor_b32_e32 v34, 0x80000000, v33
	v_pk_fma_f32 v[20:21], v[20:21], v[10:11], v[24:25] op_sel_hi:[1,0,1]
	ds_read2_b64 v[24:27], v6 offset1:2
	v_mov_b32_e32 v35, v32
	v_pk_add_f32 v[36:37], v[18:19], v[20:21] neg_lo:[0,1] neg_hi:[0,1]
	ds_read2_b64 v[18:21], v6 offset0:25 offset1:27
	v_xor_b32_e32 v38, 0x80000000, v37
	v_mov_b32_e32 v39, v36
	v_pk_mul_f32 v[30:31], v[28:29], v[34:35] op_sel:[1,0]
	s_waitcnt lgkmcnt(1)
	v_xor_b32_e32 v40, 0x80000000, v25
	v_pk_fma_f32 v[30:31], v[32:33], v[28:29], v[30:31] op_sel_hi:[1,0,1]
	v_pk_mul_f32 v[32:33], v[28:29], v[38:39] op_sel:[1,0]
	v_mov_b32_e32 v41, v24
	v_pk_fma_f32 v[32:33], v[36:37], v[28:29], v[32:33] op_sel_hi:[1,0,1]
	s_waitcnt lgkmcnt(0)
	v_xor_b32_e32 v42, 0x80000000, v21
	v_pk_mul_f32 v[34:35], v[32:33], v[40:41] op_sel:[1,0]
	v_mov_b32_e32 v43, v20
	v_pk_fma_f32 v[34:35], v[24:25], v[32:33], v[34:35] op_sel_hi:[1,0,1]
	v_mul_f32_e64 v44, v27, -v13
	v_pk_add_f32 v[16:17], v[16:17], v[34:35] neg_lo:[0,1] neg_hi:[0,1]
	ds_write2_b64 v45, v[16:17], v[32:33] offset1:2
	v_pk_mul_f32 v[16:17], v[30:31], v[42:43] op_sel:[1,0]
	v_fmac_f32_e32 v44, v12, v26
	v_pk_fma_f32 v[16:17], v[20:21], v[30:31], v[16:17] op_sel_hi:[1,0,1]
	v_mul_f32_e32 v12, v27, v12
	v_pk_add_f32 v[16:17], v[22:23], v[16:17] neg_lo:[0,1] neg_hi:[0,1]
	ds_write2_b64 v45, v[30:31], v[16:17] offset0:9 offset1:11
	v_pk_add_f32 v[16:17], v[28:29], 0 neg_lo:[1,1] neg_hi:[1,1]
	v_fmac_f32_e32 v12, v13, v26
	v_pk_mov_b32 v[20:21], v[28:29], v[16:17] op_sel:[1,0]
	v_pk_mov_b32 v[16:17], v[16:17], v[28:29] op_sel:[1,0]
	v_mul_f32_e64 v22, v11, -v19
	v_pk_mul_f32 v[16:17], v[26:27], v[16:17] op_sel:[1,0]
	v_pk_mul_f32 v[12:13], v[20:21], v[12:13] op_sel_hi:[1,0]
	v_pk_fma_f32 v[16:17], v[28:29], v[26:27], v[16:17] op_sel_hi:[1,0,1]
	v_mul_f32_e32 v26, v11, v18
	v_fmac_f32_e32 v26, v19, v10
	v_fmac_f32_e32 v22, v18, v10
	v_pk_mul_f32 v[20:21], v[20:21], v[26:27] op_sel_hi:[1,0]
	v_xor_b32_e32 v10, 0x80000000, v29
	v_pk_fma_f32 v[20:21], v[28:29], v[22:23], v[20:21] op_sel_hi:[1,0,1] neg_lo:[1,0,0] neg_hi:[1,0,0]
	v_mov_b32_e32 v11, v28
	v_pk_mul_f32 v[22:23], v[20:21], v[24:25] op_sel:[1,1] op_sel_hi:[1,0] neg_lo:[0,1]
	v_pk_mul_f32 v[10:11], v[18:19], v[10:11] op_sel:[1,0]
	v_pk_fma_f32 v[22:23], v[24:25], v[20:21], v[22:23] op_sel_hi:[1,0,1]
	v_pk_fma_f32 v[10:11], v[28:29], v[18:19], v[10:11] op_sel_hi:[1,0,1]
	v_pk_add_f32 v[18:19], v[24:25], 0 neg_lo:[1,1] neg_hi:[1,1]
	v_pk_add_f32 v[8:9], v[8:9], v[22:23] neg_lo:[0,1] neg_hi:[0,1]
	ds_write2_b64 v6, v[8:9], v[20:21] offset0:16 offset1:18
	v_pk_mov_b32 v[8:9], v[24:25], v[18:19] op_sel:[1,0]
	ds_read_b64 v[18:19], v6 offset:216
	v_pk_mul_f32 v[8:9], v[16:17], v[8:9] op_sel:[1,0]
	v_pk_fma_f32 v[12:13], v[28:29], v[44:45], v[12:13] op_sel_hi:[1,0,1] neg_lo:[1,0,0] neg_hi:[1,0,0]
	v_pk_fma_f32 v[8:9], v[24:25], v[16:17], v[8:9] op_sel_hi:[1,0,1] neg_lo:[1,0,0] neg_hi:[1,0,0]
	ds_write2_b64 v6, v[8:9], v[16:17] offset1:2
	v_xor_b32_e32 v8, 0x80000000, v13
	v_mov_b32_e32 v9, v12
	s_waitcnt lgkmcnt(1)
	v_pk_mul_f32 v[8:9], v[18:19], v[8:9] op_sel:[1,0]
	s_nop 0
	v_pk_fma_f32 v[8:9], v[12:13], v[18:19], v[8:9] op_sel_hi:[1,0,1]
	s_nop 0
	v_pk_add_f32 v[8:9], v[14:15], v[8:9] neg_lo:[0,1] neg_hi:[0,1]
	ds_write2_b64 v6, v[12:13], v[8:9] offset0:9 offset1:11
	v_pk_add_f32 v[8:9], v[18:19], 0 neg_lo:[1,1] neg_hi:[1,1]
	s_nop 0
	v_pk_mov_b32 v[8:9], v[18:19], v[8:9] op_sel:[1,0]
	s_nop 0
	v_pk_mul_f32 v[8:9], v[8:9], v[10:11] op_sel:[0,1]
	s_nop 0
	v_pk_fma_f32 v[8:9], v[18:19], v[10:11], v[8:9] op_sel_hi:[1,0,1] neg_lo:[1,0,0] neg_hi:[1,0,0]
	ds_write2_b64 v6, v[10:11], v[8:9] offset0:25 offset1:27
.LBB187_4:
	s_or_b64 exec, exec, s[4:5]
	s_mov_b32 s7, 0
	v_cmp_eq_u32_e32 vcc, 0, v0
	s_waitcnt lgkmcnt(0)
	; wave barrier
	s_and_saveexec_b64 s[4:5], vcc
	s_cbranch_execz .LBB187_6
; %bb.5:
	v_mov_b32_e32 v7, 0
	ds_read2_b64 v[8:11], v7 offset0:16 offset1:20
	ds_read2_b64 v[12:15], v7 offset0:11 offset1:15
	s_mov_b32 s6, 1.0
	s_waitcnt lgkmcnt(1)
	v_xor_b32_e32 v16, 0x80000000, v11
	v_mov_b32_e32 v17, v10
	s_waitcnt lgkmcnt(0)
	v_pk_mul_f32 v[16:17], v[12:13], v[16:17] op_sel:[1,0]
	s_nop 0
	v_pk_fma_f32 v[16:17], v[10:11], v[12:13], v[16:17] op_sel_hi:[1,0,1]
	s_nop 0
	v_pk_add_f32 v[30:31], v[16:17], s[6:7] neg_lo:[1,0] neg_hi:[1,0]
	ds_read2_b64 v[16:19], v7 offset0:36 offset1:43
	v_mul_f32_e32 v20, v31, v31
	v_fmac_f32_e32 v20, v30, v30
	v_div_scale_f32 v21, s[6:7], v20, v20, 1.0
	v_rcp_f32_e32 v22, v21
	v_div_scale_f32 v23, vcc, 1.0, v20, 1.0
	v_fma_f32 v33, v30, 0, -v31
	v_fma_f32 v24, -v21, v22, 1.0
	v_fmac_f32_e32 v22, v24, v22
	v_mul_f32_e32 v24, v23, v22
	v_fma_f32 v25, -v21, v24, v23
	v_fmac_f32_e32 v24, v25, v22
	v_fma_f32 v21, -v21, v24, v23
	v_div_fmas_f32 v21, v21, v22, v24
	v_div_fixup_f32 v32, v21, v20, 1.0
	s_waitcnt lgkmcnt(0)
	v_pk_mul_f32 v[20:21], v[16:17], v[12:13] op_sel:[1,1] op_sel_hi:[1,0] neg_lo:[0,1]
	v_fmac_f32_e32 v30, 0, v31
	v_pk_fma_f32 v[20:21], v[12:13], v[16:17], v[20:21] op_sel_hi:[1,0,1]
	v_mov_b32_e32 v31, v33
	v_pk_add_f32 v[34:35], v[18:19], v[20:21] neg_lo:[0,1] neg_hi:[0,1]
	v_pk_mul_f32 v[20:21], v[10:11], v[18:19] op_sel:[1,1] op_sel_hi:[1,0] neg_lo:[0,1]
	v_xor_b32_e32 v36, 0x80000000, v35
	v_pk_fma_f32 v[22:23], v[18:19], v[10:11], v[20:21] op_sel_hi:[1,0,1]
	ds_read2_b64 v[18:21], v7 offset1:4
	v_mov_b32_e32 v37, v34
	v_pk_add_f32 v[16:17], v[16:17], v[22:23] neg_lo:[0,1] neg_hi:[0,1]
	ds_read2_b64 v[22:25], v7 offset0:27 offset1:31
	v_pk_mul_f32 v[30:31], v[30:31], v[32:33] op_sel_hi:[1,0]
	v_xor_b32_e32 v38, 0x80000000, v17
	v_mov_b32_e32 v39, v16
	v_pk_mul_f32 v[32:33], v[30:31], v[36:37] op_sel:[1,0]
	ds_read2_b64 v[26:29], v7 offset0:31 offset1:32
	ds_read_b64 v[42:43], v7 offset:376
	v_pk_fma_f32 v[32:33], v[34:35], v[30:31], v[32:33] op_sel_hi:[1,0,1]
	v_pk_mul_f32 v[34:35], v[30:31], v[38:39] op_sel:[1,0]
	s_waitcnt lgkmcnt(3)
	v_xor_b32_e32 v40, 0x80000000, v19
	v_mov_b32_e32 v41, v18
	v_pk_fma_f32 v[16:17], v[16:17], v[30:31], v[34:35] op_sel_hi:[1,0,1]
	s_waitcnt lgkmcnt(2)
	v_xor_b32_e32 v44, 0x80000000, v25
	v_pk_mul_f32 v[34:35], v[16:17], v[40:41] op_sel:[1,0]
	v_mov_b32_e32 v45, v24
	v_pk_fma_f32 v[34:35], v[18:19], v[16:17], v[34:35] op_sel_hi:[1,0,1]
	v_mul_f32_e64 v46, v21, -v13
	s_waitcnt lgkmcnt(1)
	v_pk_add_f32 v[28:29], v[28:29], v[34:35] neg_lo:[0,1] neg_hi:[0,1]
	v_pk_mul_f32 v[34:35], v[32:33], v[44:45] op_sel:[1,0]
	v_fmac_f32_e32 v46, v12, v20
	v_pk_fma_f32 v[24:25], v[24:25], v[32:33], v[34:35] op_sel_hi:[1,0,1]
	v_mul_f32_e32 v12, v21, v12
	s_waitcnt lgkmcnt(0)
	v_pk_add_f32 v[24:25], v[42:43], v[24:25] neg_lo:[0,1] neg_hi:[0,1]
	ds_write2_b64 v7, v[32:33], v[24:25] offset0:43 offset1:47
	v_xor_b32_e32 v24, 0x80000000, v31
	v_mov_b32_e32 v25, v30
	v_pk_mul_f32 v[34:35], v[20:21], v[24:25] op_sel:[1,0]
	v_mul_f32_e32 v36, v11, v22
	v_fmac_f32_e32 v12, v13, v20
	v_xor_b32_e32 v33, 0x80000000, v30
	v_mov_b32_e32 v32, v31
	v_pk_fma_f32 v[20:21], v[30:31], v[20:21], v[34:35] op_sel_hi:[1,0,1]
	v_mul_f32_e64 v34, v11, -v23
	v_fmac_f32_e32 v36, v23, v10
	v_fmac_f32_e32 v34, v22, v10
	v_pk_mul_f32 v[10:11], v[32:33], v[36:37] op_sel_hi:[1,0]
	v_pk_mul_f32 v[12:13], v[32:33], v[12:13] op_sel_hi:[1,0]
	v_pk_fma_f32 v[10:11], v[30:31], v[34:35], v[10:11] op_sel_hi:[1,0,1] neg_lo:[1,0,0] neg_hi:[1,0,0]
	v_pk_mul_f32 v[24:25], v[22:23], v[24:25] op_sel:[1,0]
	v_pk_fma_f32 v[12:13], v[30:31], v[46:47], v[12:13] op_sel_hi:[1,0,1] neg_lo:[1,0,0] neg_hi:[1,0,0]
	v_pk_fma_f32 v[22:23], v[30:31], v[22:23], v[24:25] op_sel_hi:[1,0,1]
	v_pk_mul_f32 v[24:25], v[10:11], v[18:19] op_sel:[1,1] op_sel_hi:[1,0] neg_lo:[0,1]
	ds_write2_b64 v7, v[12:13], v[10:11] offset0:11 offset1:20
	ds_write2_b64 v7, v[22:23], v[16:17] offset0:27 offset1:36
	v_xor_b32_e32 v17, 0x80000000, v18
	v_pk_fma_f32 v[10:11], v[18:19], v[10:11], v[24:25] op_sel_hi:[1,0,1]
	v_mov_b32_e32 v16, v19
	v_pk_add_f32 v[8:9], v[8:9], v[10:11] neg_lo:[0,1] neg_hi:[0,1]
	v_pk_mul_f32 v[10:11], v[20:21], v[16:17] op_sel:[1,0]
	s_nop 0
	v_pk_fma_f32 v[10:11], v[18:19], v[20:21], v[10:11] op_sel_hi:[1,0,1] neg_lo:[1,0,0] neg_hi:[1,0,0]
	ds_write2_b64 v7, v[10:11], v[20:21] offset1:4
	v_xor_b32_e32 v10, 0x80000000, v13
	v_mov_b32_e32 v11, v12
	v_pk_mul_f32 v[10:11], v[26:27], v[10:11] op_sel:[1,0]
	s_nop 0
	v_pk_fma_f32 v[10:11], v[12:13], v[26:27], v[10:11] op_sel_hi:[1,0,1]
	s_nop 0
	v_pk_add_f32 v[10:11], v[14:15], v[10:11] neg_lo:[0,1] neg_hi:[0,1]
	ds_write2_b64 v7, v[10:11], v[8:9] offset0:15 offset1:16
	v_xor_b32_e32 v9, 0x80000000, v26
	v_mov_b32_e32 v8, v27
	v_pk_mul_f32 v[8:9], v[8:9], v[22:23] op_sel:[0,1]
	s_nop 0
	v_pk_fma_f32 v[8:9], v[26:27], v[22:23], v[8:9] op_sel_hi:[1,0,1] neg_lo:[1,0,0] neg_hi:[1,0,0]
	ds_write2_b64 v7, v[8:9], v[28:29] offset0:31 offset1:32
.LBB187_6:
	s_or_b64 exec, exec, s[4:5]
	s_waitcnt lgkmcnt(0)
	; wave barrier
	s_and_saveexec_b64 s[4:5], s[2:3]
	s_cbranch_execz .LBB187_8
; %bb.7:
	v_lshlrev_b32_e32 v7, 2, v0
	v_max_u32_e32 v12, 1, v7
	ds_read2_b64 v[8:11], v6 offset0:18 offset1:25
	v_lshlrev_b32_e32 v26, 3, v12
	ds_read_b64 v[20:21], v26 offset:312
	ds_read2_b64 v[12:15], v6 offset0:34 offset1:41
	v_min_u32_e32 v7, 3, v7
	v_lshlrev_b32_e32 v7, 3, v7
	ds_read2_b64 v[16:19], v6 offset0:2 offset1:9
	ds_read_b64 v[24:25], v7 offset:288
	s_waitcnt lgkmcnt(4)
	v_xor_b32_e32 v22, 0x80000000, v11
	v_mov_b32_e32 v23, v10
	s_waitcnt lgkmcnt(3)
	v_pk_mul_f32 v[22:23], v[20:21], v[22:23] op_sel:[1,0]
	s_nop 0
	v_pk_fma_f32 v[10:11], v[10:11], v[20:21], v[22:23] op_sel_hi:[1,0,1]
	s_waitcnt lgkmcnt(2)
	v_pk_add_f32 v[10:11], v[14:15], v[10:11] neg_lo:[0,1] neg_hi:[0,1]
	s_waitcnt lgkmcnt(1)
	v_xor_b32_e32 v14, 0x80000000, v19
	v_mov_b32_e32 v15, v18
	s_waitcnt lgkmcnt(0)
	v_pk_mul_f32 v[14:15], v[24:25], v[14:15] op_sel:[1,0]
	s_nop 0
	v_pk_fma_f32 v[14:15], v[18:19], v[24:25], v[14:15] op_sel_hi:[1,0,1]
	s_nop 0
	v_pk_add_f32 v[10:11], v[10:11], v[14:15] neg_lo:[0,1] neg_hi:[0,1]
	ds_write_b64 v6, v[10:11] offset:328
	ds_read_b64 v[10:11], v26 offset:312
	v_xor_b32_e32 v14, 0x80000000, v9
	v_mov_b32_e32 v15, v8
	s_waitcnt lgkmcnt(0)
	v_pk_mul_f32 v[14:15], v[10:11], v[14:15] op_sel:[1,0]
	s_nop 0
	v_pk_fma_f32 v[8:9], v[8:9], v[10:11], v[14:15] op_sel_hi:[1,0,1]
	s_nop 0
	v_pk_add_f32 v[8:9], v[12:13], v[8:9] neg_lo:[0,1] neg_hi:[0,1]
	ds_write_b64 v6, v[8:9] offset:272
	ds_read_b64 v[10:11], v7 offset:288
	v_xor_b32_e32 v12, 0x80000000, v17
	v_mov_b32_e32 v13, v16
	s_waitcnt lgkmcnt(0)
	v_pk_mul_f32 v[12:13], v[10:11], v[12:13] op_sel:[1,0]
	s_nop 0
	v_pk_fma_f32 v[10:11], v[16:17], v[10:11], v[12:13] op_sel_hi:[1,0,1]
	s_nop 0
	v_pk_add_f32 v[8:9], v[8:9], v[10:11] neg_lo:[0,1] neg_hi:[0,1]
	ds_write_b64 v6, v[8:9] offset:272
.LBB187_8:
	s_or_b64 exec, exec, s[4:5]
	s_waitcnt lgkmcnt(0)
	; wave barrier
	s_and_saveexec_b64 s[2:3], s[0:1]
	s_cbranch_execz .LBB187_10
; %bb.9:
	v_lshlrev_b32_e32 v10, 1, v0
	v_lshlrev_b32_e32 v0, 4, v0
	v_max_u32_e32 v11, 1, v10
	ds_read2_b64 v[6:9], v0 offset0:17 offset1:24
	v_lshlrev_b32_e32 v24, 3, v11
	v_min_u32_e32 v14, 5, v10
	ds_read_b64 v[18:19], v24 offset:312
	ds_read2_b64 v[10:13], v0 offset0:33 offset1:40
	v_lshlrev_b32_e32 v25, 3, v14
	ds_read2_b64 v[14:17], v0 offset0:1 offset1:8
	ds_read_b64 v[22:23], v25 offset:272
	s_waitcnt lgkmcnt(4)
	v_xor_b32_e32 v20, 0x80000000, v9
	v_mov_b32_e32 v21, v8
	s_waitcnt lgkmcnt(3)
	v_pk_mul_f32 v[20:21], v[18:19], v[20:21] op_sel:[1,0]
	s_nop 0
	v_pk_fma_f32 v[8:9], v[8:9], v[18:19], v[20:21] op_sel_hi:[1,0,1]
	s_waitcnt lgkmcnt(2)
	v_pk_add_f32 v[8:9], v[12:13], v[8:9] neg_lo:[0,1] neg_hi:[0,1]
	s_waitcnt lgkmcnt(1)
	v_xor_b32_e32 v12, 0x80000000, v17
	v_mov_b32_e32 v13, v16
	s_waitcnt lgkmcnt(0)
	v_pk_mul_f32 v[12:13], v[22:23], v[12:13] op_sel:[1,0]
	s_nop 0
	v_pk_fma_f32 v[12:13], v[16:17], v[22:23], v[12:13] op_sel_hi:[1,0,1]
	s_nop 0
	v_pk_add_f32 v[8:9], v[8:9], v[12:13] neg_lo:[0,1] neg_hi:[0,1]
	ds_write_b64 v0, v[8:9] offset:320
	ds_read_b64 v[8:9], v24 offset:312
	v_xor_b32_e32 v12, 0x80000000, v7
	v_mov_b32_e32 v13, v6
	s_waitcnt lgkmcnt(0)
	v_pk_mul_f32 v[12:13], v[8:9], v[12:13] op_sel:[1,0]
	s_nop 0
	v_pk_fma_f32 v[6:7], v[6:7], v[8:9], v[12:13] op_sel_hi:[1,0,1]
	s_nop 0
	v_pk_add_f32 v[6:7], v[10:11], v[6:7] neg_lo:[0,1] neg_hi:[0,1]
	ds_write_b64 v0, v[6:7] offset:264
	ds_read_b64 v[8:9], v25 offset:272
	v_xor_b32_e32 v10, 0x80000000, v15
	v_mov_b32_e32 v11, v14
	s_waitcnt lgkmcnt(0)
	v_pk_mul_f32 v[10:11], v[8:9], v[10:11] op_sel:[1,0]
	s_nop 0
	v_pk_fma_f32 v[8:9], v[14:15], v[8:9], v[10:11] op_sel_hi:[1,0,1]
	s_nop 0
	v_pk_add_f32 v[6:7], v[6:7], v[8:9] neg_lo:[0,1] neg_hi:[0,1]
	ds_write_b64 v0, v[6:7] offset:264
.LBB187_10:
	s_or_b64 exec, exec, s[2:3]
	s_waitcnt lgkmcnt(0)
	; wave barrier
	ds_read2_b64 v[6:9], v1 offset1:8
	s_waitcnt lgkmcnt(0)
	global_store_dwordx2 v[2:3], v[6:7], off
	global_store_dwordx2 v[4:5], v[8:9], off
	s_endpgm
	.section	.rodata,"a",@progbits
	.p2align	6, 0x0
	.amdhsa_kernel _ZN9rocsparseL34gtsv_solve_spike_grid_level_kernelILj8E21rocsparse_complex_numIfEEEviiiPT0_PKS3_S6_
		.amdhsa_group_segment_fixed_size 384
		.amdhsa_private_segment_fixed_size 0
		.amdhsa_kernarg_size 40
		.amdhsa_user_sgpr_count 2
		.amdhsa_user_sgpr_dispatch_ptr 0
		.amdhsa_user_sgpr_queue_ptr 0
		.amdhsa_user_sgpr_kernarg_segment_ptr 1
		.amdhsa_user_sgpr_dispatch_id 0
		.amdhsa_user_sgpr_kernarg_preload_length 0
		.amdhsa_user_sgpr_kernarg_preload_offset 0
		.amdhsa_user_sgpr_private_segment_size 0
		.amdhsa_uses_dynamic_stack 0
		.amdhsa_enable_private_segment 0
		.amdhsa_system_sgpr_workgroup_id_x 1
		.amdhsa_system_sgpr_workgroup_id_y 1
		.amdhsa_system_sgpr_workgroup_id_z 0
		.amdhsa_system_sgpr_workgroup_info 0
		.amdhsa_system_vgpr_workitem_id 0
		.amdhsa_next_free_vgpr 48
		.amdhsa_next_free_sgpr 10
		.amdhsa_accum_offset 48
		.amdhsa_reserve_vcc 1
		.amdhsa_float_round_mode_32 0
		.amdhsa_float_round_mode_16_64 0
		.amdhsa_float_denorm_mode_32 3
		.amdhsa_float_denorm_mode_16_64 3
		.amdhsa_dx10_clamp 1
		.amdhsa_ieee_mode 1
		.amdhsa_fp16_overflow 0
		.amdhsa_tg_split 0
		.amdhsa_exception_fp_ieee_invalid_op 0
		.amdhsa_exception_fp_denorm_src 0
		.amdhsa_exception_fp_ieee_div_zero 0
		.amdhsa_exception_fp_ieee_overflow 0
		.amdhsa_exception_fp_ieee_underflow 0
		.amdhsa_exception_fp_ieee_inexact 0
		.amdhsa_exception_int_div_zero 0
	.end_amdhsa_kernel
	.section	.text._ZN9rocsparseL34gtsv_solve_spike_grid_level_kernelILj8E21rocsparse_complex_numIfEEEviiiPT0_PKS3_S6_,"axG",@progbits,_ZN9rocsparseL34gtsv_solve_spike_grid_level_kernelILj8E21rocsparse_complex_numIfEEEviiiPT0_PKS3_S6_,comdat
.Lfunc_end187:
	.size	_ZN9rocsparseL34gtsv_solve_spike_grid_level_kernelILj8E21rocsparse_complex_numIfEEEviiiPT0_PKS3_S6_, .Lfunc_end187-_ZN9rocsparseL34gtsv_solve_spike_grid_level_kernelILj8E21rocsparse_complex_numIfEEEviiiPT0_PKS3_S6_
                                        ; -- End function
	.set _ZN9rocsparseL34gtsv_solve_spike_grid_level_kernelILj8E21rocsparse_complex_numIfEEEviiiPT0_PKS3_S6_.num_vgpr, 48
	.set _ZN9rocsparseL34gtsv_solve_spike_grid_level_kernelILj8E21rocsparse_complex_numIfEEEviiiPT0_PKS3_S6_.num_agpr, 0
	.set _ZN9rocsparseL34gtsv_solve_spike_grid_level_kernelILj8E21rocsparse_complex_numIfEEEviiiPT0_PKS3_S6_.numbered_sgpr, 10
	.set _ZN9rocsparseL34gtsv_solve_spike_grid_level_kernelILj8E21rocsparse_complex_numIfEEEviiiPT0_PKS3_S6_.num_named_barrier, 0
	.set _ZN9rocsparseL34gtsv_solve_spike_grid_level_kernelILj8E21rocsparse_complex_numIfEEEviiiPT0_PKS3_S6_.private_seg_size, 0
	.set _ZN9rocsparseL34gtsv_solve_spike_grid_level_kernelILj8E21rocsparse_complex_numIfEEEviiiPT0_PKS3_S6_.uses_vcc, 1
	.set _ZN9rocsparseL34gtsv_solve_spike_grid_level_kernelILj8E21rocsparse_complex_numIfEEEviiiPT0_PKS3_S6_.uses_flat_scratch, 0
	.set _ZN9rocsparseL34gtsv_solve_spike_grid_level_kernelILj8E21rocsparse_complex_numIfEEEviiiPT0_PKS3_S6_.has_dyn_sized_stack, 0
	.set _ZN9rocsparseL34gtsv_solve_spike_grid_level_kernelILj8E21rocsparse_complex_numIfEEEviiiPT0_PKS3_S6_.has_recursion, 0
	.set _ZN9rocsparseL34gtsv_solve_spike_grid_level_kernelILj8E21rocsparse_complex_numIfEEEviiiPT0_PKS3_S6_.has_indirect_call, 0
	.section	.AMDGPU.csdata,"",@progbits
; Kernel info:
; codeLenInByte = 3164
; TotalNumSgprs: 16
; NumVgprs: 48
; NumAgprs: 0
; TotalNumVgprs: 48
; ScratchSize: 0
; MemoryBound: 0
; FloatMode: 240
; IeeeMode: 1
; LDSByteSize: 384 bytes/workgroup (compile time only)
; SGPRBlocks: 1
; VGPRBlocks: 5
; NumSGPRsForWavesPerEU: 16
; NumVGPRsForWavesPerEU: 48
; AccumOffset: 48
; Occupancy: 8
; WaveLimiterHint : 0
; COMPUTE_PGM_RSRC2:SCRATCH_EN: 0
; COMPUTE_PGM_RSRC2:USER_SGPR: 2
; COMPUTE_PGM_RSRC2:TRAP_HANDLER: 0
; COMPUTE_PGM_RSRC2:TGID_X_EN: 1
; COMPUTE_PGM_RSRC2:TGID_Y_EN: 1
; COMPUTE_PGM_RSRC2:TGID_Z_EN: 0
; COMPUTE_PGM_RSRC2:TIDIG_COMP_CNT: 0
; COMPUTE_PGM_RSRC3_GFX90A:ACCUM_OFFSET: 11
; COMPUTE_PGM_RSRC3_GFX90A:TG_SPLIT: 0
	.section	.text._ZN9rocsparseL34gtsv_solve_spike_grid_level_kernelILj16E21rocsparse_complex_numIfEEEviiiPT0_PKS3_S6_,"axG",@progbits,_ZN9rocsparseL34gtsv_solve_spike_grid_level_kernelILj16E21rocsparse_complex_numIfEEEviiiPT0_PKS3_S6_,comdat
	.globl	_ZN9rocsparseL34gtsv_solve_spike_grid_level_kernelILj16E21rocsparse_complex_numIfEEEviiiPT0_PKS3_S6_ ; -- Begin function _ZN9rocsparseL34gtsv_solve_spike_grid_level_kernelILj16E21rocsparse_complex_numIfEEEviiiPT0_PKS3_S6_
	.p2align	8
	.type	_ZN9rocsparseL34gtsv_solve_spike_grid_level_kernelILj16E21rocsparse_complex_numIfEEEviiiPT0_PKS3_S6_,@function
_ZN9rocsparseL34gtsv_solve_spike_grid_level_kernelILj16E21rocsparse_complex_numIfEEEviiiPT0_PKS3_S6_: ; @_ZN9rocsparseL34gtsv_solve_spike_grid_level_kernelILj16E21rocsparse_complex_numIfEEEviiiPT0_PKS3_S6_
; %bb.0:
	s_load_dwordx4 s[4:7], s[0:1], 0x10
	s_load_dwordx2 s[8:9], s[0:1], 0x20
	v_lshl_or_b32 v4, s3, 5, v0
	v_mov_b32_e32 v5, 0
	v_lshlrev_b32_e32 v6, 3, v0
	s_waitcnt lgkmcnt(0)
	v_lshl_add_u64 v[2:3], v[4:5], 3, s[4:5]
	v_or_b32_e32 v4, 16, v4
	global_load_dwordx2 v[8:9], v6, s[6:7]
	global_load_dwordx2 v[10:11], v6, s[6:7] offset:128
	global_load_dwordx2 v[12:13], v6, s[8:9]
	global_load_dwordx2 v[14:15], v6, s[8:9] offset:128
	v_lshl_add_u64 v[4:5], v[4:5], 3, s[4:5]
	global_load_dwordx2 v[16:17], v[2:3], off
	global_load_dwordx2 v[18:19], v[4:5], off
	v_or_b32_e32 v1, 0x200, v6
	v_cmp_gt_u32_e64 s[0:1], 8, v0
	s_waitcnt vmcnt(4)
	ds_write2_b64 v6, v[8:9], v[10:11] offset0:32 offset1:48
	s_waitcnt vmcnt(2)
	ds_write2_b64 v6, v[12:13], v[14:15] offset1:16
	s_waitcnt vmcnt(0)
	ds_write2_b64 v6, v[16:17], v[18:19] offset0:64 offset1:80
	s_waitcnt lgkmcnt(0)
	; wave barrier
	s_and_saveexec_b64 s[2:3], s[0:1]
	s_cbranch_execz .LBB188_2
; %bb.1:
	v_or_b32_e32 v7, 0x100, v6
	v_add_u32_e32 v7, v7, v6
	ds_read2_b64 v[8:11], v7 offset1:1
	v_add_u32_e32 v43, v6, v6
	ds_read_b64 v[24:25], v43 offset:128
	ds_read2_b64 v[12:15], v7 offset0:16 offset1:17
	s_mov_b64 s[4:5], 0x3f800000
	v_add_u32_e32 v45, v1, v6
	s_waitcnt lgkmcnt(2)
	v_xor_b32_e32 v20, 0x80000000, v11
	v_mov_b32_e32 v21, v10
	s_waitcnt lgkmcnt(1)
	v_pk_mul_f32 v[20:21], v[24:25], v[20:21] op_sel:[1,0]
	ds_read_b128 v[16:19], v45
	v_pk_fma_f32 v[20:21], v[10:11], v[24:25], v[20:21] op_sel_hi:[1,0,1]
	s_waitcnt lgkmcnt(1)
	v_xor_b32_e32 v38, 0x80000000, v15
	v_pk_add_f32 v[26:27], v[20:21], s[4:5] neg_lo:[1,0] neg_hi:[1,0]
	v_mov_b32_e32 v39, v14
	v_mul_f32_e32 v20, v27, v27
	v_fmac_f32_e32 v20, v26, v26
	v_div_scale_f32 v21, s[4:5], v20, v20, 1.0
	v_rcp_f32_e32 v22, v21
	ds_read_b64 v[40:41], v7 offset:136
	v_fma_f32 v23, -v21, v22, 1.0
	v_fmac_f32_e32 v22, v23, v22
	v_div_scale_f32 v23, vcc, 1.0, v20, 1.0
	v_mul_f32_e32 v28, v23, v22
	v_fma_f32 v29, -v21, v28, v23
	v_fmac_f32_e32 v28, v29, v22
	v_fma_f32 v21, -v21, v28, v23
	v_div_fmas_f32 v21, v21, v22, v28
	v_div_fixup_f32 v28, v21, v20, 1.0
	ds_read2_b64 v[20:23], v45 offset0:16 offset1:17
	s_waitcnt lgkmcnt(2)
	v_mov_b32_e32 v30, v19
	v_pk_mul_f32 v[30:31], v[30:31], v[24:25] op_sel:[0,1] op_sel_hi:[0,0] neg_lo:[0,1]
	v_pk_fma_f32 v[30:31], v[24:25], v[18:19], v[30:31] op_sel_hi:[1,0,1]
	v_fma_f32 v29, v26, 0, -v27
	s_waitcnt lgkmcnt(0)
	v_pk_mul_f32 v[34:35], v[10:11], v[20:21] op_sel:[1,1] op_sel_hi:[1,0] neg_lo:[0,1]
	v_pk_add_f32 v[30:31], v[20:21], v[30:31] neg_lo:[0,1] neg_hi:[0,1]
	v_pk_fma_f32 v[20:21], v[20:21], v[10:11], v[34:35] op_sel_hi:[1,0,1]
	v_fmac_f32_e32 v26, 0, v27
	v_pk_add_f32 v[34:35], v[18:19], v[20:21] neg_lo:[0,1] neg_hi:[0,1]
	ds_read_b128 v[18:21], v43
	v_mov_b32_e32 v27, v29
	v_xor_b32_e32 v36, 0x80000000, v35
	v_mov_b32_e32 v37, v34
	v_pk_mul_f32 v[46:47], v[26:27], v[28:29] op_sel_hi:[1,0]
	v_xor_b32_e32 v32, 0x80000000, v31
	v_pk_mul_f32 v[26:27], v[46:47], v[36:37] op_sel:[1,0]
	v_mov_b32_e32 v33, v30
	s_waitcnt lgkmcnt(0)
	v_mul_f32_e64 v42, v21, -v25
	v_mul_f32_e32 v44, v21, v24
	v_pk_fma_f32 v[28:29], v[34:35], v[46:47], v[26:27] op_sel_hi:[1,0,1]
	v_fmac_f32_e32 v42, v24, v20
	v_fmac_f32_e32 v44, v25, v20
	v_pk_mul_f32 v[24:25], v[46:47], v[32:33] op_sel:[1,0]
	v_pk_mul_f32 v[26:27], v[28:29], v[18:19] op_sel:[1,1] op_sel_hi:[1,0] neg_lo:[0,1]
	v_pk_fma_f32 v[24:25], v[30:31], v[46:47], v[24:25] op_sel_hi:[1,0,1]
	v_pk_fma_f32 v[26:27], v[18:19], v[28:29], v[26:27] op_sel_hi:[1,0,1]
	s_nop 0
	v_pk_add_f32 v[26:27], v[16:17], v[26:27] neg_lo:[0,1] neg_hi:[0,1]
	v_pk_mul_f32 v[16:17], v[24:25], v[38:39] op_sel:[1,0]
	ds_write_b128 v45, v[26:29]
	v_pk_fma_f32 v[14:15], v[14:15], v[24:25], v[16:17] op_sel_hi:[1,0,1]
	s_nop 0
	v_pk_add_f32 v[26:27], v[22:23], v[14:15] neg_lo:[0,1] neg_hi:[0,1]
	v_pk_add_f32 v[14:15], v[46:47], 0 neg_lo:[1,1] neg_hi:[1,1]
	ds_write_b128 v45, v[24:27] offset:128
	v_pk_mov_b32 v[16:17], v[46:47], v[14:15] op_sel:[1,0]
	v_pk_mov_b32 v[14:15], v[14:15], v[46:47] op_sel:[1,0]
	v_pk_mul_f32 v[22:23], v[16:17], v[44:45] op_sel_hi:[1,0]
	v_xor_b32_e32 v24, 0x80000000, v47
	v_pk_fma_f32 v[22:23], v[46:47], v[42:43], v[22:23] op_sel_hi:[1,0,1] neg_lo:[1,0,0] neg_hi:[1,0,0]
	ds_write_b64 v43, v[22:23] offset:128
	v_mov_b32_e32 v22, v21
	v_pk_mul_f32 v[14:15], v[22:23], v[14:15] op_sel_hi:[0,1]
	v_mul_f32_e32 v22, v11, v12
	v_pk_fma_f32 v[14:15], v[46:47], v[20:21], v[14:15] op_sel_hi:[1,0,1]
	v_mul_f32_e64 v20, v11, -v13
	v_fmac_f32_e32 v22, v13, v10
	v_fmac_f32_e32 v20, v12, v10
	v_pk_mul_f32 v[10:11], v[16:17], v[22:23] op_sel_hi:[1,0]
	v_mov_b32_e32 v25, v46
	v_pk_fma_f32 v[10:11], v[46:47], v[20:21], v[10:11] op_sel_hi:[1,0,1] neg_lo:[1,0,0] neg_hi:[1,0,0]
	v_pk_mul_f32 v[16:17], v[12:13], v[24:25] op_sel:[1,0]
	v_pk_mul_f32 v[20:21], v[10:11], v[18:19] op_sel:[1,1] op_sel_hi:[1,0] neg_lo:[0,1]
	v_pk_fma_f32 v[16:17], v[46:47], v[12:13], v[16:17] op_sel_hi:[1,0,1]
	v_pk_fma_f32 v[20:21], v[18:19], v[10:11], v[20:21] op_sel_hi:[1,0,1]
	v_pk_add_f32 v[12:13], v[18:19], 0 neg_lo:[1,1] neg_hi:[1,1]
	v_pk_add_f32 v[8:9], v[8:9], v[20:21] neg_lo:[0,1] neg_hi:[0,1]
	ds_write_b128 v7, v[8:11]
	ds_read_b128 v[8:11], v43 offset:128
	v_pk_mov_b32 v[12:13], v[18:19], v[12:13] op_sel:[1,0]
	s_nop 0
	v_pk_mul_f32 v[12:13], v[14:15], v[12:13] op_sel:[1,0]
	s_nop 0
	v_pk_fma_f32 v[12:13], v[18:19], v[14:15], v[12:13] op_sel_hi:[1,0,1] neg_lo:[1,0,0] neg_hi:[1,0,0]
	ds_write_b128 v43, v[12:15]
	s_waitcnt lgkmcnt(1)
	v_pk_mul_f32 v[12:13], v[40:41], v[8:9] op_sel:[1,1] op_sel_hi:[1,0] neg_lo:[0,1]
	s_nop 0
	v_pk_fma_f32 v[8:9], v[8:9], v[40:41], v[12:13] op_sel_hi:[1,0,1]
	s_nop 0
	v_pk_add_f32 v[8:9], v[10:11], v[8:9] neg_lo:[0,1] neg_hi:[0,1]
	ds_write_b64 v43, v[8:9] offset:136
	v_pk_add_f32 v[8:9], v[40:41], 0 neg_lo:[1,1] neg_hi:[1,1]
	s_nop 0
	v_pk_mov_b32 v[8:9], v[40:41], v[8:9] op_sel:[1,0]
	s_nop 0
	v_pk_mul_f32 v[8:9], v[8:9], v[16:17] op_sel:[0,1]
	s_nop 0
	v_pk_fma_f32 v[18:19], v[40:41], v[16:17], v[8:9] op_sel_hi:[1,0,1] neg_lo:[1,0,0] neg_hi:[1,0,0]
	ds_write_b128 v7, v[16:19] offset:128
.LBB188_2:
	s_or_b64 exec, exec, s[2:3]
	v_cmp_gt_u32_e64 s[2:3], 4, v0
	v_lshlrev_b32_e32 v7, 5, v0
	s_waitcnt lgkmcnt(0)
	; wave barrier
	s_and_saveexec_b64 s[4:5], s[2:3]
	s_cbranch_execz .LBB188_4
; %bb.3:
	ds_read2_b64 v[8:11], v7 offset0:32 offset1:34
	ds_read2_b64 v[12:15], v7 offset0:17 offset1:19
	s_mov_b64 s[6:7], 0x3f800000
	v_mad_u32_u24 v45, v0, 24, v1
	s_waitcnt lgkmcnt(1)
	v_xor_b32_e32 v16, 0x80000000, v11
	v_mov_b32_e32 v17, v10
	s_waitcnt lgkmcnt(0)
	v_pk_mul_f32 v[16:17], v[12:13], v[16:17] op_sel:[1,0]
	s_nop 0
	v_pk_fma_f32 v[16:17], v[10:11], v[12:13], v[16:17] op_sel_hi:[1,0,1]
	s_nop 0
	v_pk_add_f32 v[28:29], v[16:17], s[6:7] neg_lo:[1,0] neg_hi:[1,0]
	s_nop 0
	v_mul_f32_e32 v20, v29, v29
	v_fmac_f32_e32 v20, v28, v28
	v_div_scale_f32 v16, s[6:7], v20, v20, 1.0
	v_rcp_f32_e32 v17, v16
	v_div_scale_f32 v18, vcc, 1.0, v20, 1.0
	v_fma_f32 v31, v28, 0, -v29
	v_fma_f32 v19, -v16, v17, 1.0
	v_fmac_f32_e32 v17, v19, v17
	v_mul_f32_e32 v19, v18, v17
	v_fma_f32 v21, -v16, v19, v18
	v_fmac_f32_e32 v19, v21, v17
	v_fma_f32 v16, -v16, v19, v18
	v_div_fmas_f32 v21, v16, v17, v19
	ds_read2_b64 v[16:19], v45 offset1:2
	v_div_fixup_f32 v30, v21, v20, 1.0
	ds_read2_b64 v[20:23], v45 offset0:17 offset1:19
	v_fmac_f32_e32 v28, 0, v29
	v_mov_b32_e32 v29, v31
	s_waitcnt lgkmcnt(1)
	v_pk_mul_f32 v[24:25], v[18:19], v[12:13] op_sel:[1,1] op_sel_hi:[1,0] neg_lo:[0,1]
	v_pk_mul_f32 v[28:29], v[28:29], v[30:31] op_sel_hi:[1,0]
	v_pk_fma_f32 v[24:25], v[12:13], v[18:19], v[24:25] op_sel_hi:[1,0,1]
	s_waitcnt lgkmcnt(0)
	v_pk_add_f32 v[32:33], v[20:21], v[24:25] neg_lo:[0,1] neg_hi:[0,1]
	v_pk_mul_f32 v[24:25], v[10:11], v[20:21] op_sel:[1,1] op_sel_hi:[1,0] neg_lo:[0,1]
	v_xor_b32_e32 v34, 0x80000000, v33
	v_pk_fma_f32 v[20:21], v[20:21], v[10:11], v[24:25] op_sel_hi:[1,0,1]
	ds_read2_b64 v[24:27], v7 offset1:2
	v_mov_b32_e32 v35, v32
	v_pk_add_f32 v[36:37], v[18:19], v[20:21] neg_lo:[0,1] neg_hi:[0,1]
	ds_read2_b64 v[18:21], v7 offset0:49 offset1:51
	v_xor_b32_e32 v38, 0x80000000, v37
	v_mov_b32_e32 v39, v36
	v_pk_mul_f32 v[30:31], v[28:29], v[34:35] op_sel:[1,0]
	s_waitcnt lgkmcnt(1)
	v_xor_b32_e32 v40, 0x80000000, v25
	v_pk_fma_f32 v[30:31], v[32:33], v[28:29], v[30:31] op_sel_hi:[1,0,1]
	v_pk_mul_f32 v[32:33], v[28:29], v[38:39] op_sel:[1,0]
	v_mov_b32_e32 v41, v24
	v_pk_fma_f32 v[32:33], v[36:37], v[28:29], v[32:33] op_sel_hi:[1,0,1]
	s_waitcnt lgkmcnt(0)
	v_xor_b32_e32 v42, 0x80000000, v21
	v_pk_mul_f32 v[34:35], v[32:33], v[40:41] op_sel:[1,0]
	v_mov_b32_e32 v43, v20
	v_pk_fma_f32 v[34:35], v[24:25], v[32:33], v[34:35] op_sel_hi:[1,0,1]
	v_mul_f32_e64 v44, v27, -v13
	v_pk_add_f32 v[16:17], v[16:17], v[34:35] neg_lo:[0,1] neg_hi:[0,1]
	ds_write2_b64 v45, v[16:17], v[32:33] offset1:2
	v_pk_mul_f32 v[16:17], v[30:31], v[42:43] op_sel:[1,0]
	v_fmac_f32_e32 v44, v12, v26
	v_pk_fma_f32 v[16:17], v[20:21], v[30:31], v[16:17] op_sel_hi:[1,0,1]
	v_mul_f32_e32 v12, v27, v12
	v_pk_add_f32 v[16:17], v[22:23], v[16:17] neg_lo:[0,1] neg_hi:[0,1]
	ds_write2_b64 v45, v[30:31], v[16:17] offset0:17 offset1:19
	v_pk_add_f32 v[16:17], v[28:29], 0 neg_lo:[1,1] neg_hi:[1,1]
	v_fmac_f32_e32 v12, v13, v26
	v_pk_mov_b32 v[20:21], v[28:29], v[16:17] op_sel:[1,0]
	v_pk_mov_b32 v[16:17], v[16:17], v[28:29] op_sel:[1,0]
	v_mul_f32_e64 v22, v11, -v19
	v_pk_mul_f32 v[16:17], v[26:27], v[16:17] op_sel:[1,0]
	v_pk_mul_f32 v[12:13], v[20:21], v[12:13] op_sel_hi:[1,0]
	v_pk_fma_f32 v[16:17], v[28:29], v[26:27], v[16:17] op_sel_hi:[1,0,1]
	v_mul_f32_e32 v26, v11, v18
	v_fmac_f32_e32 v26, v19, v10
	v_fmac_f32_e32 v22, v18, v10
	v_pk_mul_f32 v[20:21], v[20:21], v[26:27] op_sel_hi:[1,0]
	v_xor_b32_e32 v10, 0x80000000, v29
	v_pk_fma_f32 v[20:21], v[28:29], v[22:23], v[20:21] op_sel_hi:[1,0,1] neg_lo:[1,0,0] neg_hi:[1,0,0]
	v_mov_b32_e32 v11, v28
	v_pk_mul_f32 v[22:23], v[20:21], v[24:25] op_sel:[1,1] op_sel_hi:[1,0] neg_lo:[0,1]
	v_pk_mul_f32 v[10:11], v[18:19], v[10:11] op_sel:[1,0]
	v_pk_fma_f32 v[22:23], v[24:25], v[20:21], v[22:23] op_sel_hi:[1,0,1]
	v_pk_fma_f32 v[10:11], v[28:29], v[18:19], v[10:11] op_sel_hi:[1,0,1]
	v_pk_add_f32 v[18:19], v[24:25], 0 neg_lo:[1,1] neg_hi:[1,1]
	v_pk_add_f32 v[8:9], v[8:9], v[22:23] neg_lo:[0,1] neg_hi:[0,1]
	ds_write2_b64 v7, v[8:9], v[20:21] offset0:32 offset1:34
	v_pk_mov_b32 v[8:9], v[24:25], v[18:19] op_sel:[1,0]
	ds_read_b64 v[18:19], v7 offset:408
	v_pk_mul_f32 v[8:9], v[16:17], v[8:9] op_sel:[1,0]
	v_pk_fma_f32 v[12:13], v[28:29], v[44:45], v[12:13] op_sel_hi:[1,0,1] neg_lo:[1,0,0] neg_hi:[1,0,0]
	v_pk_fma_f32 v[8:9], v[24:25], v[16:17], v[8:9] op_sel_hi:[1,0,1] neg_lo:[1,0,0] neg_hi:[1,0,0]
	ds_write2_b64 v7, v[8:9], v[16:17] offset1:2
	v_xor_b32_e32 v8, 0x80000000, v13
	v_mov_b32_e32 v9, v12
	s_waitcnt lgkmcnt(1)
	v_pk_mul_f32 v[8:9], v[18:19], v[8:9] op_sel:[1,0]
	s_nop 0
	v_pk_fma_f32 v[8:9], v[12:13], v[18:19], v[8:9] op_sel_hi:[1,0,1]
	s_nop 0
	v_pk_add_f32 v[8:9], v[14:15], v[8:9] neg_lo:[0,1] neg_hi:[0,1]
	ds_write2_b64 v7, v[12:13], v[8:9] offset0:17 offset1:19
	v_pk_add_f32 v[8:9], v[18:19], 0 neg_lo:[1,1] neg_hi:[1,1]
	s_nop 0
	v_pk_mov_b32 v[8:9], v[18:19], v[8:9] op_sel:[1,0]
	s_nop 0
	v_pk_mul_f32 v[8:9], v[8:9], v[10:11] op_sel:[0,1]
	s_nop 0
	v_pk_fma_f32 v[8:9], v[18:19], v[10:11], v[8:9] op_sel_hi:[1,0,1] neg_lo:[1,0,0] neg_hi:[1,0,0]
	ds_write2_b64 v7, v[10:11], v[8:9] offset0:49 offset1:51
.LBB188_4:
	s_or_b64 exec, exec, s[4:5]
	v_cmp_gt_u32_e64 s[4:5], 2, v0
	v_lshlrev_b32_e32 v8, 6, v0
	s_waitcnt lgkmcnt(0)
	; wave barrier
	s_and_saveexec_b64 s[6:7], s[4:5]
	s_cbranch_execz .LBB188_6
; %bb.5:
	ds_read2_b64 v[10:13], v8 offset0:32 offset1:36
	ds_read2_b64 v[14:17], v8 offset0:19 offset1:23
	s_mov_b64 s[8:9], 0x3f800000
	s_waitcnt lgkmcnt(1)
	v_xor_b32_e32 v18, 0x80000000, v13
	v_mov_b32_e32 v19, v12
	s_waitcnt lgkmcnt(0)
	v_pk_mul_f32 v[18:19], v[14:15], v[18:19] op_sel:[1,0]
	s_nop 0
	v_pk_fma_f32 v[18:19], v[12:13], v[14:15], v[18:19] op_sel_hi:[1,0,1]
	s_nop 0
	v_pk_add_f32 v[30:31], v[18:19], s[8:9] neg_lo:[1,0] neg_hi:[1,0]
	s_nop 0
	v_mul_f32_e32 v9, v31, v31
	v_fmac_f32_e32 v9, v30, v30
	v_div_scale_f32 v18, s[8:9], v9, v9, 1.0
	v_rcp_f32_e32 v22, v18
	v_div_scale_f32 v19, vcc, 1.0, v9, 1.0
	v_fma_f32 v20, -v18, v22, 1.0
	v_fmac_f32_e32 v22, v20, v22
	v_mul_f32_e32 v23, v19, v22
	v_fma_f32 v20, -v18, v23, v19
	v_fmac_f32_e32 v23, v20, v22
	v_fma_f32 v24, -v18, v23, v19
	ds_read2_b64 v[18:21], v8 offset0:68 offset1:83
	v_div_fmas_f32 v22, v24, v22, v23
	v_div_fixup_f32 v32, v22, v9, 1.0
	v_fma_f32 v9, v30, 0, -v31
	v_fmac_f32_e32 v30, 0, v31
	s_waitcnt lgkmcnt(0)
	v_pk_mul_f32 v[22:23], v[18:19], v[14:15] op_sel:[1,1] op_sel_hi:[1,0] neg_lo:[0,1]
	v_mov_b32_e32 v31, v9
	v_pk_fma_f32 v[22:23], v[14:15], v[18:19], v[22:23] op_sel_hi:[1,0,1]
	v_pk_mul_f32 v[30:31], v[30:31], v[32:33] op_sel_hi:[1,0]
	v_pk_add_f32 v[34:35], v[20:21], v[22:23] neg_lo:[0,1] neg_hi:[0,1]
	v_pk_mul_f32 v[22:23], v[12:13], v[20:21] op_sel:[1,1] op_sel_hi:[1,0] neg_lo:[0,1]
	v_xor_b32_e32 v36, 0x80000000, v35
	v_pk_fma_f32 v[20:21], v[20:21], v[12:13], v[22:23] op_sel_hi:[1,0,1]
	v_mov_b32_e32 v37, v34
	v_pk_add_f32 v[38:39], v[18:19], v[20:21] neg_lo:[0,1] neg_hi:[0,1]
	ds_read2_b64 v[18:21], v8 offset1:4
	v_xor_b32_e32 v40, 0x80000000, v39
	v_mov_b32_e32 v41, v38
	ds_read2_b64 v[22:25], v8 offset0:51 offset1:55
	ds_read2_b64 v[26:29], v8 offset0:55 offset1:64
	v_pk_mul_f32 v[32:33], v[30:31], v[36:37] op_sel:[1,0]
	s_waitcnt lgkmcnt(2)
	v_xor_b32_e32 v42, 0x80000000, v19
	v_pk_fma_f32 v[32:33], v[34:35], v[30:31], v[32:33] op_sel_hi:[1,0,1]
	v_pk_mul_f32 v[34:35], v[30:31], v[40:41] op_sel:[1,0]
	v_mov_b32_e32 v43, v18
	v_pk_fma_f32 v[34:35], v[38:39], v[30:31], v[34:35] op_sel_hi:[1,0,1]
	ds_read_b64 v[44:45], v8 offset:696
	v_pk_mul_f32 v[36:37], v[34:35], v[42:43] op_sel:[1,0]
	s_waitcnt lgkmcnt(2)
	v_xor_b32_e32 v46, 0x80000000, v25
	v_pk_fma_f32 v[36:37], v[18:19], v[34:35], v[36:37] op_sel_hi:[1,0,1]
	v_mov_b32_e32 v47, v24
	s_waitcnt lgkmcnt(1)
	v_pk_add_f32 v[28:29], v[28:29], v[36:37] neg_lo:[0,1] neg_hi:[0,1]
	ds_write2_b64 v8, v[28:29], v[34:35] offset0:64 offset1:68
	v_pk_mul_f32 v[28:29], v[32:33], v[46:47] op_sel:[1,0]
	v_mul_f32_e64 v48, v21, -v15
	v_pk_fma_f32 v[24:25], v[24:25], v[32:33], v[28:29] op_sel_hi:[1,0,1]
	v_fmac_f32_e32 v48, v14, v20
	s_waitcnt lgkmcnt(1)
	v_pk_add_f32 v[24:25], v[44:45], v[24:25] neg_lo:[0,1] neg_hi:[0,1]
	ds_write2_b64 v8, v[32:33], v[24:25] offset0:83 offset1:87
	v_pk_add_f32 v[24:25], v[30:31], 0 neg_lo:[1,1] neg_hi:[1,1]
	v_mul_f32_e32 v14, v21, v14
	v_pk_mov_b32 v[28:29], v[30:31], v[24:25] op_sel:[1,0]
	v_pk_mov_b32 v[24:25], v[24:25], v[30:31] op_sel:[1,0]
	v_mul_f32_e32 v32, v13, v22
	v_pk_mul_f32 v[24:25], v[20:21], v[24:25] op_sel:[1,0]
	v_fmac_f32_e32 v14, v15, v20
	v_pk_fma_f32 v[20:21], v[30:31], v[20:21], v[24:25] op_sel_hi:[1,0,1]
	v_mul_f32_e64 v24, v13, -v23
	v_fmac_f32_e32 v32, v23, v12
	v_pk_mul_f32 v[14:15], v[28:29], v[14:15] op_sel_hi:[1,0]
	v_fmac_f32_e32 v24, v22, v12
	v_pk_mul_f32 v[28:29], v[28:29], v[32:33] op_sel_hi:[1,0]
	v_xor_b32_e32 v12, 0x80000000, v31
	v_pk_fma_f32 v[24:25], v[30:31], v[24:25], v[28:29] op_sel_hi:[1,0,1] neg_lo:[1,0,0] neg_hi:[1,0,0]
	v_mov_b32_e32 v13, v30
	v_pk_mul_f32 v[28:29], v[24:25], v[18:19] op_sel:[1,1] op_sel_hi:[1,0] neg_lo:[0,1]
	v_pk_mul_f32 v[12:13], v[22:23], v[12:13] op_sel:[1,0]
	v_pk_fma_f32 v[28:29], v[18:19], v[24:25], v[28:29] op_sel_hi:[1,0,1]
	v_pk_fma_f32 v[12:13], v[30:31], v[22:23], v[12:13] op_sel_hi:[1,0,1]
	v_pk_add_f32 v[22:23], v[18:19], 0 neg_lo:[1,1] neg_hi:[1,1]
	v_pk_add_f32 v[10:11], v[10:11], v[28:29] neg_lo:[0,1] neg_hi:[0,1]
	ds_write2_b64 v8, v[10:11], v[24:25] offset0:32 offset1:36
	v_pk_mov_b32 v[10:11], v[18:19], v[22:23] op_sel:[1,0]
	v_pk_fma_f32 v[14:15], v[30:31], v[48:49], v[14:15] op_sel_hi:[1,0,1] neg_lo:[1,0,0] neg_hi:[1,0,0]
	v_pk_mul_f32 v[10:11], v[20:21], v[10:11] op_sel:[1,0]
	s_nop 0
	v_pk_fma_f32 v[10:11], v[18:19], v[20:21], v[10:11] op_sel_hi:[1,0,1] neg_lo:[1,0,0] neg_hi:[1,0,0]
	ds_write2_b64 v8, v[10:11], v[20:21] offset1:4
	v_xor_b32_e32 v10, 0x80000000, v15
	v_mov_b32_e32 v11, v14
	v_pk_mul_f32 v[10:11], v[26:27], v[10:11] op_sel:[1,0]
	s_nop 0
	v_pk_fma_f32 v[10:11], v[14:15], v[26:27], v[10:11] op_sel_hi:[1,0,1]
	s_nop 0
	v_pk_add_f32 v[10:11], v[16:17], v[10:11] neg_lo:[0,1] neg_hi:[0,1]
	ds_write2_b64 v8, v[14:15], v[10:11] offset0:19 offset1:23
	v_pk_add_f32 v[10:11], v[26:27], 0 neg_lo:[1,1] neg_hi:[1,1]
	s_nop 0
	v_pk_mov_b32 v[10:11], v[26:27], v[10:11] op_sel:[1,0]
	s_nop 0
	v_pk_mul_f32 v[10:11], v[10:11], v[12:13] op_sel:[0,1]
	s_nop 0
	v_pk_fma_f32 v[10:11], v[26:27], v[12:13], v[10:11] op_sel_hi:[1,0,1] neg_lo:[1,0,0] neg_hi:[1,0,0]
	ds_write2_b64 v8, v[12:13], v[10:11] offset0:51 offset1:55
.LBB188_6:
	s_or_b64 exec, exec, s[6:7]
	s_mov_b32 s9, 0
	v_cmp_eq_u32_e32 vcc, 0, v0
	s_waitcnt lgkmcnt(0)
	; wave barrier
	s_and_saveexec_b64 s[6:7], vcc
	s_cbranch_execz .LBB188_8
; %bb.7:
	v_mov_b32_e32 v9, 0
	ds_read2_b64 v[10:13], v9 offset0:32 offset1:40
	ds_read2_b64 v[14:17], v9 offset0:23 offset1:31
	s_mov_b32 s8, 1.0
	s_waitcnt lgkmcnt(1)
	v_xor_b32_e32 v18, 0x80000000, v13
	v_mov_b32_e32 v19, v12
	s_waitcnt lgkmcnt(0)
	v_pk_mul_f32 v[18:19], v[14:15], v[18:19] op_sel:[1,0]
	s_nop 0
	v_pk_fma_f32 v[18:19], v[12:13], v[14:15], v[18:19] op_sel_hi:[1,0,1]
	s_nop 0
	v_pk_add_f32 v[32:33], v[18:19], s[8:9] neg_lo:[1,0] neg_hi:[1,0]
	ds_read2_b64 v[18:21], v9 offset0:72 offset1:87
	v_mul_f32_e32 v22, v33, v33
	v_fmac_f32_e32 v22, v32, v32
	v_div_scale_f32 v23, s[8:9], v22, v22, 1.0
	v_rcp_f32_e32 v24, v23
	v_div_scale_f32 v25, vcc, 1.0, v22, 1.0
	v_fma_f32 v35, v32, 0, -v33
	v_fma_f32 v26, -v23, v24, 1.0
	v_fmac_f32_e32 v24, v26, v24
	v_mul_f32_e32 v26, v25, v24
	v_fma_f32 v27, -v23, v26, v25
	v_fmac_f32_e32 v26, v27, v24
	v_fma_f32 v23, -v23, v26, v25
	v_div_fmas_f32 v23, v23, v24, v26
	v_div_fixup_f32 v34, v23, v22, 1.0
	s_waitcnt lgkmcnt(0)
	v_pk_mul_f32 v[22:23], v[18:19], v[14:15] op_sel:[1,1] op_sel_hi:[1,0] neg_lo:[0,1]
	v_fmac_f32_e32 v32, 0, v33
	v_pk_fma_f32 v[22:23], v[14:15], v[18:19], v[22:23] op_sel_hi:[1,0,1]
	v_mov_b32_e32 v33, v35
	v_pk_add_f32 v[36:37], v[20:21], v[22:23] neg_lo:[0,1] neg_hi:[0,1]
	v_pk_mul_f32 v[22:23], v[12:13], v[20:21] op_sel:[1,1] op_sel_hi:[1,0] neg_lo:[0,1]
	v_xor_b32_e32 v38, 0x80000000, v37
	v_pk_fma_f32 v[24:25], v[20:21], v[12:13], v[22:23] op_sel_hi:[1,0,1]
	ds_read2_b64 v[20:23], v9 offset1:8
	v_mov_b32_e32 v39, v36
	v_pk_add_f32 v[18:19], v[18:19], v[24:25] neg_lo:[0,1] neg_hi:[0,1]
	ds_read2_b64 v[24:27], v9 offset0:55 offset1:63
	v_pk_mul_f32 v[32:33], v[32:33], v[34:35] op_sel_hi:[1,0]
	v_xor_b32_e32 v40, 0x80000000, v19
	v_mov_b32_e32 v41, v18
	v_pk_mul_f32 v[34:35], v[32:33], v[38:39] op_sel:[1,0]
	ds_read2_b64 v[28:31], v9 offset0:63 offset1:64
	ds_read_b64 v[44:45], v9 offset:760
	v_pk_fma_f32 v[34:35], v[36:37], v[32:33], v[34:35] op_sel_hi:[1,0,1]
	v_pk_mul_f32 v[36:37], v[32:33], v[40:41] op_sel:[1,0]
	s_waitcnt lgkmcnt(3)
	v_xor_b32_e32 v42, 0x80000000, v21
	v_mov_b32_e32 v43, v20
	v_pk_fma_f32 v[18:19], v[18:19], v[32:33], v[36:37] op_sel_hi:[1,0,1]
	s_waitcnt lgkmcnt(2)
	v_xor_b32_e32 v46, 0x80000000, v27
	v_pk_mul_f32 v[36:37], v[18:19], v[42:43] op_sel:[1,0]
	v_mov_b32_e32 v47, v26
	v_pk_fma_f32 v[36:37], v[20:21], v[18:19], v[36:37] op_sel_hi:[1,0,1]
	v_mul_f32_e64 v48, v23, -v15
	s_waitcnt lgkmcnt(1)
	v_pk_add_f32 v[30:31], v[30:31], v[36:37] neg_lo:[0,1] neg_hi:[0,1]
	v_pk_mul_f32 v[36:37], v[34:35], v[46:47] op_sel:[1,0]
	v_fmac_f32_e32 v48, v14, v22
	v_pk_fma_f32 v[26:27], v[26:27], v[34:35], v[36:37] op_sel_hi:[1,0,1]
	v_mul_f32_e32 v14, v23, v14
	s_waitcnt lgkmcnt(0)
	v_pk_add_f32 v[26:27], v[44:45], v[26:27] neg_lo:[0,1] neg_hi:[0,1]
	ds_write2_b64 v9, v[34:35], v[26:27] offset0:87 offset1:95
	v_xor_b32_e32 v26, 0x80000000, v33
	v_mov_b32_e32 v27, v32
	v_pk_mul_f32 v[36:37], v[22:23], v[26:27] op_sel:[1,0]
	v_mul_f32_e32 v38, v13, v24
	v_fmac_f32_e32 v14, v15, v22
	v_xor_b32_e32 v35, 0x80000000, v32
	v_mov_b32_e32 v34, v33
	v_pk_fma_f32 v[22:23], v[32:33], v[22:23], v[36:37] op_sel_hi:[1,0,1]
	v_mul_f32_e64 v36, v13, -v25
	v_fmac_f32_e32 v38, v25, v12
	v_fmac_f32_e32 v36, v24, v12
	v_pk_mul_f32 v[12:13], v[34:35], v[38:39] op_sel_hi:[1,0]
	v_pk_mul_f32 v[14:15], v[34:35], v[14:15] op_sel_hi:[1,0]
	v_pk_fma_f32 v[12:13], v[32:33], v[36:37], v[12:13] op_sel_hi:[1,0,1] neg_lo:[1,0,0] neg_hi:[1,0,0]
	v_pk_mul_f32 v[26:27], v[24:25], v[26:27] op_sel:[1,0]
	v_pk_fma_f32 v[14:15], v[32:33], v[48:49], v[14:15] op_sel_hi:[1,0,1] neg_lo:[1,0,0] neg_hi:[1,0,0]
	v_pk_fma_f32 v[24:25], v[32:33], v[24:25], v[26:27] op_sel_hi:[1,0,1]
	v_pk_mul_f32 v[26:27], v[12:13], v[20:21] op_sel:[1,1] op_sel_hi:[1,0] neg_lo:[0,1]
	ds_write2_b64 v9, v[14:15], v[12:13] offset0:23 offset1:40
	ds_write2_b64 v9, v[24:25], v[18:19] offset0:55 offset1:72
	v_xor_b32_e32 v19, 0x80000000, v20
	v_pk_fma_f32 v[12:13], v[20:21], v[12:13], v[26:27] op_sel_hi:[1,0,1]
	v_mov_b32_e32 v18, v21
	v_pk_add_f32 v[10:11], v[10:11], v[12:13] neg_lo:[0,1] neg_hi:[0,1]
	v_pk_mul_f32 v[12:13], v[22:23], v[18:19] op_sel:[1,0]
	s_nop 0
	v_pk_fma_f32 v[12:13], v[20:21], v[22:23], v[12:13] op_sel_hi:[1,0,1] neg_lo:[1,0,0] neg_hi:[1,0,0]
	ds_write2_b64 v9, v[12:13], v[22:23] offset1:8
	v_xor_b32_e32 v12, 0x80000000, v15
	v_mov_b32_e32 v13, v14
	v_pk_mul_f32 v[12:13], v[28:29], v[12:13] op_sel:[1,0]
	s_nop 0
	v_pk_fma_f32 v[12:13], v[14:15], v[28:29], v[12:13] op_sel_hi:[1,0,1]
	s_nop 0
	v_pk_add_f32 v[12:13], v[16:17], v[12:13] neg_lo:[0,1] neg_hi:[0,1]
	ds_write2_b64 v9, v[12:13], v[10:11] offset0:31 offset1:32
	v_xor_b32_e32 v11, 0x80000000, v28
	v_mov_b32_e32 v10, v29
	v_pk_mul_f32 v[10:11], v[10:11], v[24:25] op_sel:[0,1]
	s_nop 0
	v_pk_fma_f32 v[10:11], v[28:29], v[24:25], v[10:11] op_sel_hi:[1,0,1] neg_lo:[1,0,0] neg_hi:[1,0,0]
	ds_write2_b64 v9, v[10:11], v[30:31] offset0:63 offset1:64
.LBB188_8:
	s_or_b64 exec, exec, s[6:7]
	s_waitcnt lgkmcnt(0)
	; wave barrier
	s_and_saveexec_b64 s[6:7], s[4:5]
	s_cbranch_execz .LBB188_10
; %bb.9:
	v_max_u32_e32 v9, 1, v6
	ds_read2_b64 v[10:13], v8 offset0:36 offset1:51
	v_lshlrev_b32_e32 v9, 3, v9
	ds_read_b64 v[22:23], v9 offset:632
	ds_read2_b64 v[14:17], v8 offset0:68 offset1:83
	v_min_u32_e32 v6, 7, v6
	v_lshlrev_b32_e32 v6, 3, v6
	ds_read2_b64 v[18:21], v8 offset0:4 offset1:19
	ds_read_b64 v[26:27], v6 offset:576
	s_waitcnt lgkmcnt(4)
	v_xor_b32_e32 v24, 0x80000000, v13
	v_mov_b32_e32 v25, v12
	s_waitcnt lgkmcnt(3)
	v_pk_mul_f32 v[24:25], v[22:23], v[24:25] op_sel:[1,0]
	s_nop 0
	v_pk_fma_f32 v[12:13], v[12:13], v[22:23], v[24:25] op_sel_hi:[1,0,1]
	s_waitcnt lgkmcnt(2)
	v_pk_add_f32 v[12:13], v[16:17], v[12:13] neg_lo:[0,1] neg_hi:[0,1]
	s_waitcnt lgkmcnt(1)
	v_xor_b32_e32 v16, 0x80000000, v21
	v_mov_b32_e32 v17, v20
	s_waitcnt lgkmcnt(0)
	v_pk_mul_f32 v[16:17], v[26:27], v[16:17] op_sel:[1,0]
	s_nop 0
	v_pk_fma_f32 v[16:17], v[20:21], v[26:27], v[16:17] op_sel_hi:[1,0,1]
	s_nop 0
	v_pk_add_f32 v[12:13], v[12:13], v[16:17] neg_lo:[0,1] neg_hi:[0,1]
	ds_write_b64 v8, v[12:13] offset:664
	ds_read_b64 v[12:13], v9 offset:632
	v_xor_b32_e32 v16, 0x80000000, v11
	v_mov_b32_e32 v17, v10
	s_waitcnt lgkmcnt(0)
	v_pk_mul_f32 v[16:17], v[12:13], v[16:17] op_sel:[1,0]
	s_nop 0
	v_pk_fma_f32 v[10:11], v[10:11], v[12:13], v[16:17] op_sel_hi:[1,0,1]
	s_nop 0
	v_pk_add_f32 v[10:11], v[14:15], v[10:11] neg_lo:[0,1] neg_hi:[0,1]
	ds_write_b64 v8, v[10:11] offset:544
	ds_read_b64 v[12:13], v6 offset:576
	v_xor_b32_e32 v14, 0x80000000, v19
	v_mov_b32_e32 v15, v18
	s_waitcnt lgkmcnt(0)
	v_pk_mul_f32 v[14:15], v[12:13], v[14:15] op_sel:[1,0]
	s_nop 0
	v_pk_fma_f32 v[12:13], v[18:19], v[12:13], v[14:15] op_sel_hi:[1,0,1]
	s_nop 0
	v_pk_add_f32 v[10:11], v[10:11], v[12:13] neg_lo:[0,1] neg_hi:[0,1]
	ds_write_b64 v8, v[10:11] offset:544
.LBB188_10:
	s_or_b64 exec, exec, s[6:7]
	s_waitcnt lgkmcnt(0)
	; wave barrier
	s_and_saveexec_b64 s[4:5], s[2:3]
	s_cbranch_execz .LBB188_12
; %bb.11:
	v_lshlrev_b32_e32 v6, 2, v0
	v_max_u32_e32 v12, 1, v6
	ds_read2_b64 v[8:11], v7 offset0:34 offset1:49
	v_lshlrev_b32_e32 v26, 3, v12
	ds_read_b64 v[20:21], v26 offset:632
	ds_read2_b64 v[12:15], v7 offset0:66 offset1:81
	v_min_u32_e32 v6, 11, v6
	v_lshlrev_b32_e32 v6, 3, v6
	ds_read2_b64 v[16:19], v7 offset0:2 offset1:17
	ds_read_b64 v[24:25], v6 offset:544
	s_waitcnt lgkmcnt(4)
	v_xor_b32_e32 v22, 0x80000000, v11
	v_mov_b32_e32 v23, v10
	s_waitcnt lgkmcnt(3)
	v_pk_mul_f32 v[22:23], v[20:21], v[22:23] op_sel:[1,0]
	s_nop 0
	v_pk_fma_f32 v[10:11], v[10:11], v[20:21], v[22:23] op_sel_hi:[1,0,1]
	s_waitcnt lgkmcnt(2)
	v_pk_add_f32 v[10:11], v[14:15], v[10:11] neg_lo:[0,1] neg_hi:[0,1]
	s_waitcnt lgkmcnt(1)
	v_xor_b32_e32 v14, 0x80000000, v19
	v_mov_b32_e32 v15, v18
	s_waitcnt lgkmcnt(0)
	v_pk_mul_f32 v[14:15], v[24:25], v[14:15] op_sel:[1,0]
	s_nop 0
	v_pk_fma_f32 v[14:15], v[18:19], v[24:25], v[14:15] op_sel_hi:[1,0,1]
	s_nop 0
	v_pk_add_f32 v[10:11], v[10:11], v[14:15] neg_lo:[0,1] neg_hi:[0,1]
	ds_write_b64 v7, v[10:11] offset:648
	ds_read_b64 v[10:11], v26 offset:632
	v_xor_b32_e32 v14, 0x80000000, v9
	v_mov_b32_e32 v15, v8
	s_waitcnt lgkmcnt(0)
	v_pk_mul_f32 v[14:15], v[10:11], v[14:15] op_sel:[1,0]
	s_nop 0
	v_pk_fma_f32 v[8:9], v[8:9], v[10:11], v[14:15] op_sel_hi:[1,0,1]
	s_nop 0
	v_pk_add_f32 v[8:9], v[12:13], v[8:9] neg_lo:[0,1] neg_hi:[0,1]
	ds_write_b64 v7, v[8:9] offset:528
	ds_read_b64 v[10:11], v6 offset:544
	v_xor_b32_e32 v12, 0x80000000, v17
	v_mov_b32_e32 v13, v16
	s_waitcnt lgkmcnt(0)
	v_pk_mul_f32 v[12:13], v[10:11], v[12:13] op_sel:[1,0]
	s_nop 0
	v_pk_fma_f32 v[10:11], v[16:17], v[10:11], v[12:13] op_sel_hi:[1,0,1]
	s_nop 0
	v_pk_add_f32 v[8:9], v[8:9], v[10:11] neg_lo:[0,1] neg_hi:[0,1]
	ds_write_b64 v7, v[8:9] offset:528
.LBB188_12:
	s_or_b64 exec, exec, s[4:5]
	s_waitcnt lgkmcnt(0)
	; wave barrier
	s_and_saveexec_b64 s[2:3], s[0:1]
	s_cbranch_execz .LBB188_14
; %bb.13:
	v_lshlrev_b32_e32 v10, 1, v0
	v_lshlrev_b32_e32 v0, 4, v0
	v_max_u32_e32 v11, 1, v10
	ds_read2_b64 v[6:9], v0 offset0:33 offset1:48
	v_lshlrev_b32_e32 v24, 3, v11
	v_min_u32_e32 v14, 13, v10
	ds_read_b64 v[18:19], v24 offset:632
	ds_read2_b64 v[10:13], v0 offset0:65 offset1:80
	v_lshlrev_b32_e32 v25, 3, v14
	ds_read2_b64 v[14:17], v0 offset0:1 offset1:16
	ds_read_b64 v[22:23], v25 offset:528
	s_waitcnt lgkmcnt(4)
	v_xor_b32_e32 v20, 0x80000000, v9
	v_mov_b32_e32 v21, v8
	s_waitcnt lgkmcnt(3)
	v_pk_mul_f32 v[20:21], v[18:19], v[20:21] op_sel:[1,0]
	s_nop 0
	v_pk_fma_f32 v[8:9], v[8:9], v[18:19], v[20:21] op_sel_hi:[1,0,1]
	s_waitcnt lgkmcnt(2)
	v_pk_add_f32 v[8:9], v[12:13], v[8:9] neg_lo:[0,1] neg_hi:[0,1]
	s_waitcnt lgkmcnt(1)
	v_xor_b32_e32 v12, 0x80000000, v17
	v_mov_b32_e32 v13, v16
	s_waitcnt lgkmcnt(0)
	v_pk_mul_f32 v[12:13], v[22:23], v[12:13] op_sel:[1,0]
	s_nop 0
	v_pk_fma_f32 v[12:13], v[16:17], v[22:23], v[12:13] op_sel_hi:[1,0,1]
	s_nop 0
	v_pk_add_f32 v[8:9], v[8:9], v[12:13] neg_lo:[0,1] neg_hi:[0,1]
	ds_write_b64 v0, v[8:9] offset:640
	ds_read_b64 v[8:9], v24 offset:632
	v_xor_b32_e32 v12, 0x80000000, v7
	v_mov_b32_e32 v13, v6
	s_waitcnt lgkmcnt(0)
	v_pk_mul_f32 v[12:13], v[8:9], v[12:13] op_sel:[1,0]
	s_nop 0
	v_pk_fma_f32 v[6:7], v[6:7], v[8:9], v[12:13] op_sel_hi:[1,0,1]
	s_nop 0
	v_pk_add_f32 v[6:7], v[10:11], v[6:7] neg_lo:[0,1] neg_hi:[0,1]
	ds_write_b64 v0, v[6:7] offset:520
	ds_read_b64 v[8:9], v25 offset:528
	v_xor_b32_e32 v10, 0x80000000, v15
	v_mov_b32_e32 v11, v14
	s_waitcnt lgkmcnt(0)
	v_pk_mul_f32 v[10:11], v[8:9], v[10:11] op_sel:[1,0]
	s_nop 0
	v_pk_fma_f32 v[8:9], v[14:15], v[8:9], v[10:11] op_sel_hi:[1,0,1]
	s_nop 0
	v_pk_add_f32 v[6:7], v[6:7], v[8:9] neg_lo:[0,1] neg_hi:[0,1]
	ds_write_b64 v0, v[6:7] offset:520
.LBB188_14:
	s_or_b64 exec, exec, s[2:3]
	s_waitcnt lgkmcnt(0)
	; wave barrier
	ds_read2_b64 v[6:9], v1 offset1:16
	s_waitcnt lgkmcnt(0)
	global_store_dwordx2 v[2:3], v[6:7], off
	global_store_dwordx2 v[4:5], v[8:9], off
	s_endpgm
	.section	.rodata,"a",@progbits
	.p2align	6, 0x0
	.amdhsa_kernel _ZN9rocsparseL34gtsv_solve_spike_grid_level_kernelILj16E21rocsparse_complex_numIfEEEviiiPT0_PKS3_S6_
		.amdhsa_group_segment_fixed_size 768
		.amdhsa_private_segment_fixed_size 0
		.amdhsa_kernarg_size 40
		.amdhsa_user_sgpr_count 2
		.amdhsa_user_sgpr_dispatch_ptr 0
		.amdhsa_user_sgpr_queue_ptr 0
		.amdhsa_user_sgpr_kernarg_segment_ptr 1
		.amdhsa_user_sgpr_dispatch_id 0
		.amdhsa_user_sgpr_kernarg_preload_length 0
		.amdhsa_user_sgpr_kernarg_preload_offset 0
		.amdhsa_user_sgpr_private_segment_size 0
		.amdhsa_uses_dynamic_stack 0
		.amdhsa_enable_private_segment 0
		.amdhsa_system_sgpr_workgroup_id_x 1
		.amdhsa_system_sgpr_workgroup_id_y 1
		.amdhsa_system_sgpr_workgroup_id_z 0
		.amdhsa_system_sgpr_workgroup_info 0
		.amdhsa_system_vgpr_workitem_id 0
		.amdhsa_next_free_vgpr 50
		.amdhsa_next_free_sgpr 10
		.amdhsa_accum_offset 52
		.amdhsa_reserve_vcc 1
		.amdhsa_float_round_mode_32 0
		.amdhsa_float_round_mode_16_64 0
		.amdhsa_float_denorm_mode_32 3
		.amdhsa_float_denorm_mode_16_64 3
		.amdhsa_dx10_clamp 1
		.amdhsa_ieee_mode 1
		.amdhsa_fp16_overflow 0
		.amdhsa_tg_split 0
		.amdhsa_exception_fp_ieee_invalid_op 0
		.amdhsa_exception_fp_denorm_src 0
		.amdhsa_exception_fp_ieee_div_zero 0
		.amdhsa_exception_fp_ieee_overflow 0
		.amdhsa_exception_fp_ieee_underflow 0
		.amdhsa_exception_fp_ieee_inexact 0
		.amdhsa_exception_int_div_zero 0
	.end_amdhsa_kernel
	.section	.text._ZN9rocsparseL34gtsv_solve_spike_grid_level_kernelILj16E21rocsparse_complex_numIfEEEviiiPT0_PKS3_S6_,"axG",@progbits,_ZN9rocsparseL34gtsv_solve_spike_grid_level_kernelILj16E21rocsparse_complex_numIfEEEviiiPT0_PKS3_S6_,comdat
.Lfunc_end188:
	.size	_ZN9rocsparseL34gtsv_solve_spike_grid_level_kernelILj16E21rocsparse_complex_numIfEEEviiiPT0_PKS3_S6_, .Lfunc_end188-_ZN9rocsparseL34gtsv_solve_spike_grid_level_kernelILj16E21rocsparse_complex_numIfEEEviiiPT0_PKS3_S6_
                                        ; -- End function
	.set _ZN9rocsparseL34gtsv_solve_spike_grid_level_kernelILj16E21rocsparse_complex_numIfEEEviiiPT0_PKS3_S6_.num_vgpr, 50
	.set _ZN9rocsparseL34gtsv_solve_spike_grid_level_kernelILj16E21rocsparse_complex_numIfEEEviiiPT0_PKS3_S6_.num_agpr, 0
	.set _ZN9rocsparseL34gtsv_solve_spike_grid_level_kernelILj16E21rocsparse_complex_numIfEEEviiiPT0_PKS3_S6_.numbered_sgpr, 10
	.set _ZN9rocsparseL34gtsv_solve_spike_grid_level_kernelILj16E21rocsparse_complex_numIfEEEviiiPT0_PKS3_S6_.num_named_barrier, 0
	.set _ZN9rocsparseL34gtsv_solve_spike_grid_level_kernelILj16E21rocsparse_complex_numIfEEEviiiPT0_PKS3_S6_.private_seg_size, 0
	.set _ZN9rocsparseL34gtsv_solve_spike_grid_level_kernelILj16E21rocsparse_complex_numIfEEEviiiPT0_PKS3_S6_.uses_vcc, 1
	.set _ZN9rocsparseL34gtsv_solve_spike_grid_level_kernelILj16E21rocsparse_complex_numIfEEEviiiPT0_PKS3_S6_.uses_flat_scratch, 0
	.set _ZN9rocsparseL34gtsv_solve_spike_grid_level_kernelILj16E21rocsparse_complex_numIfEEEviiiPT0_PKS3_S6_.has_dyn_sized_stack, 0
	.set _ZN9rocsparseL34gtsv_solve_spike_grid_level_kernelILj16E21rocsparse_complex_numIfEEEviiiPT0_PKS3_S6_.has_recursion, 0
	.set _ZN9rocsparseL34gtsv_solve_spike_grid_level_kernelILj16E21rocsparse_complex_numIfEEEviiiPT0_PKS3_S6_.has_indirect_call, 0
	.section	.AMDGPU.csdata,"",@progbits
; Kernel info:
; codeLenInByte = 4252
; TotalNumSgprs: 16
; NumVgprs: 50
; NumAgprs: 0
; TotalNumVgprs: 50
; ScratchSize: 0
; MemoryBound: 0
; FloatMode: 240
; IeeeMode: 1
; LDSByteSize: 768 bytes/workgroup (compile time only)
; SGPRBlocks: 1
; VGPRBlocks: 6
; NumSGPRsForWavesPerEU: 16
; NumVGPRsForWavesPerEU: 50
; AccumOffset: 52
; Occupancy: 8
; WaveLimiterHint : 1
; COMPUTE_PGM_RSRC2:SCRATCH_EN: 0
; COMPUTE_PGM_RSRC2:USER_SGPR: 2
; COMPUTE_PGM_RSRC2:TRAP_HANDLER: 0
; COMPUTE_PGM_RSRC2:TGID_X_EN: 1
; COMPUTE_PGM_RSRC2:TGID_Y_EN: 1
; COMPUTE_PGM_RSRC2:TGID_Z_EN: 0
; COMPUTE_PGM_RSRC2:TIDIG_COMP_CNT: 0
; COMPUTE_PGM_RSRC3_GFX90A:ACCUM_OFFSET: 12
; COMPUTE_PGM_RSRC3_GFX90A:TG_SPLIT: 0
	.section	.text._ZN9rocsparseL34gtsv_solve_spike_grid_level_kernelILj32E21rocsparse_complex_numIfEEEviiiPT0_PKS3_S6_,"axG",@progbits,_ZN9rocsparseL34gtsv_solve_spike_grid_level_kernelILj32E21rocsparse_complex_numIfEEEviiiPT0_PKS3_S6_,comdat
	.globl	_ZN9rocsparseL34gtsv_solve_spike_grid_level_kernelILj32E21rocsparse_complex_numIfEEEviiiPT0_PKS3_S6_ ; -- Begin function _ZN9rocsparseL34gtsv_solve_spike_grid_level_kernelILj32E21rocsparse_complex_numIfEEEviiiPT0_PKS3_S6_
	.p2align	8
	.type	_ZN9rocsparseL34gtsv_solve_spike_grid_level_kernelILj32E21rocsparse_complex_numIfEEEviiiPT0_PKS3_S6_,@function
_ZN9rocsparseL34gtsv_solve_spike_grid_level_kernelILj32E21rocsparse_complex_numIfEEEviiiPT0_PKS3_S6_: ; @_ZN9rocsparseL34gtsv_solve_spike_grid_level_kernelILj32E21rocsparse_complex_numIfEEEviiiPT0_PKS3_S6_
; %bb.0:
	s_load_dwordx4 s[4:7], s[0:1], 0x10
	s_load_dwordx2 s[8:9], s[0:1], 0x20
	v_lshl_or_b32 v4, s3, 6, v0
	v_mov_b32_e32 v5, 0
	v_lshlrev_b32_e32 v6, 3, v0
	s_waitcnt lgkmcnt(0)
	v_lshl_add_u64 v[2:3], v[4:5], 3, s[4:5]
	v_or_b32_e32 v4, 32, v4
	global_load_dwordx2 v[8:9], v6, s[6:7]
	global_load_dwordx2 v[10:11], v6, s[6:7] offset:256
	global_load_dwordx2 v[12:13], v6, s[8:9]
	global_load_dwordx2 v[14:15], v6, s[8:9] offset:256
	v_lshl_add_u64 v[4:5], v[4:5], 3, s[4:5]
	global_load_dwordx2 v[16:17], v[2:3], off
	global_load_dwordx2 v[18:19], v[4:5], off
	v_or_b32_e32 v1, 0x400, v6
	v_cmp_gt_u32_e64 s[0:1], 16, v0
	s_waitcnt vmcnt(4)
	ds_write2_b64 v6, v[8:9], v[10:11] offset0:64 offset1:96
	s_waitcnt vmcnt(2)
	ds_write2_b64 v6, v[12:13], v[14:15] offset1:32
	s_waitcnt vmcnt(0)
	ds_write2_b64 v6, v[16:17], v[18:19] offset0:128 offset1:160
	s_waitcnt lgkmcnt(0)
	; wave barrier
	s_and_saveexec_b64 s[2:3], s[0:1]
	s_cbranch_execz .LBB189_2
; %bb.1:
	v_or_b32_e32 v7, 0x200, v6
	v_add_u32_e32 v7, v7, v6
	ds_read2_b64 v[8:11], v7 offset1:1
	v_add_u32_e32 v43, v6, v6
	ds_read_b64 v[24:25], v43 offset:256
	ds_read2_b64 v[12:15], v7 offset0:32 offset1:33
	s_mov_b64 s[4:5], 0x3f800000
	v_add_u32_e32 v45, v1, v6
	s_waitcnt lgkmcnt(2)
	v_xor_b32_e32 v20, 0x80000000, v11
	v_mov_b32_e32 v21, v10
	s_waitcnt lgkmcnt(1)
	v_pk_mul_f32 v[20:21], v[24:25], v[20:21] op_sel:[1,0]
	ds_read_b128 v[16:19], v45
	v_pk_fma_f32 v[20:21], v[10:11], v[24:25], v[20:21] op_sel_hi:[1,0,1]
	s_waitcnt lgkmcnt(1)
	v_xor_b32_e32 v38, 0x80000000, v15
	v_pk_add_f32 v[26:27], v[20:21], s[4:5] neg_lo:[1,0] neg_hi:[1,0]
	v_mov_b32_e32 v39, v14
	v_mul_f32_e32 v20, v27, v27
	v_fmac_f32_e32 v20, v26, v26
	v_div_scale_f32 v21, s[4:5], v20, v20, 1.0
	v_rcp_f32_e32 v22, v21
	ds_read_b64 v[40:41], v7 offset:264
	v_fma_f32 v23, -v21, v22, 1.0
	v_fmac_f32_e32 v22, v23, v22
	v_div_scale_f32 v23, vcc, 1.0, v20, 1.0
	v_mul_f32_e32 v28, v23, v22
	v_fma_f32 v29, -v21, v28, v23
	v_fmac_f32_e32 v28, v29, v22
	v_fma_f32 v21, -v21, v28, v23
	v_div_fmas_f32 v21, v21, v22, v28
	v_div_fixup_f32 v28, v21, v20, 1.0
	ds_read2_b64 v[20:23], v45 offset0:32 offset1:33
	s_waitcnt lgkmcnt(2)
	v_mov_b32_e32 v30, v19
	v_pk_mul_f32 v[30:31], v[30:31], v[24:25] op_sel:[0,1] op_sel_hi:[0,0] neg_lo:[0,1]
	v_pk_fma_f32 v[30:31], v[24:25], v[18:19], v[30:31] op_sel_hi:[1,0,1]
	v_fma_f32 v29, v26, 0, -v27
	s_waitcnt lgkmcnt(0)
	v_pk_mul_f32 v[34:35], v[10:11], v[20:21] op_sel:[1,1] op_sel_hi:[1,0] neg_lo:[0,1]
	v_pk_add_f32 v[30:31], v[20:21], v[30:31] neg_lo:[0,1] neg_hi:[0,1]
	v_pk_fma_f32 v[20:21], v[20:21], v[10:11], v[34:35] op_sel_hi:[1,0,1]
	v_fmac_f32_e32 v26, 0, v27
	v_pk_add_f32 v[34:35], v[18:19], v[20:21] neg_lo:[0,1] neg_hi:[0,1]
	ds_read_b128 v[18:21], v43
	v_mov_b32_e32 v27, v29
	v_xor_b32_e32 v36, 0x80000000, v35
	v_mov_b32_e32 v37, v34
	v_pk_mul_f32 v[46:47], v[26:27], v[28:29] op_sel_hi:[1,0]
	v_xor_b32_e32 v32, 0x80000000, v31
	v_pk_mul_f32 v[26:27], v[46:47], v[36:37] op_sel:[1,0]
	v_mov_b32_e32 v33, v30
	s_waitcnt lgkmcnt(0)
	v_mul_f32_e64 v42, v21, -v25
	v_mul_f32_e32 v44, v21, v24
	v_pk_fma_f32 v[28:29], v[34:35], v[46:47], v[26:27] op_sel_hi:[1,0,1]
	v_fmac_f32_e32 v42, v24, v20
	v_fmac_f32_e32 v44, v25, v20
	v_pk_mul_f32 v[24:25], v[46:47], v[32:33] op_sel:[1,0]
	v_pk_mul_f32 v[26:27], v[28:29], v[18:19] op_sel:[1,1] op_sel_hi:[1,0] neg_lo:[0,1]
	v_pk_fma_f32 v[24:25], v[30:31], v[46:47], v[24:25] op_sel_hi:[1,0,1]
	v_pk_fma_f32 v[26:27], v[18:19], v[28:29], v[26:27] op_sel_hi:[1,0,1]
	s_nop 0
	v_pk_add_f32 v[26:27], v[16:17], v[26:27] neg_lo:[0,1] neg_hi:[0,1]
	v_pk_mul_f32 v[16:17], v[24:25], v[38:39] op_sel:[1,0]
	ds_write_b128 v45, v[26:29]
	v_pk_fma_f32 v[14:15], v[14:15], v[24:25], v[16:17] op_sel_hi:[1,0,1]
	s_nop 0
	v_pk_add_f32 v[26:27], v[22:23], v[14:15] neg_lo:[0,1] neg_hi:[0,1]
	v_pk_add_f32 v[14:15], v[46:47], 0 neg_lo:[1,1] neg_hi:[1,1]
	ds_write_b128 v45, v[24:27] offset:256
	v_pk_mov_b32 v[16:17], v[46:47], v[14:15] op_sel:[1,0]
	v_pk_mov_b32 v[14:15], v[14:15], v[46:47] op_sel:[1,0]
	v_pk_mul_f32 v[22:23], v[16:17], v[44:45] op_sel_hi:[1,0]
	v_xor_b32_e32 v24, 0x80000000, v47
	v_pk_fma_f32 v[22:23], v[46:47], v[42:43], v[22:23] op_sel_hi:[1,0,1] neg_lo:[1,0,0] neg_hi:[1,0,0]
	ds_write_b64 v43, v[22:23] offset:256
	v_mov_b32_e32 v22, v21
	v_pk_mul_f32 v[14:15], v[22:23], v[14:15] op_sel_hi:[0,1]
	v_mul_f32_e32 v22, v11, v12
	v_pk_fma_f32 v[14:15], v[46:47], v[20:21], v[14:15] op_sel_hi:[1,0,1]
	v_mul_f32_e64 v20, v11, -v13
	v_fmac_f32_e32 v22, v13, v10
	v_fmac_f32_e32 v20, v12, v10
	v_pk_mul_f32 v[10:11], v[16:17], v[22:23] op_sel_hi:[1,0]
	v_mov_b32_e32 v25, v46
	v_pk_fma_f32 v[10:11], v[46:47], v[20:21], v[10:11] op_sel_hi:[1,0,1] neg_lo:[1,0,0] neg_hi:[1,0,0]
	v_pk_mul_f32 v[16:17], v[12:13], v[24:25] op_sel:[1,0]
	v_pk_mul_f32 v[20:21], v[10:11], v[18:19] op_sel:[1,1] op_sel_hi:[1,0] neg_lo:[0,1]
	v_pk_fma_f32 v[16:17], v[46:47], v[12:13], v[16:17] op_sel_hi:[1,0,1]
	v_pk_fma_f32 v[20:21], v[18:19], v[10:11], v[20:21] op_sel_hi:[1,0,1]
	v_pk_add_f32 v[12:13], v[18:19], 0 neg_lo:[1,1] neg_hi:[1,1]
	v_pk_add_f32 v[8:9], v[8:9], v[20:21] neg_lo:[0,1] neg_hi:[0,1]
	ds_write_b128 v7, v[8:11]
	ds_read_b128 v[8:11], v43 offset:256
	v_pk_mov_b32 v[12:13], v[18:19], v[12:13] op_sel:[1,0]
	s_nop 0
	v_pk_mul_f32 v[12:13], v[14:15], v[12:13] op_sel:[1,0]
	s_nop 0
	v_pk_fma_f32 v[12:13], v[18:19], v[14:15], v[12:13] op_sel_hi:[1,0,1] neg_lo:[1,0,0] neg_hi:[1,0,0]
	ds_write_b128 v43, v[12:15]
	s_waitcnt lgkmcnt(1)
	v_pk_mul_f32 v[12:13], v[40:41], v[8:9] op_sel:[1,1] op_sel_hi:[1,0] neg_lo:[0,1]
	s_nop 0
	v_pk_fma_f32 v[8:9], v[8:9], v[40:41], v[12:13] op_sel_hi:[1,0,1]
	s_nop 0
	v_pk_add_f32 v[8:9], v[10:11], v[8:9] neg_lo:[0,1] neg_hi:[0,1]
	ds_write_b64 v43, v[8:9] offset:264
	v_pk_add_f32 v[8:9], v[40:41], 0 neg_lo:[1,1] neg_hi:[1,1]
	s_nop 0
	v_pk_mov_b32 v[8:9], v[40:41], v[8:9] op_sel:[1,0]
	s_nop 0
	v_pk_mul_f32 v[8:9], v[8:9], v[16:17] op_sel:[0,1]
	s_nop 0
	v_pk_fma_f32 v[18:19], v[40:41], v[16:17], v[8:9] op_sel_hi:[1,0,1] neg_lo:[1,0,0] neg_hi:[1,0,0]
	ds_write_b128 v7, v[16:19] offset:256
.LBB189_2:
	s_or_b64 exec, exec, s[2:3]
	v_cmp_gt_u32_e64 s[2:3], 8, v0
	v_lshlrev_b32_e32 v7, 5, v0
	s_waitcnt lgkmcnt(0)
	; wave barrier
	s_and_saveexec_b64 s[4:5], s[2:3]
	s_cbranch_execz .LBB189_4
; %bb.3:
	ds_read2_b64 v[8:11], v7 offset0:64 offset1:66
	ds_read2_b64 v[12:15], v7 offset0:33 offset1:35
	s_mov_b64 s[6:7], 0x3f800000
	v_mad_u32_u24 v45, v0, 24, v1
	s_waitcnt lgkmcnt(1)
	v_xor_b32_e32 v16, 0x80000000, v11
	v_mov_b32_e32 v17, v10
	s_waitcnt lgkmcnt(0)
	v_pk_mul_f32 v[16:17], v[12:13], v[16:17] op_sel:[1,0]
	s_nop 0
	v_pk_fma_f32 v[16:17], v[10:11], v[12:13], v[16:17] op_sel_hi:[1,0,1]
	s_nop 0
	v_pk_add_f32 v[28:29], v[16:17], s[6:7] neg_lo:[1,0] neg_hi:[1,0]
	s_nop 0
	v_mul_f32_e32 v20, v29, v29
	v_fmac_f32_e32 v20, v28, v28
	v_div_scale_f32 v16, s[6:7], v20, v20, 1.0
	v_rcp_f32_e32 v17, v16
	v_div_scale_f32 v18, vcc, 1.0, v20, 1.0
	v_fma_f32 v31, v28, 0, -v29
	v_fma_f32 v19, -v16, v17, 1.0
	v_fmac_f32_e32 v17, v19, v17
	v_mul_f32_e32 v19, v18, v17
	v_fma_f32 v21, -v16, v19, v18
	v_fmac_f32_e32 v19, v21, v17
	v_fma_f32 v16, -v16, v19, v18
	v_div_fmas_f32 v21, v16, v17, v19
	ds_read2_b64 v[16:19], v45 offset1:2
	v_div_fixup_f32 v30, v21, v20, 1.0
	ds_read2_b64 v[20:23], v45 offset0:33 offset1:35
	v_fmac_f32_e32 v28, 0, v29
	v_mov_b32_e32 v29, v31
	s_waitcnt lgkmcnt(1)
	v_pk_mul_f32 v[24:25], v[18:19], v[12:13] op_sel:[1,1] op_sel_hi:[1,0] neg_lo:[0,1]
	v_pk_mul_f32 v[28:29], v[28:29], v[30:31] op_sel_hi:[1,0]
	v_pk_fma_f32 v[24:25], v[12:13], v[18:19], v[24:25] op_sel_hi:[1,0,1]
	s_waitcnt lgkmcnt(0)
	v_pk_add_f32 v[32:33], v[20:21], v[24:25] neg_lo:[0,1] neg_hi:[0,1]
	v_pk_mul_f32 v[24:25], v[10:11], v[20:21] op_sel:[1,1] op_sel_hi:[1,0] neg_lo:[0,1]
	v_xor_b32_e32 v34, 0x80000000, v33
	v_pk_fma_f32 v[20:21], v[20:21], v[10:11], v[24:25] op_sel_hi:[1,0,1]
	ds_read2_b64 v[24:27], v7 offset1:2
	v_mov_b32_e32 v35, v32
	v_pk_add_f32 v[36:37], v[18:19], v[20:21] neg_lo:[0,1] neg_hi:[0,1]
	ds_read2_b64 v[18:21], v7 offset0:97 offset1:99
	v_xor_b32_e32 v38, 0x80000000, v37
	v_mov_b32_e32 v39, v36
	v_pk_mul_f32 v[30:31], v[28:29], v[34:35] op_sel:[1,0]
	s_waitcnt lgkmcnt(1)
	v_xor_b32_e32 v40, 0x80000000, v25
	v_pk_fma_f32 v[30:31], v[32:33], v[28:29], v[30:31] op_sel_hi:[1,0,1]
	v_pk_mul_f32 v[32:33], v[28:29], v[38:39] op_sel:[1,0]
	v_mov_b32_e32 v41, v24
	v_pk_fma_f32 v[32:33], v[36:37], v[28:29], v[32:33] op_sel_hi:[1,0,1]
	s_waitcnt lgkmcnt(0)
	v_xor_b32_e32 v42, 0x80000000, v21
	v_pk_mul_f32 v[34:35], v[32:33], v[40:41] op_sel:[1,0]
	v_mov_b32_e32 v43, v20
	v_pk_fma_f32 v[34:35], v[24:25], v[32:33], v[34:35] op_sel_hi:[1,0,1]
	v_mul_f32_e64 v44, v27, -v13
	v_pk_add_f32 v[16:17], v[16:17], v[34:35] neg_lo:[0,1] neg_hi:[0,1]
	ds_write2_b64 v45, v[16:17], v[32:33] offset1:2
	v_pk_mul_f32 v[16:17], v[30:31], v[42:43] op_sel:[1,0]
	v_fmac_f32_e32 v44, v12, v26
	v_pk_fma_f32 v[16:17], v[20:21], v[30:31], v[16:17] op_sel_hi:[1,0,1]
	v_mul_f32_e32 v12, v27, v12
	v_pk_add_f32 v[16:17], v[22:23], v[16:17] neg_lo:[0,1] neg_hi:[0,1]
	ds_write2_b64 v45, v[30:31], v[16:17] offset0:33 offset1:35
	v_pk_add_f32 v[16:17], v[28:29], 0 neg_lo:[1,1] neg_hi:[1,1]
	v_fmac_f32_e32 v12, v13, v26
	v_pk_mov_b32 v[20:21], v[28:29], v[16:17] op_sel:[1,0]
	v_pk_mov_b32 v[16:17], v[16:17], v[28:29] op_sel:[1,0]
	v_mul_f32_e64 v22, v11, -v19
	v_pk_mul_f32 v[16:17], v[26:27], v[16:17] op_sel:[1,0]
	v_pk_mul_f32 v[12:13], v[20:21], v[12:13] op_sel_hi:[1,0]
	v_pk_fma_f32 v[16:17], v[28:29], v[26:27], v[16:17] op_sel_hi:[1,0,1]
	v_mul_f32_e32 v26, v11, v18
	v_fmac_f32_e32 v26, v19, v10
	v_fmac_f32_e32 v22, v18, v10
	v_pk_mul_f32 v[20:21], v[20:21], v[26:27] op_sel_hi:[1,0]
	v_xor_b32_e32 v10, 0x80000000, v29
	v_pk_fma_f32 v[20:21], v[28:29], v[22:23], v[20:21] op_sel_hi:[1,0,1] neg_lo:[1,0,0] neg_hi:[1,0,0]
	v_mov_b32_e32 v11, v28
	v_pk_mul_f32 v[22:23], v[20:21], v[24:25] op_sel:[1,1] op_sel_hi:[1,0] neg_lo:[0,1]
	v_pk_mul_f32 v[10:11], v[18:19], v[10:11] op_sel:[1,0]
	v_pk_fma_f32 v[22:23], v[24:25], v[20:21], v[22:23] op_sel_hi:[1,0,1]
	v_pk_fma_f32 v[10:11], v[28:29], v[18:19], v[10:11] op_sel_hi:[1,0,1]
	v_pk_add_f32 v[18:19], v[24:25], 0 neg_lo:[1,1] neg_hi:[1,1]
	v_pk_add_f32 v[8:9], v[8:9], v[22:23] neg_lo:[0,1] neg_hi:[0,1]
	ds_write2_b64 v7, v[8:9], v[20:21] offset0:64 offset1:66
	v_pk_mov_b32 v[8:9], v[24:25], v[18:19] op_sel:[1,0]
	ds_read_b64 v[18:19], v7 offset:792
	v_pk_mul_f32 v[8:9], v[16:17], v[8:9] op_sel:[1,0]
	v_pk_fma_f32 v[12:13], v[28:29], v[44:45], v[12:13] op_sel_hi:[1,0,1] neg_lo:[1,0,0] neg_hi:[1,0,0]
	v_pk_fma_f32 v[8:9], v[24:25], v[16:17], v[8:9] op_sel_hi:[1,0,1] neg_lo:[1,0,0] neg_hi:[1,0,0]
	ds_write2_b64 v7, v[8:9], v[16:17] offset1:2
	v_xor_b32_e32 v8, 0x80000000, v13
	v_mov_b32_e32 v9, v12
	s_waitcnt lgkmcnt(1)
	v_pk_mul_f32 v[8:9], v[18:19], v[8:9] op_sel:[1,0]
	s_nop 0
	v_pk_fma_f32 v[8:9], v[12:13], v[18:19], v[8:9] op_sel_hi:[1,0,1]
	s_nop 0
	v_pk_add_f32 v[8:9], v[14:15], v[8:9] neg_lo:[0,1] neg_hi:[0,1]
	ds_write2_b64 v7, v[12:13], v[8:9] offset0:33 offset1:35
	v_pk_add_f32 v[8:9], v[18:19], 0 neg_lo:[1,1] neg_hi:[1,1]
	s_nop 0
	v_pk_mov_b32 v[8:9], v[18:19], v[8:9] op_sel:[1,0]
	s_nop 0
	v_pk_mul_f32 v[8:9], v[8:9], v[10:11] op_sel:[0,1]
	s_nop 0
	v_pk_fma_f32 v[8:9], v[18:19], v[10:11], v[8:9] op_sel_hi:[1,0,1] neg_lo:[1,0,0] neg_hi:[1,0,0]
	ds_write2_b64 v7, v[10:11], v[8:9] offset0:97 offset1:99
.LBB189_4:
	s_or_b64 exec, exec, s[4:5]
	v_cmp_gt_u32_e64 s[4:5], 4, v0
	v_lshlrev_b32_e32 v8, 6, v0
	s_waitcnt lgkmcnt(0)
	; wave barrier
	s_and_saveexec_b64 s[6:7], s[4:5]
	s_cbranch_execz .LBB189_6
; %bb.5:
	ds_read2_b64 v[10:13], v8 offset0:64 offset1:68
	ds_read2_b64 v[14:17], v8 offset0:35 offset1:39
	s_mov_b64 s[8:9], 0x3f800000
	s_waitcnt lgkmcnt(1)
	v_xor_b32_e32 v18, 0x80000000, v13
	v_mov_b32_e32 v19, v12
	s_waitcnt lgkmcnt(0)
	v_pk_mul_f32 v[18:19], v[14:15], v[18:19] op_sel:[1,0]
	s_nop 0
	v_pk_fma_f32 v[18:19], v[12:13], v[14:15], v[18:19] op_sel_hi:[1,0,1]
	s_nop 0
	v_pk_add_f32 v[30:31], v[18:19], s[8:9] neg_lo:[1,0] neg_hi:[1,0]
	s_nop 0
	v_mul_f32_e32 v9, v31, v31
	v_fmac_f32_e32 v9, v30, v30
	v_div_scale_f32 v18, s[8:9], v9, v9, 1.0
	v_rcp_f32_e32 v22, v18
	v_div_scale_f32 v19, vcc, 1.0, v9, 1.0
	v_fma_f32 v20, -v18, v22, 1.0
	v_fmac_f32_e32 v22, v20, v22
	v_mul_f32_e32 v23, v19, v22
	v_fma_f32 v20, -v18, v23, v19
	v_fmac_f32_e32 v23, v20, v22
	v_fma_f32 v24, -v18, v23, v19
	ds_read2_b64 v[18:21], v8 offset0:132 offset1:163
	v_div_fmas_f32 v22, v24, v22, v23
	v_div_fixup_f32 v32, v22, v9, 1.0
	v_fma_f32 v9, v30, 0, -v31
	v_fmac_f32_e32 v30, 0, v31
	s_waitcnt lgkmcnt(0)
	v_pk_mul_f32 v[22:23], v[18:19], v[14:15] op_sel:[1,1] op_sel_hi:[1,0] neg_lo:[0,1]
	v_mov_b32_e32 v31, v9
	v_pk_fma_f32 v[22:23], v[14:15], v[18:19], v[22:23] op_sel_hi:[1,0,1]
	v_pk_mul_f32 v[30:31], v[30:31], v[32:33] op_sel_hi:[1,0]
	v_pk_add_f32 v[34:35], v[20:21], v[22:23] neg_lo:[0,1] neg_hi:[0,1]
	v_pk_mul_f32 v[22:23], v[12:13], v[20:21] op_sel:[1,1] op_sel_hi:[1,0] neg_lo:[0,1]
	v_xor_b32_e32 v36, 0x80000000, v35
	v_pk_fma_f32 v[20:21], v[20:21], v[12:13], v[22:23] op_sel_hi:[1,0,1]
	v_mov_b32_e32 v37, v34
	v_pk_add_f32 v[38:39], v[18:19], v[20:21] neg_lo:[0,1] neg_hi:[0,1]
	ds_read2_b64 v[18:21], v8 offset1:4
	v_xor_b32_e32 v40, 0x80000000, v39
	v_mov_b32_e32 v41, v38
	ds_read2_b64 v[22:25], v8 offset0:99 offset1:103
	ds_read2_b64 v[26:29], v8 offset0:103 offset1:128
	v_pk_mul_f32 v[32:33], v[30:31], v[36:37] op_sel:[1,0]
	s_waitcnt lgkmcnt(2)
	v_xor_b32_e32 v42, 0x80000000, v19
	v_pk_fma_f32 v[32:33], v[34:35], v[30:31], v[32:33] op_sel_hi:[1,0,1]
	v_pk_mul_f32 v[34:35], v[30:31], v[40:41] op_sel:[1,0]
	v_mov_b32_e32 v43, v18
	v_pk_fma_f32 v[34:35], v[38:39], v[30:31], v[34:35] op_sel_hi:[1,0,1]
	ds_read_b64 v[44:45], v8 offset:1336
	v_pk_mul_f32 v[36:37], v[34:35], v[42:43] op_sel:[1,0]
	s_waitcnt lgkmcnt(2)
	v_xor_b32_e32 v46, 0x80000000, v25
	v_pk_fma_f32 v[36:37], v[18:19], v[34:35], v[36:37] op_sel_hi:[1,0,1]
	v_mov_b32_e32 v47, v24
	s_waitcnt lgkmcnt(1)
	v_pk_add_f32 v[28:29], v[28:29], v[36:37] neg_lo:[0,1] neg_hi:[0,1]
	ds_write2_b64 v8, v[28:29], v[34:35] offset0:128 offset1:132
	v_pk_mul_f32 v[28:29], v[32:33], v[46:47] op_sel:[1,0]
	v_mul_f32_e64 v48, v21, -v15
	v_pk_fma_f32 v[24:25], v[24:25], v[32:33], v[28:29] op_sel_hi:[1,0,1]
	v_fmac_f32_e32 v48, v14, v20
	s_waitcnt lgkmcnt(1)
	v_pk_add_f32 v[24:25], v[44:45], v[24:25] neg_lo:[0,1] neg_hi:[0,1]
	ds_write2_b64 v8, v[32:33], v[24:25] offset0:163 offset1:167
	v_pk_add_f32 v[24:25], v[30:31], 0 neg_lo:[1,1] neg_hi:[1,1]
	v_mul_f32_e32 v14, v21, v14
	v_pk_mov_b32 v[28:29], v[30:31], v[24:25] op_sel:[1,0]
	v_pk_mov_b32 v[24:25], v[24:25], v[30:31] op_sel:[1,0]
	v_mul_f32_e32 v32, v13, v22
	v_pk_mul_f32 v[24:25], v[20:21], v[24:25] op_sel:[1,0]
	v_fmac_f32_e32 v14, v15, v20
	v_pk_fma_f32 v[20:21], v[30:31], v[20:21], v[24:25] op_sel_hi:[1,0,1]
	v_mul_f32_e64 v24, v13, -v23
	v_fmac_f32_e32 v32, v23, v12
	v_pk_mul_f32 v[14:15], v[28:29], v[14:15] op_sel_hi:[1,0]
	v_fmac_f32_e32 v24, v22, v12
	v_pk_mul_f32 v[28:29], v[28:29], v[32:33] op_sel_hi:[1,0]
	v_xor_b32_e32 v12, 0x80000000, v31
	v_pk_fma_f32 v[24:25], v[30:31], v[24:25], v[28:29] op_sel_hi:[1,0,1] neg_lo:[1,0,0] neg_hi:[1,0,0]
	v_mov_b32_e32 v13, v30
	v_pk_mul_f32 v[28:29], v[24:25], v[18:19] op_sel:[1,1] op_sel_hi:[1,0] neg_lo:[0,1]
	v_pk_mul_f32 v[12:13], v[22:23], v[12:13] op_sel:[1,0]
	v_pk_fma_f32 v[28:29], v[18:19], v[24:25], v[28:29] op_sel_hi:[1,0,1]
	v_pk_fma_f32 v[12:13], v[30:31], v[22:23], v[12:13] op_sel_hi:[1,0,1]
	v_pk_add_f32 v[22:23], v[18:19], 0 neg_lo:[1,1] neg_hi:[1,1]
	v_pk_add_f32 v[10:11], v[10:11], v[28:29] neg_lo:[0,1] neg_hi:[0,1]
	ds_write2_b64 v8, v[10:11], v[24:25] offset0:64 offset1:68
	v_pk_mov_b32 v[10:11], v[18:19], v[22:23] op_sel:[1,0]
	v_pk_fma_f32 v[14:15], v[30:31], v[48:49], v[14:15] op_sel_hi:[1,0,1] neg_lo:[1,0,0] neg_hi:[1,0,0]
	v_pk_mul_f32 v[10:11], v[20:21], v[10:11] op_sel:[1,0]
	s_nop 0
	v_pk_fma_f32 v[10:11], v[18:19], v[20:21], v[10:11] op_sel_hi:[1,0,1] neg_lo:[1,0,0] neg_hi:[1,0,0]
	ds_write2_b64 v8, v[10:11], v[20:21] offset1:4
	v_xor_b32_e32 v10, 0x80000000, v15
	v_mov_b32_e32 v11, v14
	v_pk_mul_f32 v[10:11], v[26:27], v[10:11] op_sel:[1,0]
	s_nop 0
	v_pk_fma_f32 v[10:11], v[14:15], v[26:27], v[10:11] op_sel_hi:[1,0,1]
	s_nop 0
	v_pk_add_f32 v[10:11], v[16:17], v[10:11] neg_lo:[0,1] neg_hi:[0,1]
	ds_write2_b64 v8, v[14:15], v[10:11] offset0:35 offset1:39
	v_pk_add_f32 v[10:11], v[26:27], 0 neg_lo:[1,1] neg_hi:[1,1]
	s_nop 0
	v_pk_mov_b32 v[10:11], v[26:27], v[10:11] op_sel:[1,0]
	s_nop 0
	v_pk_mul_f32 v[10:11], v[10:11], v[12:13] op_sel:[0,1]
	s_nop 0
	v_pk_fma_f32 v[10:11], v[26:27], v[12:13], v[10:11] op_sel_hi:[1,0,1] neg_lo:[1,0,0] neg_hi:[1,0,0]
	ds_write2_b64 v8, v[12:13], v[10:11] offset0:99 offset1:103
.LBB189_6:
	s_or_b64 exec, exec, s[6:7]
	v_cmp_gt_u32_e64 s[6:7], 2, v0
	v_lshlrev_b32_e32 v9, 7, v0
	s_waitcnt lgkmcnt(0)
	; wave barrier
	s_and_saveexec_b64 s[8:9], s[6:7]
	s_cbranch_execz .LBB189_8
; %bb.7:
	ds_read2_b64 v[10:13], v9 offset0:64 offset1:72
	ds_read2_b64 v[14:17], v9 offset0:39 offset1:47
	s_mov_b64 s[10:11], 0x3f800000
	s_waitcnt lgkmcnt(1)
	v_xor_b32_e32 v18, 0x80000000, v13
	v_mov_b32_e32 v19, v12
	s_waitcnt lgkmcnt(0)
	v_pk_mul_f32 v[18:19], v[14:15], v[18:19] op_sel:[1,0]
	s_nop 0
	v_pk_fma_f32 v[18:19], v[12:13], v[14:15], v[18:19] op_sel_hi:[1,0,1]
	s_nop 0
	v_pk_add_f32 v[30:31], v[18:19], s[10:11] neg_lo:[1,0] neg_hi:[1,0]
	s_nop 0
	v_mul_f32_e32 v22, v31, v31
	v_fmac_f32_e32 v22, v30, v30
	v_div_scale_f32 v18, s[10:11], v22, v22, 1.0
	v_rcp_f32_e32 v23, v18
	v_div_scale_f32 v19, vcc, 1.0, v22, 1.0
	v_fma_f32 v33, v30, 0, -v31
	v_fma_f32 v20, -v18, v23, 1.0
	v_fmac_f32_e32 v23, v20, v23
	v_mul_f32_e32 v24, v19, v23
	v_fma_f32 v20, -v18, v24, v19
	v_fmac_f32_e32 v24, v20, v23
	v_fma_f32 v25, -v18, v24, v19
	ds_read2_b64 v[18:21], v9 offset0:136 offset1:167
	v_div_fmas_f32 v23, v25, v23, v24
	v_div_fixup_f32 v32, v23, v22, 1.0
	v_fmac_f32_e32 v30, 0, v31
	v_mov_b32_e32 v31, v33
	s_waitcnt lgkmcnt(0)
	v_pk_mul_f32 v[22:23], v[18:19], v[14:15] op_sel:[1,1] op_sel_hi:[1,0] neg_lo:[0,1]
	v_pk_mul_f32 v[30:31], v[30:31], v[32:33] op_sel_hi:[1,0]
	v_pk_fma_f32 v[22:23], v[14:15], v[18:19], v[22:23] op_sel_hi:[1,0,1]
	s_nop 0
	v_pk_add_f32 v[34:35], v[20:21], v[22:23] neg_lo:[0,1] neg_hi:[0,1]
	v_pk_mul_f32 v[22:23], v[12:13], v[20:21] op_sel:[1,1] op_sel_hi:[1,0] neg_lo:[0,1]
	v_xor_b32_e32 v36, 0x80000000, v35
	v_pk_fma_f32 v[20:21], v[20:21], v[12:13], v[22:23] op_sel_hi:[1,0,1]
	v_mov_b32_e32 v37, v34
	v_pk_add_f32 v[38:39], v[18:19], v[20:21] neg_lo:[0,1] neg_hi:[0,1]
	ds_read2_b64 v[18:21], v9 offset1:8
	v_xor_b32_e32 v40, 0x80000000, v39
	v_mov_b32_e32 v41, v38
	ds_read2_b64 v[22:25], v9 offset0:103 offset1:111
	ds_read2_b64 v[26:29], v9 offset0:111 offset1:128
	v_pk_mul_f32 v[32:33], v[30:31], v[36:37] op_sel:[1,0]
	s_waitcnt lgkmcnt(2)
	v_xor_b32_e32 v42, 0x80000000, v19
	v_pk_fma_f32 v[32:33], v[34:35], v[30:31], v[32:33] op_sel_hi:[1,0,1]
	v_pk_mul_f32 v[34:35], v[30:31], v[40:41] op_sel:[1,0]
	v_mov_b32_e32 v43, v18
	v_pk_fma_f32 v[34:35], v[38:39], v[30:31], v[34:35] op_sel_hi:[1,0,1]
	ds_read_b64 v[44:45], v9 offset:1400
	v_pk_mul_f32 v[36:37], v[34:35], v[42:43] op_sel:[1,0]
	s_waitcnt lgkmcnt(2)
	v_xor_b32_e32 v46, 0x80000000, v25
	v_pk_fma_f32 v[36:37], v[18:19], v[34:35], v[36:37] op_sel_hi:[1,0,1]
	v_mov_b32_e32 v47, v24
	s_waitcnt lgkmcnt(1)
	v_pk_add_f32 v[28:29], v[28:29], v[36:37] neg_lo:[0,1] neg_hi:[0,1]
	ds_write2_b64 v9, v[28:29], v[34:35] offset0:128 offset1:136
	v_pk_mul_f32 v[28:29], v[32:33], v[46:47] op_sel:[1,0]
	v_mul_f32_e64 v48, v21, -v15
	v_pk_fma_f32 v[24:25], v[24:25], v[32:33], v[28:29] op_sel_hi:[1,0,1]
	v_fmac_f32_e32 v48, v14, v20
	s_waitcnt lgkmcnt(1)
	v_pk_add_f32 v[24:25], v[44:45], v[24:25] neg_lo:[0,1] neg_hi:[0,1]
	ds_write2_b64 v9, v[32:33], v[24:25] offset0:167 offset1:175
	v_pk_add_f32 v[24:25], v[30:31], 0 neg_lo:[1,1] neg_hi:[1,1]
	v_mul_f32_e32 v14, v21, v14
	v_pk_mov_b32 v[28:29], v[30:31], v[24:25] op_sel:[1,0]
	v_pk_mov_b32 v[24:25], v[24:25], v[30:31] op_sel:[1,0]
	v_mul_f32_e32 v32, v13, v22
	v_pk_mul_f32 v[24:25], v[20:21], v[24:25] op_sel:[1,0]
	v_fmac_f32_e32 v14, v15, v20
	v_pk_fma_f32 v[20:21], v[30:31], v[20:21], v[24:25] op_sel_hi:[1,0,1]
	v_mul_f32_e64 v24, v13, -v23
	v_fmac_f32_e32 v32, v23, v12
	v_pk_mul_f32 v[14:15], v[28:29], v[14:15] op_sel_hi:[1,0]
	v_fmac_f32_e32 v24, v22, v12
	v_pk_mul_f32 v[28:29], v[28:29], v[32:33] op_sel_hi:[1,0]
	v_xor_b32_e32 v12, 0x80000000, v31
	v_pk_fma_f32 v[24:25], v[30:31], v[24:25], v[28:29] op_sel_hi:[1,0,1] neg_lo:[1,0,0] neg_hi:[1,0,0]
	v_mov_b32_e32 v13, v30
	v_pk_mul_f32 v[28:29], v[24:25], v[18:19] op_sel:[1,1] op_sel_hi:[1,0] neg_lo:[0,1]
	v_pk_mul_f32 v[12:13], v[22:23], v[12:13] op_sel:[1,0]
	v_pk_fma_f32 v[28:29], v[18:19], v[24:25], v[28:29] op_sel_hi:[1,0,1]
	v_pk_fma_f32 v[12:13], v[30:31], v[22:23], v[12:13] op_sel_hi:[1,0,1]
	v_pk_add_f32 v[22:23], v[18:19], 0 neg_lo:[1,1] neg_hi:[1,1]
	v_pk_add_f32 v[10:11], v[10:11], v[28:29] neg_lo:[0,1] neg_hi:[0,1]
	ds_write2_b64 v9, v[10:11], v[24:25] offset0:64 offset1:72
	v_pk_mov_b32 v[10:11], v[18:19], v[22:23] op_sel:[1,0]
	v_pk_fma_f32 v[14:15], v[30:31], v[48:49], v[14:15] op_sel_hi:[1,0,1] neg_lo:[1,0,0] neg_hi:[1,0,0]
	v_pk_mul_f32 v[10:11], v[20:21], v[10:11] op_sel:[1,0]
	s_nop 0
	v_pk_fma_f32 v[10:11], v[18:19], v[20:21], v[10:11] op_sel_hi:[1,0,1] neg_lo:[1,0,0] neg_hi:[1,0,0]
	ds_write2_b64 v9, v[10:11], v[20:21] offset1:8
	v_xor_b32_e32 v10, 0x80000000, v15
	v_mov_b32_e32 v11, v14
	v_pk_mul_f32 v[10:11], v[26:27], v[10:11] op_sel:[1,0]
	s_nop 0
	v_pk_fma_f32 v[10:11], v[14:15], v[26:27], v[10:11] op_sel_hi:[1,0,1]
	s_nop 0
	v_pk_add_f32 v[10:11], v[16:17], v[10:11] neg_lo:[0,1] neg_hi:[0,1]
	ds_write2_b64 v9, v[14:15], v[10:11] offset0:39 offset1:47
	v_pk_add_f32 v[10:11], v[26:27], 0 neg_lo:[1,1] neg_hi:[1,1]
	s_nop 0
	v_pk_mov_b32 v[10:11], v[26:27], v[10:11] op_sel:[1,0]
	s_nop 0
	v_pk_mul_f32 v[10:11], v[10:11], v[12:13] op_sel:[0,1]
	s_nop 0
	v_pk_fma_f32 v[10:11], v[26:27], v[12:13], v[10:11] op_sel_hi:[1,0,1] neg_lo:[1,0,0] neg_hi:[1,0,0]
	ds_write2_b64 v9, v[12:13], v[10:11] offset0:103 offset1:111
.LBB189_8:
	s_or_b64 exec, exec, s[8:9]
	s_mov_b32 s11, 0
	v_cmp_eq_u32_e32 vcc, 0, v0
	s_waitcnt lgkmcnt(0)
	; wave barrier
	s_and_saveexec_b64 s[8:9], vcc
	s_cbranch_execz .LBB189_10
; %bb.9:
	v_mov_b32_e32 v49, 0
	ds_read2_b64 v[10:13], v49 offset0:64 offset1:80
	ds_read2_b64 v[14:17], v49 offset0:47 offset1:63
	s_mov_b32 s10, 1.0
	s_waitcnt lgkmcnt(1)
	v_xor_b32_e32 v18, 0x80000000, v13
	v_mov_b32_e32 v19, v12
	s_waitcnt lgkmcnt(0)
	v_pk_mul_f32 v[18:19], v[14:15], v[18:19] op_sel:[1,0]
	s_nop 0
	v_pk_fma_f32 v[18:19], v[12:13], v[14:15], v[18:19] op_sel_hi:[1,0,1]
	s_nop 0
	v_pk_add_f32 v[32:33], v[18:19], s[10:11] neg_lo:[1,0] neg_hi:[1,0]
	ds_read2_b64 v[18:21], v49 offset0:144 offset1:175
	v_mul_f32_e32 v22, v33, v33
	v_fmac_f32_e32 v22, v32, v32
	v_div_scale_f32 v23, s[10:11], v22, v22, 1.0
	v_rcp_f32_e32 v24, v23
	v_div_scale_f32 v25, vcc, 1.0, v22, 1.0
	v_fma_f32 v35, v32, 0, -v33
	v_fma_f32 v26, -v23, v24, 1.0
	v_fmac_f32_e32 v24, v26, v24
	v_mul_f32_e32 v26, v25, v24
	v_fma_f32 v27, -v23, v26, v25
	v_fmac_f32_e32 v26, v27, v24
	v_fma_f32 v23, -v23, v26, v25
	v_div_fmas_f32 v23, v23, v24, v26
	v_div_fixup_f32 v34, v23, v22, 1.0
	s_waitcnt lgkmcnt(0)
	v_pk_mul_f32 v[22:23], v[18:19], v[14:15] op_sel:[1,1] op_sel_hi:[1,0] neg_lo:[0,1]
	v_fmac_f32_e32 v32, 0, v33
	v_pk_fma_f32 v[22:23], v[14:15], v[18:19], v[22:23] op_sel_hi:[1,0,1]
	v_mov_b32_e32 v33, v35
	v_pk_add_f32 v[36:37], v[20:21], v[22:23] neg_lo:[0,1] neg_hi:[0,1]
	v_pk_mul_f32 v[22:23], v[12:13], v[20:21] op_sel:[1,1] op_sel_hi:[1,0] neg_lo:[0,1]
	v_xor_b32_e32 v38, 0x80000000, v37
	v_pk_fma_f32 v[24:25], v[20:21], v[12:13], v[22:23] op_sel_hi:[1,0,1]
	ds_read2_b64 v[20:23], v49 offset1:16
	v_mov_b32_e32 v39, v36
	v_pk_add_f32 v[18:19], v[18:19], v[24:25] neg_lo:[0,1] neg_hi:[0,1]
	ds_read2_b64 v[24:27], v49 offset0:111 offset1:127
	v_pk_mul_f32 v[32:33], v[32:33], v[34:35] op_sel_hi:[1,0]
	v_xor_b32_e32 v40, 0x80000000, v19
	v_mov_b32_e32 v41, v18
	v_pk_mul_f32 v[34:35], v[32:33], v[38:39] op_sel:[1,0]
	ds_read2_b64 v[28:31], v49 offset0:127 offset1:128
	ds_read_b64 v[44:45], v49 offset:1528
	v_pk_fma_f32 v[34:35], v[36:37], v[32:33], v[34:35] op_sel_hi:[1,0,1]
	v_pk_mul_f32 v[36:37], v[32:33], v[40:41] op_sel:[1,0]
	s_waitcnt lgkmcnt(3)
	v_xor_b32_e32 v42, 0x80000000, v21
	v_mov_b32_e32 v43, v20
	v_pk_fma_f32 v[18:19], v[18:19], v[32:33], v[36:37] op_sel_hi:[1,0,1]
	s_waitcnt lgkmcnt(2)
	v_xor_b32_e32 v46, 0x80000000, v27
	v_pk_mul_f32 v[36:37], v[18:19], v[42:43] op_sel:[1,0]
	v_mov_b32_e32 v47, v26
	v_pk_fma_f32 v[36:37], v[20:21], v[18:19], v[36:37] op_sel_hi:[1,0,1]
	v_mul_f32_e64 v48, v23, -v15
	s_waitcnt lgkmcnt(1)
	v_pk_add_f32 v[30:31], v[30:31], v[36:37] neg_lo:[0,1] neg_hi:[0,1]
	v_pk_mul_f32 v[36:37], v[34:35], v[46:47] op_sel:[1,0]
	v_fmac_f32_e32 v48, v14, v22
	v_pk_fma_f32 v[26:27], v[26:27], v[34:35], v[36:37] op_sel_hi:[1,0,1]
	v_mul_f32_e32 v14, v23, v14
	s_waitcnt lgkmcnt(0)
	v_pk_add_f32 v[26:27], v[44:45], v[26:27] neg_lo:[0,1] neg_hi:[0,1]
	ds_write2_b64 v49, v[34:35], v[26:27] offset0:175 offset1:191
	v_xor_b32_e32 v26, 0x80000000, v33
	v_mov_b32_e32 v27, v32
	v_pk_mul_f32 v[36:37], v[22:23], v[26:27] op_sel:[1,0]
	v_mul_f32_e32 v38, v13, v24
	v_fmac_f32_e32 v14, v15, v22
	v_xor_b32_e32 v35, 0x80000000, v32
	v_mov_b32_e32 v34, v33
	v_pk_fma_f32 v[22:23], v[32:33], v[22:23], v[36:37] op_sel_hi:[1,0,1]
	v_mul_f32_e64 v36, v13, -v25
	v_fmac_f32_e32 v38, v25, v12
	v_fmac_f32_e32 v36, v24, v12
	v_pk_mul_f32 v[12:13], v[34:35], v[38:39] op_sel_hi:[1,0]
	v_pk_mul_f32 v[14:15], v[34:35], v[14:15] op_sel_hi:[1,0]
	v_pk_fma_f32 v[12:13], v[32:33], v[36:37], v[12:13] op_sel_hi:[1,0,1] neg_lo:[1,0,0] neg_hi:[1,0,0]
	v_pk_mul_f32 v[26:27], v[24:25], v[26:27] op_sel:[1,0]
	v_pk_fma_f32 v[14:15], v[32:33], v[48:49], v[14:15] op_sel_hi:[1,0,1] neg_lo:[1,0,0] neg_hi:[1,0,0]
	v_pk_fma_f32 v[24:25], v[32:33], v[24:25], v[26:27] op_sel_hi:[1,0,1]
	v_pk_mul_f32 v[26:27], v[12:13], v[20:21] op_sel:[1,1] op_sel_hi:[1,0] neg_lo:[0,1]
	ds_write2_b64 v49, v[14:15], v[12:13] offset0:47 offset1:80
	ds_write2_b64 v49, v[24:25], v[18:19] offset0:111 offset1:144
	v_xor_b32_e32 v19, 0x80000000, v20
	v_pk_fma_f32 v[12:13], v[20:21], v[12:13], v[26:27] op_sel_hi:[1,0,1]
	v_mov_b32_e32 v18, v21
	v_pk_add_f32 v[10:11], v[10:11], v[12:13] neg_lo:[0,1] neg_hi:[0,1]
	v_pk_mul_f32 v[12:13], v[22:23], v[18:19] op_sel:[1,0]
	s_nop 0
	v_pk_fma_f32 v[12:13], v[20:21], v[22:23], v[12:13] op_sel_hi:[1,0,1] neg_lo:[1,0,0] neg_hi:[1,0,0]
	ds_write2_b64 v49, v[12:13], v[22:23] offset1:16
	v_xor_b32_e32 v12, 0x80000000, v15
	v_mov_b32_e32 v13, v14
	v_pk_mul_f32 v[12:13], v[28:29], v[12:13] op_sel:[1,0]
	s_nop 0
	v_pk_fma_f32 v[12:13], v[14:15], v[28:29], v[12:13] op_sel_hi:[1,0,1]
	s_nop 0
	v_pk_add_f32 v[12:13], v[16:17], v[12:13] neg_lo:[0,1] neg_hi:[0,1]
	ds_write2_b64 v49, v[12:13], v[10:11] offset0:63 offset1:64
	v_xor_b32_e32 v11, 0x80000000, v28
	v_mov_b32_e32 v10, v29
	v_pk_mul_f32 v[10:11], v[10:11], v[24:25] op_sel:[0,1]
	s_nop 0
	v_pk_fma_f32 v[10:11], v[28:29], v[24:25], v[10:11] op_sel_hi:[1,0,1] neg_lo:[1,0,0] neg_hi:[1,0,0]
	ds_write2_b64 v49, v[10:11], v[30:31] offset0:127 offset1:128
.LBB189_10:
	s_or_b64 exec, exec, s[8:9]
	v_lshlrev_b32_e32 v10, 4, v0
	s_waitcnt lgkmcnt(0)
	; wave barrier
	s_and_saveexec_b64 s[8:9], s[6:7]
	s_cbranch_execz .LBB189_12
; %bb.11:
	v_max_u32_e32 v11, 1, v10
	ds_read2_b64 v[12:15], v9 offset0:72 offset1:103
	v_lshlrev_b32_e32 v11, 3, v11
	ds_read_b64 v[24:25], v11 offset:1272
	ds_read2_b64 v[16:19], v9 offset0:136 offset1:167
	v_min_u32_e32 v20, 15, v10
	v_lshlrev_b32_e32 v30, 3, v20
	ds_read2_b64 v[20:23], v9 offset0:8 offset1:39
	ds_read_b64 v[28:29], v30 offset:1152
	s_waitcnt lgkmcnt(4)
	v_xor_b32_e32 v26, 0x80000000, v15
	v_mov_b32_e32 v27, v14
	s_waitcnt lgkmcnt(3)
	v_pk_mul_f32 v[26:27], v[24:25], v[26:27] op_sel:[1,0]
	s_nop 0
	v_pk_fma_f32 v[14:15], v[14:15], v[24:25], v[26:27] op_sel_hi:[1,0,1]
	s_waitcnt lgkmcnt(2)
	v_pk_add_f32 v[14:15], v[18:19], v[14:15] neg_lo:[0,1] neg_hi:[0,1]
	s_waitcnt lgkmcnt(1)
	v_xor_b32_e32 v18, 0x80000000, v23
	v_mov_b32_e32 v19, v22
	s_waitcnt lgkmcnt(0)
	v_pk_mul_f32 v[18:19], v[28:29], v[18:19] op_sel:[1,0]
	s_nop 0
	v_pk_fma_f32 v[18:19], v[22:23], v[28:29], v[18:19] op_sel_hi:[1,0,1]
	s_nop 0
	v_pk_add_f32 v[14:15], v[14:15], v[18:19] neg_lo:[0,1] neg_hi:[0,1]
	ds_write_b64 v9, v[14:15] offset:1336
	ds_read_b64 v[14:15], v11 offset:1272
	v_xor_b32_e32 v18, 0x80000000, v13
	v_mov_b32_e32 v19, v12
	s_waitcnt lgkmcnt(0)
	v_pk_mul_f32 v[18:19], v[14:15], v[18:19] op_sel:[1,0]
	s_nop 0
	v_pk_fma_f32 v[12:13], v[12:13], v[14:15], v[18:19] op_sel_hi:[1,0,1]
	s_nop 0
	v_pk_add_f32 v[12:13], v[16:17], v[12:13] neg_lo:[0,1] neg_hi:[0,1]
	ds_write_b64 v9, v[12:13] offset:1088
	ds_read_b64 v[14:15], v30 offset:1152
	v_xor_b32_e32 v16, 0x80000000, v21
	v_mov_b32_e32 v17, v20
	s_waitcnt lgkmcnt(0)
	v_pk_mul_f32 v[16:17], v[14:15], v[16:17] op_sel:[1,0]
	s_nop 0
	v_pk_fma_f32 v[14:15], v[20:21], v[14:15], v[16:17] op_sel_hi:[1,0,1]
	s_nop 0
	v_pk_add_f32 v[12:13], v[12:13], v[14:15] neg_lo:[0,1] neg_hi:[0,1]
	ds_write_b64 v9, v[12:13] offset:1088
.LBB189_12:
	s_or_b64 exec, exec, s[8:9]
	s_waitcnt lgkmcnt(0)
	; wave barrier
	s_and_saveexec_b64 s[6:7], s[4:5]
	s_cbranch_execz .LBB189_14
; %bb.13:
	v_max_u32_e32 v9, 1, v6
	ds_read2_b64 v[12:15], v8 offset0:68 offset1:99
	v_lshlrev_b32_e32 v9, 3, v9
	ds_read_b64 v[24:25], v9 offset:1272
	ds_read2_b64 v[16:19], v8 offset0:132 offset1:163
	v_min_u32_e32 v6, 23, v6
	v_lshlrev_b32_e32 v6, 3, v6
	ds_read2_b64 v[20:23], v8 offset0:4 offset1:35
	ds_read_b64 v[28:29], v6 offset:1088
	s_waitcnt lgkmcnt(4)
	v_xor_b32_e32 v26, 0x80000000, v15
	v_mov_b32_e32 v27, v14
	s_waitcnt lgkmcnt(3)
	v_pk_mul_f32 v[26:27], v[24:25], v[26:27] op_sel:[1,0]
	s_nop 0
	v_pk_fma_f32 v[14:15], v[14:15], v[24:25], v[26:27] op_sel_hi:[1,0,1]
	s_waitcnt lgkmcnt(2)
	v_pk_add_f32 v[14:15], v[18:19], v[14:15] neg_lo:[0,1] neg_hi:[0,1]
	s_waitcnt lgkmcnt(1)
	v_xor_b32_e32 v18, 0x80000000, v23
	v_mov_b32_e32 v19, v22
	s_waitcnt lgkmcnt(0)
	v_pk_mul_f32 v[18:19], v[28:29], v[18:19] op_sel:[1,0]
	s_nop 0
	v_pk_fma_f32 v[18:19], v[22:23], v[28:29], v[18:19] op_sel_hi:[1,0,1]
	s_nop 0
	v_pk_add_f32 v[14:15], v[14:15], v[18:19] neg_lo:[0,1] neg_hi:[0,1]
	ds_write_b64 v8, v[14:15] offset:1304
	ds_read_b64 v[14:15], v9 offset:1272
	v_xor_b32_e32 v18, 0x80000000, v13
	v_mov_b32_e32 v19, v12
	s_waitcnt lgkmcnt(0)
	v_pk_mul_f32 v[18:19], v[14:15], v[18:19] op_sel:[1,0]
	s_nop 0
	v_pk_fma_f32 v[12:13], v[12:13], v[14:15], v[18:19] op_sel_hi:[1,0,1]
	s_nop 0
	v_pk_add_f32 v[12:13], v[16:17], v[12:13] neg_lo:[0,1] neg_hi:[0,1]
	ds_write_b64 v8, v[12:13] offset:1056
	ds_read_b64 v[14:15], v6 offset:1088
	v_xor_b32_e32 v16, 0x80000000, v21
	v_mov_b32_e32 v17, v20
	s_waitcnt lgkmcnt(0)
	v_pk_mul_f32 v[16:17], v[14:15], v[16:17] op_sel:[1,0]
	s_nop 0
	v_pk_fma_f32 v[14:15], v[20:21], v[14:15], v[16:17] op_sel_hi:[1,0,1]
	s_nop 0
	v_pk_add_f32 v[12:13], v[12:13], v[14:15] neg_lo:[0,1] neg_hi:[0,1]
	ds_write_b64 v8, v[12:13] offset:1056
.LBB189_14:
	s_or_b64 exec, exec, s[6:7]
	s_waitcnt lgkmcnt(0)
	; wave barrier
	s_and_saveexec_b64 s[4:5], s[2:3]
	s_cbranch_execz .LBB189_16
; %bb.15:
	v_lshlrev_b32_e32 v6, 2, v0
	v_max_u32_e32 v8, 1, v6
	ds_read2_b64 v[12:15], v7 offset0:66 offset1:97
	v_lshlrev_b32_e32 v11, 3, v8
	v_min_u32_e32 v6, 27, v6
	ds_read_b64 v[8:9], v11 offset:1272
	ds_read2_b64 v[16:19], v7 offset0:130 offset1:161
	v_lshlrev_b32_e32 v6, 3, v6
	ds_read2_b64 v[20:23], v7 offset0:2 offset1:33
	ds_read_b64 v[26:27], v6 offset:1056
	s_waitcnt lgkmcnt(4)
	v_xor_b32_e32 v24, 0x80000000, v15
	v_mov_b32_e32 v25, v14
	s_waitcnt lgkmcnt(3)
	v_pk_mul_f32 v[24:25], v[8:9], v[24:25] op_sel:[1,0]
	s_nop 0
	v_pk_fma_f32 v[8:9], v[14:15], v[8:9], v[24:25] op_sel_hi:[1,0,1]
	s_waitcnt lgkmcnt(1)
	v_xor_b32_e32 v14, 0x80000000, v23
	v_mov_b32_e32 v15, v22
	s_waitcnt lgkmcnt(0)
	v_pk_mul_f32 v[14:15], v[26:27], v[14:15] op_sel:[1,0]
	v_pk_add_f32 v[8:9], v[18:19], v[8:9] neg_lo:[0,1] neg_hi:[0,1]
	v_pk_fma_f32 v[14:15], v[22:23], v[26:27], v[14:15] op_sel_hi:[1,0,1]
	s_nop 0
	v_pk_add_f32 v[8:9], v[8:9], v[14:15] neg_lo:[0,1] neg_hi:[0,1]
	ds_write_b64 v7, v[8:9] offset:1288
	ds_read_b64 v[8:9], v11 offset:1272
	v_xor_b32_e32 v14, 0x80000000, v13
	v_mov_b32_e32 v15, v12
	s_waitcnt lgkmcnt(0)
	v_pk_mul_f32 v[14:15], v[8:9], v[14:15] op_sel:[1,0]
	s_nop 0
	v_pk_fma_f32 v[8:9], v[12:13], v[8:9], v[14:15] op_sel_hi:[1,0,1]
	v_xor_b32_e32 v14, 0x80000000, v21
	v_pk_add_f32 v[8:9], v[16:17], v[8:9] neg_lo:[0,1] neg_hi:[0,1]
	ds_write_b64 v7, v[8:9] offset:1040
	ds_read_b64 v[12:13], v6 offset:1056
	v_mov_b32_e32 v15, v20
	s_waitcnt lgkmcnt(0)
	v_pk_mul_f32 v[14:15], v[12:13], v[14:15] op_sel:[1,0]
	s_nop 0
	v_pk_fma_f32 v[12:13], v[20:21], v[12:13], v[14:15] op_sel_hi:[1,0,1]
	s_nop 0
	v_pk_add_f32 v[8:9], v[8:9], v[12:13] neg_lo:[0,1] neg_hi:[0,1]
	ds_write_b64 v7, v[8:9] offset:1040
.LBB189_16:
	s_or_b64 exec, exec, s[4:5]
	s_waitcnt lgkmcnt(0)
	; wave barrier
	s_and_saveexec_b64 s[2:3], s[0:1]
	s_cbranch_execz .LBB189_18
; %bb.17:
	v_lshlrev_b32_e32 v0, 1, v0
	v_max_u32_e32 v11, 1, v0
	ds_read2_b64 v[6:9], v10 offset0:65 offset1:96
	v_lshlrev_b32_e32 v11, 3, v11
	ds_read_b64 v[20:21], v11 offset:1272
	ds_read2_b64 v[12:15], v10 offset0:129 offset1:160
	v_min_u32_e32 v0, 29, v0
	v_lshlrev_b32_e32 v0, 3, v0
	ds_read2_b64 v[16:19], v10 offset0:1 offset1:32
	ds_read_b64 v[24:25], v0 offset:1040
	s_waitcnt lgkmcnt(4)
	v_xor_b32_e32 v22, 0x80000000, v9
	v_mov_b32_e32 v23, v8
	s_waitcnt lgkmcnt(3)
	v_pk_mul_f32 v[22:23], v[20:21], v[22:23] op_sel:[1,0]
	s_nop 0
	v_pk_fma_f32 v[8:9], v[8:9], v[20:21], v[22:23] op_sel_hi:[1,0,1]
	s_waitcnt lgkmcnt(2)
	v_pk_add_f32 v[8:9], v[14:15], v[8:9] neg_lo:[0,1] neg_hi:[0,1]
	s_waitcnt lgkmcnt(1)
	v_xor_b32_e32 v14, 0x80000000, v19
	v_mov_b32_e32 v15, v18
	s_waitcnt lgkmcnt(0)
	v_pk_mul_f32 v[14:15], v[24:25], v[14:15] op_sel:[1,0]
	s_nop 0
	v_pk_fma_f32 v[14:15], v[18:19], v[24:25], v[14:15] op_sel_hi:[1,0,1]
	s_nop 0
	v_pk_add_f32 v[8:9], v[8:9], v[14:15] neg_lo:[0,1] neg_hi:[0,1]
	ds_write_b64 v10, v[8:9] offset:1280
	ds_read_b64 v[8:9], v11 offset:1272
	v_xor_b32_e32 v14, 0x80000000, v7
	v_mov_b32_e32 v15, v6
	s_waitcnt lgkmcnt(0)
	v_pk_mul_f32 v[14:15], v[8:9], v[14:15] op_sel:[1,0]
	s_nop 0
	v_pk_fma_f32 v[6:7], v[6:7], v[8:9], v[14:15] op_sel_hi:[1,0,1]
	s_nop 0
	v_pk_add_f32 v[6:7], v[12:13], v[6:7] neg_lo:[0,1] neg_hi:[0,1]
	ds_write_b64 v10, v[6:7] offset:1032
	ds_read_b64 v[8:9], v0 offset:1040
	v_xor_b32_e32 v12, 0x80000000, v17
	v_mov_b32_e32 v13, v16
	s_waitcnt lgkmcnt(0)
	v_pk_mul_f32 v[12:13], v[8:9], v[12:13] op_sel:[1,0]
	s_nop 0
	v_pk_fma_f32 v[8:9], v[16:17], v[8:9], v[12:13] op_sel_hi:[1,0,1]
	s_nop 0
	v_pk_add_f32 v[6:7], v[6:7], v[8:9] neg_lo:[0,1] neg_hi:[0,1]
	ds_write_b64 v10, v[6:7] offset:1032
.LBB189_18:
	s_or_b64 exec, exec, s[2:3]
	s_waitcnt lgkmcnt(0)
	; wave barrier
	ds_read2_b64 v[6:9], v1 offset1:32
	s_waitcnt lgkmcnt(0)
	global_store_dwordx2 v[2:3], v[6:7], off
	global_store_dwordx2 v[4:5], v[8:9], off
	s_endpgm
	.section	.rodata,"a",@progbits
	.p2align	6, 0x0
	.amdhsa_kernel _ZN9rocsparseL34gtsv_solve_spike_grid_level_kernelILj32E21rocsparse_complex_numIfEEEviiiPT0_PKS3_S6_
		.amdhsa_group_segment_fixed_size 1536
		.amdhsa_private_segment_fixed_size 0
		.amdhsa_kernarg_size 40
		.amdhsa_user_sgpr_count 2
		.amdhsa_user_sgpr_dispatch_ptr 0
		.amdhsa_user_sgpr_queue_ptr 0
		.amdhsa_user_sgpr_kernarg_segment_ptr 1
		.amdhsa_user_sgpr_dispatch_id 0
		.amdhsa_user_sgpr_kernarg_preload_length 0
		.amdhsa_user_sgpr_kernarg_preload_offset 0
		.amdhsa_user_sgpr_private_segment_size 0
		.amdhsa_uses_dynamic_stack 0
		.amdhsa_enable_private_segment 0
		.amdhsa_system_sgpr_workgroup_id_x 1
		.amdhsa_system_sgpr_workgroup_id_y 1
		.amdhsa_system_sgpr_workgroup_id_z 0
		.amdhsa_system_sgpr_workgroup_info 0
		.amdhsa_system_vgpr_workitem_id 0
		.amdhsa_next_free_vgpr 50
		.amdhsa_next_free_sgpr 12
		.amdhsa_accum_offset 52
		.amdhsa_reserve_vcc 1
		.amdhsa_float_round_mode_32 0
		.amdhsa_float_round_mode_16_64 0
		.amdhsa_float_denorm_mode_32 3
		.amdhsa_float_denorm_mode_16_64 3
		.amdhsa_dx10_clamp 1
		.amdhsa_ieee_mode 1
		.amdhsa_fp16_overflow 0
		.amdhsa_tg_split 0
		.amdhsa_exception_fp_ieee_invalid_op 0
		.amdhsa_exception_fp_denorm_src 0
		.amdhsa_exception_fp_ieee_div_zero 0
		.amdhsa_exception_fp_ieee_overflow 0
		.amdhsa_exception_fp_ieee_underflow 0
		.amdhsa_exception_fp_ieee_inexact 0
		.amdhsa_exception_int_div_zero 0
	.end_amdhsa_kernel
	.section	.text._ZN9rocsparseL34gtsv_solve_spike_grid_level_kernelILj32E21rocsparse_complex_numIfEEEviiiPT0_PKS3_S6_,"axG",@progbits,_ZN9rocsparseL34gtsv_solve_spike_grid_level_kernelILj32E21rocsparse_complex_numIfEEEviiiPT0_PKS3_S6_,comdat
.Lfunc_end189:
	.size	_ZN9rocsparseL34gtsv_solve_spike_grid_level_kernelILj32E21rocsparse_complex_numIfEEEviiiPT0_PKS3_S6_, .Lfunc_end189-_ZN9rocsparseL34gtsv_solve_spike_grid_level_kernelILj32E21rocsparse_complex_numIfEEEviiiPT0_PKS3_S6_
                                        ; -- End function
	.set _ZN9rocsparseL34gtsv_solve_spike_grid_level_kernelILj32E21rocsparse_complex_numIfEEEviiiPT0_PKS3_S6_.num_vgpr, 50
	.set _ZN9rocsparseL34gtsv_solve_spike_grid_level_kernelILj32E21rocsparse_complex_numIfEEEviiiPT0_PKS3_S6_.num_agpr, 0
	.set _ZN9rocsparseL34gtsv_solve_spike_grid_level_kernelILj32E21rocsparse_complex_numIfEEEviiiPT0_PKS3_S6_.numbered_sgpr, 12
	.set _ZN9rocsparseL34gtsv_solve_spike_grid_level_kernelILj32E21rocsparse_complex_numIfEEEviiiPT0_PKS3_S6_.num_named_barrier, 0
	.set _ZN9rocsparseL34gtsv_solve_spike_grid_level_kernelILj32E21rocsparse_complex_numIfEEEviiiPT0_PKS3_S6_.private_seg_size, 0
	.set _ZN9rocsparseL34gtsv_solve_spike_grid_level_kernelILj32E21rocsparse_complex_numIfEEEviiiPT0_PKS3_S6_.uses_vcc, 1
	.set _ZN9rocsparseL34gtsv_solve_spike_grid_level_kernelILj32E21rocsparse_complex_numIfEEEviiiPT0_PKS3_S6_.uses_flat_scratch, 0
	.set _ZN9rocsparseL34gtsv_solve_spike_grid_level_kernelILj32E21rocsparse_complex_numIfEEEviiiPT0_PKS3_S6_.has_dyn_sized_stack, 0
	.set _ZN9rocsparseL34gtsv_solve_spike_grid_level_kernelILj32E21rocsparse_complex_numIfEEEviiiPT0_PKS3_S6_.has_recursion, 0
	.set _ZN9rocsparseL34gtsv_solve_spike_grid_level_kernelILj32E21rocsparse_complex_numIfEEEviiiPT0_PKS3_S6_.has_indirect_call, 0
	.section	.AMDGPU.csdata,"",@progbits
; Kernel info:
; codeLenInByte = 5340
; TotalNumSgprs: 18
; NumVgprs: 50
; NumAgprs: 0
; TotalNumVgprs: 50
; ScratchSize: 0
; MemoryBound: 0
; FloatMode: 240
; IeeeMode: 1
; LDSByteSize: 1536 bytes/workgroup (compile time only)
; SGPRBlocks: 2
; VGPRBlocks: 6
; NumSGPRsForWavesPerEU: 18
; NumVGPRsForWavesPerEU: 50
; AccumOffset: 52
; Occupancy: 8
; WaveLimiterHint : 1
; COMPUTE_PGM_RSRC2:SCRATCH_EN: 0
; COMPUTE_PGM_RSRC2:USER_SGPR: 2
; COMPUTE_PGM_RSRC2:TRAP_HANDLER: 0
; COMPUTE_PGM_RSRC2:TGID_X_EN: 1
; COMPUTE_PGM_RSRC2:TGID_Y_EN: 1
; COMPUTE_PGM_RSRC2:TGID_Z_EN: 0
; COMPUTE_PGM_RSRC2:TIDIG_COMP_CNT: 0
; COMPUTE_PGM_RSRC3_GFX90A:ACCUM_OFFSET: 12
; COMPUTE_PGM_RSRC3_GFX90A:TG_SPLIT: 0
	.section	.text._ZN9rocsparseL34gtsv_solve_spike_grid_level_kernelILj64E21rocsparse_complex_numIfEEEviiiPT0_PKS3_S6_,"axG",@progbits,_ZN9rocsparseL34gtsv_solve_spike_grid_level_kernelILj64E21rocsparse_complex_numIfEEEviiiPT0_PKS3_S6_,comdat
	.globl	_ZN9rocsparseL34gtsv_solve_spike_grid_level_kernelILj64E21rocsparse_complex_numIfEEEviiiPT0_PKS3_S6_ ; -- Begin function _ZN9rocsparseL34gtsv_solve_spike_grid_level_kernelILj64E21rocsparse_complex_numIfEEEviiiPT0_PKS3_S6_
	.p2align	8
	.type	_ZN9rocsparseL34gtsv_solve_spike_grid_level_kernelILj64E21rocsparse_complex_numIfEEEviiiPT0_PKS3_S6_,@function
_ZN9rocsparseL34gtsv_solve_spike_grid_level_kernelILj64E21rocsparse_complex_numIfEEEviiiPT0_PKS3_S6_: ; @_ZN9rocsparseL34gtsv_solve_spike_grid_level_kernelILj64E21rocsparse_complex_numIfEEEviiiPT0_PKS3_S6_
; %bb.0:
	s_load_dwordx4 s[4:7], s[0:1], 0x10
	s_load_dwordx2 s[8:9], s[0:1], 0x20
	v_lshl_or_b32 v4, s3, 7, v0
	v_mov_b32_e32 v5, 0
	v_lshlrev_b32_e32 v6, 3, v0
	s_waitcnt lgkmcnt(0)
	v_lshl_add_u64 v[2:3], v[4:5], 3, s[4:5]
	v_or_b32_e32 v4, 64, v4
	global_load_dwordx2 v[8:9], v6, s[6:7]
	global_load_dwordx2 v[10:11], v6, s[6:7] offset:512
	global_load_dwordx2 v[12:13], v6, s[8:9]
	global_load_dwordx2 v[14:15], v6, s[8:9] offset:512
	v_lshl_add_u64 v[4:5], v[4:5], 3, s[4:5]
	global_load_dwordx2 v[16:17], v[2:3], off
	global_load_dwordx2 v[18:19], v[4:5], off
	v_or_b32_e32 v1, 0x800, v6
	v_cmp_gt_u32_e64 s[0:1], 32, v0
	s_waitcnt vmcnt(4)
	ds_write2st64_b64 v6, v[8:9], v[10:11] offset0:2 offset1:3
	s_waitcnt vmcnt(2)
	ds_write2st64_b64 v6, v[12:13], v[14:15] offset1:1
	s_waitcnt vmcnt(0)
	ds_write2st64_b64 v6, v[16:17], v[18:19] offset0:4 offset1:5
	s_waitcnt lgkmcnt(0)
	; wave barrier
	s_and_saveexec_b64 s[2:3], s[0:1]
	s_cbranch_execz .LBB190_2
; %bb.1:
	v_or_b32_e32 v7, 0x400, v6
	v_add_u32_e32 v7, v7, v6
	ds_read2_b64 v[8:11], v7 offset1:1
	v_add_u32_e32 v45, v6, v6
	ds_read_b128 v[12:15], v45 offset:512
	ds_read2_b64 v[16:19], v7 offset0:64 offset1:65
	s_mov_b64 s[4:5], 0x3f800000
	v_add_u32_e32 v47, v1, v6
	s_waitcnt lgkmcnt(2)
	v_xor_b32_e32 v24, 0x80000000, v11
	v_mov_b32_e32 v25, v10
	s_waitcnt lgkmcnt(1)
	v_pk_mul_f32 v[24:25], v[12:13], v[24:25] op_sel:[1,0]
	ds_read_b128 v[20:23], v47
	v_pk_fma_f32 v[12:13], v[10:11], v[12:13], v[24:25] op_sel_hi:[1,0,1]
	ds_read_b128 v[32:35], v45
	v_pk_add_f32 v[12:13], v[12:13], s[4:5] neg_lo:[1,0] neg_hi:[1,0]
	s_nop 0
	v_mul_f32_e32 v24, v13, v13
	v_fmac_f32_e32 v24, v12, v12
	v_div_scale_f32 v25, s[4:5], v24, v24, 1.0
	v_rcp_f32_e32 v26, v25
	v_fma_f32 v37, v12, 0, -v13
	v_fmac_f32_e32 v12, 0, v13
	v_mov_b32_e32 v13, v37
	v_fma_f32 v27, -v25, v26, 1.0
	v_fmac_f32_e32 v26, v27, v26
	v_div_scale_f32 v27, vcc, 1.0, v24, 1.0
	v_mul_f32_e32 v28, v27, v26
	v_fma_f32 v29, -v25, v28, v27
	v_fmac_f32_e32 v28, v29, v26
	v_fma_f32 v25, -v25, v28, v27
	v_div_fmas_f32 v25, v25, v26, v28
	v_div_fixup_f32 v36, v25, v24, 1.0
	ds_read2st64_b64 v[24:27], v45 offset1:1
	ds_read2_b64 v[28:31], v47 offset0:64 offset1:65
	s_waitcnt lgkmcnt(3)
	v_mov_b32_e32 v38, v23
	v_pk_mul_f32 v[36:37], v[12:13], v[36:37] op_sel_hi:[1,0]
	s_waitcnt lgkmcnt(1)
	v_pk_mul_f32 v[38:39], v[38:39], v[26:27] op_sel:[0,1] op_sel_hi:[0,0] neg_lo:[0,1]
	v_pk_fma_f32 v[38:39], v[26:27], v[22:23], v[38:39] op_sel_hi:[1,0,1]
	s_waitcnt lgkmcnt(0)
	v_pk_mul_f32 v[42:43], v[10:11], v[28:29] op_sel:[1,1] op_sel_hi:[1,0] neg_lo:[0,1]
	v_pk_add_f32 v[38:39], v[28:29], v[38:39] neg_lo:[0,1] neg_hi:[0,1]
	v_pk_fma_f32 v[28:29], v[28:29], v[10:11], v[42:43] op_sel_hi:[1,0,1]
	v_xor_b32_e32 v40, 0x80000000, v39
	v_mov_b32_e32 v41, v38
	v_pk_add_f32 v[22:23], v[22:23], v[28:29] neg_lo:[0,1] neg_hi:[0,1]
	v_mul_f32_e64 v44, v35, -v27
	v_xor_b32_e32 v28, 0x80000000, v23
	v_mov_b32_e32 v29, v22
	v_mul_f32_e32 v46, v35, v26
	v_pk_mul_f32 v[12:13], v[36:37], v[40:41] op_sel:[1,0]
	v_fmac_f32_e32 v44, v26, v34
	v_fmac_f32_e32 v46, v27, v34
	v_pk_fma_f32 v[26:27], v[38:39], v[36:37], v[12:13] op_sel_hi:[1,0,1]
	v_pk_mul_f32 v[12:13], v[36:37], v[28:29] op_sel:[1,0]
	v_xor_b32_e32 v42, 0x80000000, v19
	v_pk_fma_f32 v[22:23], v[22:23], v[36:37], v[12:13] op_sel_hi:[1,0,1]
	v_mov_b32_e32 v43, v18
	v_pk_mul_f32 v[12:13], v[22:23], v[32:33] op_sel:[1,1] op_sel_hi:[1,0] neg_lo:[0,1]
	s_nop 0
	v_pk_fma_f32 v[12:13], v[32:33], v[22:23], v[12:13] op_sel_hi:[1,0,1]
	s_nop 0
	v_pk_add_f32 v[20:21], v[20:21], v[12:13] neg_lo:[0,1] neg_hi:[0,1]
	v_pk_mul_f32 v[12:13], v[26:27], v[42:43] op_sel:[1,0]
	ds_write_b128 v47, v[20:23]
	v_pk_fma_f32 v[12:13], v[18:19], v[26:27], v[12:13] op_sel_hi:[1,0,1]
	v_pk_add_f32 v[18:19], v[36:37], 0 neg_lo:[1,1] neg_hi:[1,1]
	v_pk_add_f32 v[28:29], v[30:31], v[12:13] neg_lo:[0,1] neg_hi:[0,1]
	ds_write_b128 v47, v[26:29] offset:512
	v_pk_mov_b32 v[20:21], v[36:37], v[18:19] op_sel:[1,0]
	v_mov_b32_e32 v22, v35
	v_pk_mov_b32 v[18:19], v[18:19], v[36:37] op_sel:[1,0]
	v_mul_f32_e32 v26, v11, v16
	v_pk_mul_f32 v[18:19], v[22:23], v[18:19] op_sel_hi:[0,1]
	v_mul_f32_e64 v22, v11, -v17
	v_fmac_f32_e32 v26, v17, v10
	v_fmac_f32_e32 v22, v16, v10
	v_pk_mul_f32 v[10:11], v[20:21], v[26:27] op_sel_hi:[1,0]
	v_xor_b32_e32 v28, 0x80000000, v37
	v_pk_fma_f32 v[10:11], v[36:37], v[22:23], v[10:11] op_sel_hi:[1,0,1] neg_lo:[1,0,0] neg_hi:[1,0,0]
	v_mov_b32_e32 v29, v36
	v_pk_mul_f32 v[22:23], v[10:11], v[24:25] op_sel:[1,1] op_sel_hi:[1,0] neg_lo:[0,1]
	v_pk_mul_f32 v[12:13], v[20:21], v[46:47] op_sel_hi:[1,0]
	v_pk_fma_f32 v[22:23], v[24:25], v[10:11], v[22:23] op_sel_hi:[1,0,1]
	v_pk_mul_f32 v[20:21], v[16:17], v[28:29] op_sel:[1,0]
	v_pk_add_f32 v[8:9], v[8:9], v[22:23] neg_lo:[0,1] neg_hi:[0,1]
	ds_write_b128 v7, v[8:11]
	ds_read_b64 v[10:11], v7 offset:520
	v_pk_fma_f32 v[20:21], v[36:37], v[16:17], v[20:21] op_sel_hi:[1,0,1]
	v_pk_add_f32 v[16:17], v[24:25], 0 neg_lo:[1,1] neg_hi:[1,1]
	v_pk_fma_f32 v[18:19], v[36:37], v[34:35], v[18:19] op_sel_hi:[1,0,1]
	v_pk_mov_b32 v[8:9], v[24:25], v[16:17] op_sel:[1,0]
	v_pk_fma_f32 v[12:13], v[36:37], v[44:45], v[12:13] op_sel_hi:[1,0,1] neg_lo:[1,0,0] neg_hi:[1,0,0]
	v_pk_mul_f32 v[8:9], v[18:19], v[8:9] op_sel:[1,0]
	s_nop 0
	v_pk_fma_f32 v[16:17], v[24:25], v[18:19], v[8:9] op_sel_hi:[1,0,1] neg_lo:[1,0,0] neg_hi:[1,0,0]
	v_xor_b32_e32 v8, 0x80000000, v13
	v_mov_b32_e32 v9, v12
	s_waitcnt lgkmcnt(0)
	v_pk_mul_f32 v[8:9], v[10:11], v[8:9] op_sel:[1,0]
	ds_write_b128 v45, v[16:19]
	v_pk_fma_f32 v[8:9], v[12:13], v[10:11], v[8:9] op_sel_hi:[1,0,1]
	s_nop 0
	v_pk_add_f32 v[14:15], v[14:15], v[8:9] neg_lo:[0,1] neg_hi:[0,1]
	v_pk_add_f32 v[8:9], v[10:11], 0 neg_lo:[1,1] neg_hi:[1,1]
	ds_write_b128 v45, v[12:15] offset:512
	v_pk_mov_b32 v[8:9], v[10:11], v[8:9] op_sel:[1,0]
	s_nop 0
	v_pk_mul_f32 v[8:9], v[20:21], v[8:9] op_sel:[1,0]
	s_nop 0
	v_pk_fma_f32 v[22:23], v[10:11], v[20:21], v[8:9] op_sel_hi:[1,0,1] neg_lo:[1,0,0] neg_hi:[1,0,0]
	ds_write_b128 v7, v[20:23] offset:512
.LBB190_2:
	s_or_b64 exec, exec, s[2:3]
	v_cmp_gt_u32_e64 s[2:3], 16, v0
	v_lshlrev_b32_e32 v7, 5, v0
	s_waitcnt lgkmcnt(0)
	; wave barrier
	s_and_saveexec_b64 s[4:5], s[2:3]
	s_cbranch_execz .LBB190_4
; %bb.3:
	ds_read2_b64 v[8:11], v7 offset0:128 offset1:130
	ds_read2_b64 v[12:15], v7 offset0:65 offset1:67
	s_mov_b64 s[6:7], 0x3f800000
	v_add_u32_e32 v45, 0x800, v7
	ds_read_b64 v[36:37], v7
	s_waitcnt lgkmcnt(2)
	v_xor_b32_e32 v16, 0x80000000, v11
	v_mov_b32_e32 v17, v10
	s_waitcnt lgkmcnt(1)
	v_pk_mul_f32 v[16:17], v[12:13], v[16:17] op_sel:[1,0]
	s_waitcnt lgkmcnt(0)
	v_xor_b32_e32 v40, 0x80000000, v37
	v_pk_fma_f32 v[16:17], v[10:11], v[12:13], v[16:17] op_sel_hi:[1,0,1]
	v_mov_b32_e32 v41, v36
	v_pk_add_f32 v[24:25], v[16:17], s[6:7] neg_lo:[1,0] neg_hi:[1,0]
	s_nop 0
	v_mul_f32_e32 v20, v25, v25
	v_fmac_f32_e32 v20, v24, v24
	v_div_scale_f32 v16, s[6:7], v20, v20, 1.0
	v_rcp_f32_e32 v21, v16
	v_div_scale_f32 v17, vcc, 1.0, v20, 1.0
	v_fma_f32 v27, v24, 0, -v25
	v_fma_f32 v18, -v16, v21, 1.0
	v_fmac_f32_e32 v21, v18, v21
	v_mul_f32_e32 v22, v17, v21
	v_fma_f32 v18, -v16, v22, v17
	v_fmac_f32_e32 v22, v18, v21
	v_fma_f32 v23, -v16, v22, v17
	ds_read2_b64 v[16:19], v45 offset0:2 offset1:65
	v_div_fmas_f32 v21, v23, v21, v22
	v_div_fixup_f32 v26, v21, v20, 1.0
	v_fmac_f32_e32 v24, 0, v25
	v_mov_b32_e32 v25, v27
	s_waitcnt lgkmcnt(0)
	v_pk_mul_f32 v[20:21], v[16:17], v[12:13] op_sel:[1,1] op_sel_hi:[1,0] neg_lo:[0,1]
	v_pk_mul_f32 v[46:47], v[24:25], v[26:27] op_sel_hi:[1,0]
	v_pk_fma_f32 v[20:21], v[12:13], v[16:17], v[20:21] op_sel_hi:[1,0,1]
	s_nop 0
	v_pk_add_f32 v[28:29], v[18:19], v[20:21] neg_lo:[0,1] neg_hi:[0,1]
	v_pk_mul_f32 v[20:21], v[10:11], v[18:19] op_sel:[1,1] op_sel_hi:[1,0] neg_lo:[0,1]
	v_xor_b32_e32 v30, 0x80000000, v29
	v_pk_fma_f32 v[18:19], v[18:19], v[10:11], v[20:21] op_sel_hi:[1,0,1]
	v_mov_b32_e32 v31, v28
	v_pk_add_f32 v[32:33], v[16:17], v[18:19] neg_lo:[0,1] neg_hi:[0,1]
	ds_read2_b64 v[16:19], v7 offset0:193 offset1:195
	ds_read2_b64 v[20:23], v7 offset1:2
	ds_read_b64 v[38:39], v7 offset:2584
	v_pk_mul_f32 v[24:25], v[46:47], v[30:31] op_sel:[1,0]
	v_xor_b32_e32 v34, 0x80000000, v33
	v_mov_b32_e32 v35, v32
	s_waitcnt lgkmcnt(1)
	v_mul_f32_e64 v44, v23, -v13
	v_fmac_f32_e32 v44, v12, v22
	v_mul_f32_e32 v12, v23, v12
	v_fmac_f32_e32 v12, v13, v22
	v_add_u32_e32 v13, 0x400, v7
	v_pk_fma_f32 v[28:29], v[28:29], v[46:47], v[24:25] op_sel_hi:[1,0,1]
	ds_read2_b64 v[24:27], v13 offset0:67 offset1:128
	v_pk_mul_f32 v[30:31], v[46:47], v[34:35] op_sel:[1,0]
	v_xor_b32_e32 v42, 0x80000000, v19
	v_pk_fma_f32 v[30:31], v[32:33], v[46:47], v[30:31] op_sel_hi:[1,0,1]
	v_mov_b32_e32 v43, v18
	v_pk_mul_f32 v[32:33], v[30:31], v[40:41] op_sel:[1,0]
	s_nop 0
	v_pk_fma_f32 v[32:33], v[36:37], v[30:31], v[32:33] op_sel_hi:[1,0,1]
	s_waitcnt lgkmcnt(0)
	v_pk_add_f32 v[26:27], v[26:27], v[32:33] neg_lo:[0,1] neg_hi:[0,1]
	ds_write2_b64 v45, v[26:27], v[30:31] offset1:2
	v_pk_mul_f32 v[26:27], v[28:29], v[42:43] op_sel:[1,0]
	s_nop 0
	v_pk_fma_f32 v[18:19], v[18:19], v[28:29], v[26:27] op_sel_hi:[1,0,1]
	s_nop 0
	v_pk_add_f32 v[18:19], v[38:39], v[18:19] neg_lo:[0,1] neg_hi:[0,1]
	ds_write2_b64 v45, v[28:29], v[18:19] offset0:65 offset1:67
	v_pk_add_f32 v[18:19], v[46:47], 0 neg_lo:[1,1] neg_hi:[1,1]
	v_mul_f32_e32 v28, v11, v16
	v_pk_mov_b32 v[26:27], v[46:47], v[18:19] op_sel:[1,0]
	v_pk_mov_b32 v[18:19], v[18:19], v[46:47] op_sel:[1,0]
	v_fmac_f32_e32 v28, v17, v10
	v_pk_mul_f32 v[18:19], v[22:23], v[18:19] op_sel:[1,0]
	v_pk_mul_f32 v[12:13], v[26:27], v[12:13] op_sel_hi:[1,0]
	v_pk_fma_f32 v[18:19], v[46:47], v[22:23], v[18:19] op_sel_hi:[1,0,1]
	v_mul_f32_e64 v22, v11, -v17
	v_fmac_f32_e32 v22, v16, v10
	v_pk_mul_f32 v[26:27], v[26:27], v[28:29] op_sel_hi:[1,0]
	v_xor_b32_e32 v10, 0x80000000, v47
	v_pk_fma_f32 v[22:23], v[46:47], v[22:23], v[26:27] op_sel_hi:[1,0,1] neg_lo:[1,0,0] neg_hi:[1,0,0]
	v_mov_b32_e32 v11, v46
	v_pk_mul_f32 v[26:27], v[22:23], v[20:21] op_sel:[1,1] op_sel_hi:[1,0] neg_lo:[0,1]
	v_pk_mul_f32 v[10:11], v[16:17], v[10:11] op_sel:[1,0]
	v_pk_fma_f32 v[26:27], v[20:21], v[22:23], v[26:27] op_sel_hi:[1,0,1]
	v_pk_fma_f32 v[10:11], v[46:47], v[16:17], v[10:11] op_sel_hi:[1,0,1]
	v_pk_add_f32 v[16:17], v[20:21], 0 neg_lo:[1,1] neg_hi:[1,1]
	v_pk_add_f32 v[8:9], v[8:9], v[26:27] neg_lo:[0,1] neg_hi:[0,1]
	ds_write2_b64 v7, v[8:9], v[22:23] offset0:128 offset1:130
	v_pk_mov_b32 v[8:9], v[20:21], v[16:17] op_sel:[1,0]
	v_pk_fma_f32 v[12:13], v[46:47], v[44:45], v[12:13] op_sel_hi:[1,0,1] neg_lo:[1,0,0] neg_hi:[1,0,0]
	v_pk_mul_f32 v[8:9], v[18:19], v[8:9] op_sel:[1,0]
	s_nop 0
	v_pk_fma_f32 v[8:9], v[20:21], v[18:19], v[8:9] op_sel_hi:[1,0,1] neg_lo:[1,0,0] neg_hi:[1,0,0]
	ds_write2_b64 v7, v[8:9], v[18:19] offset1:2
	v_xor_b32_e32 v8, 0x80000000, v13
	v_mov_b32_e32 v9, v12
	v_pk_mul_f32 v[8:9], v[24:25], v[8:9] op_sel:[1,0]
	s_nop 0
	v_pk_fma_f32 v[8:9], v[12:13], v[24:25], v[8:9] op_sel_hi:[1,0,1]
	s_nop 0
	v_pk_add_f32 v[8:9], v[14:15], v[8:9] neg_lo:[0,1] neg_hi:[0,1]
	ds_write2_b64 v7, v[12:13], v[8:9] offset0:65 offset1:67
	v_pk_add_f32 v[8:9], v[24:25], 0 neg_lo:[1,1] neg_hi:[1,1]
	s_nop 0
	v_pk_mov_b32 v[8:9], v[24:25], v[8:9] op_sel:[1,0]
	s_nop 0
	v_pk_mul_f32 v[8:9], v[10:11], v[8:9] op_sel:[1,0]
	s_nop 0
	v_pk_fma_f32 v[8:9], v[24:25], v[10:11], v[8:9] op_sel_hi:[1,0,1] neg_lo:[1,0,0] neg_hi:[1,0,0]
	ds_write2_b64 v7, v[10:11], v[8:9] offset0:193 offset1:195
.LBB190_4:
	s_or_b64 exec, exec, s[4:5]
	v_cmp_gt_u32_e64 s[4:5], 8, v0
	v_lshlrev_b32_e32 v8, 6, v0
	s_waitcnt lgkmcnt(0)
	; wave barrier
	s_and_saveexec_b64 s[6:7], s[4:5]
	s_cbranch_execz .LBB190_6
; %bb.5:
	ds_read2_b64 v[10:13], v8 offset0:128 offset1:132
	ds_read2_b64 v[14:17], v8 offset0:67 offset1:71
	s_mov_b64 s[8:9], 0x3f800000
	v_add_u32_e32 v47, 0x800, v8
	ds_read_b64 v[38:39], v8
	s_waitcnt lgkmcnt(2)
	v_xor_b32_e32 v18, 0x80000000, v13
	v_mov_b32_e32 v19, v12
	s_waitcnt lgkmcnt(1)
	v_pk_mul_f32 v[18:19], v[14:15], v[18:19] op_sel:[1,0]
	s_waitcnt lgkmcnt(0)
	v_xor_b32_e32 v42, 0x80000000, v39
	v_pk_fma_f32 v[18:19], v[12:13], v[14:15], v[18:19] op_sel_hi:[1,0,1]
	v_mov_b32_e32 v43, v38
	v_pk_add_f32 v[26:27], v[18:19], s[8:9] neg_lo:[1,0] neg_hi:[1,0]
	s_nop 0
	v_mul_f32_e32 v9, v27, v27
	v_fmac_f32_e32 v9, v26, v26
	v_div_scale_f32 v18, s[8:9], v9, v9, 1.0
	v_rcp_f32_e32 v22, v18
	v_div_scale_f32 v19, vcc, 1.0, v9, 1.0
	v_fma_f32 v20, -v18, v22, 1.0
	v_fmac_f32_e32 v22, v20, v22
	v_mul_f32_e32 v23, v19, v22
	v_fma_f32 v20, -v18, v23, v19
	v_fmac_f32_e32 v23, v20, v22
	v_fma_f32 v24, -v18, v23, v19
	ds_read2_b64 v[18:21], v47 offset0:4 offset1:67
	v_div_fmas_f32 v22, v24, v22, v23
	v_div_fixup_f32 v28, v22, v9, 1.0
	v_fma_f32 v9, v26, 0, -v27
	v_fmac_f32_e32 v26, 0, v27
	s_waitcnt lgkmcnt(0)
	v_pk_mul_f32 v[22:23], v[18:19], v[14:15] op_sel:[1,1] op_sel_hi:[1,0] neg_lo:[0,1]
	v_mov_b32_e32 v27, v9
	v_pk_fma_f32 v[22:23], v[14:15], v[18:19], v[22:23] op_sel_hi:[1,0,1]
	v_pk_mul_f32 v[48:49], v[26:27], v[28:29] op_sel_hi:[1,0]
	v_pk_add_f32 v[30:31], v[20:21], v[22:23] neg_lo:[0,1] neg_hi:[0,1]
	v_pk_mul_f32 v[22:23], v[12:13], v[20:21] op_sel:[1,1] op_sel_hi:[1,0] neg_lo:[0,1]
	v_xor_b32_e32 v32, 0x80000000, v31
	v_mov_b32_e32 v33, v30
	v_pk_fma_f32 v[20:21], v[20:21], v[12:13], v[22:23] op_sel_hi:[1,0,1]
	v_pk_mul_f32 v[26:27], v[48:49], v[32:33] op_sel:[1,0]
	v_pk_add_f32 v[34:35], v[18:19], v[20:21] neg_lo:[0,1] neg_hi:[0,1]
	v_add_u32_e32 v9, 0x400, v8
	v_xor_b32_e32 v36, 0x80000000, v35
	v_mov_b32_e32 v37, v34
	ds_read2_b64 v[18:21], v8 offset0:195 offset1:199
	ds_read2_b64 v[22:25], v8 offset1:4
	ds_read_b64 v[40:41], v8 offset:2616
	v_pk_fma_f32 v[30:31], v[30:31], v[48:49], v[26:27] op_sel_hi:[1,0,1]
	ds_read2_b64 v[26:29], v9 offset0:71 offset1:128
	v_pk_mul_f32 v[32:33], v[48:49], v[36:37] op_sel:[1,0]
	s_waitcnt lgkmcnt(3)
	v_xor_b32_e32 v44, 0x80000000, v21
	v_pk_fma_f32 v[32:33], v[34:35], v[48:49], v[32:33] op_sel_hi:[1,0,1]
	v_mov_b32_e32 v45, v20
	v_pk_mul_f32 v[34:35], v[32:33], v[42:43] op_sel:[1,0]
	s_waitcnt lgkmcnt(2)
	v_mul_f32_e64 v46, v25, -v15
	v_pk_fma_f32 v[34:35], v[38:39], v[32:33], v[34:35] op_sel_hi:[1,0,1]
	v_fmac_f32_e32 v46, v14, v24
	s_waitcnt lgkmcnt(0)
	v_pk_add_f32 v[28:29], v[28:29], v[34:35] neg_lo:[0,1] neg_hi:[0,1]
	ds_write2_b64 v47, v[28:29], v[32:33] offset1:4
	v_pk_mul_f32 v[28:29], v[30:31], v[44:45] op_sel:[1,0]
	v_mul_f32_e32 v14, v25, v14
	v_pk_fma_f32 v[20:21], v[20:21], v[30:31], v[28:29] op_sel_hi:[1,0,1]
	v_fmac_f32_e32 v14, v15, v24
	v_pk_add_f32 v[20:21], v[40:41], v[20:21] neg_lo:[0,1] neg_hi:[0,1]
	ds_write2_b64 v47, v[30:31], v[20:21] offset0:67 offset1:71
	v_pk_add_f32 v[20:21], v[48:49], 0 neg_lo:[1,1] neg_hi:[1,1]
	v_mul_f32_e32 v30, v13, v18
	v_pk_mov_b32 v[28:29], v[48:49], v[20:21] op_sel:[1,0]
	v_pk_mov_b32 v[20:21], v[20:21], v[48:49] op_sel:[1,0]
	v_fmac_f32_e32 v30, v19, v12
	v_pk_mul_f32 v[20:21], v[24:25], v[20:21] op_sel:[1,0]
	v_pk_mul_f32 v[14:15], v[28:29], v[14:15] op_sel_hi:[1,0]
	v_pk_fma_f32 v[20:21], v[48:49], v[24:25], v[20:21] op_sel_hi:[1,0,1]
	v_mul_f32_e64 v24, v13, -v19
	v_fmac_f32_e32 v24, v18, v12
	v_pk_mul_f32 v[28:29], v[28:29], v[30:31] op_sel_hi:[1,0]
	v_xor_b32_e32 v12, 0x80000000, v49
	v_pk_fma_f32 v[24:25], v[48:49], v[24:25], v[28:29] op_sel_hi:[1,0,1] neg_lo:[1,0,0] neg_hi:[1,0,0]
	v_mov_b32_e32 v13, v48
	v_pk_mul_f32 v[28:29], v[24:25], v[22:23] op_sel:[1,1] op_sel_hi:[1,0] neg_lo:[0,1]
	v_pk_mul_f32 v[12:13], v[18:19], v[12:13] op_sel:[1,0]
	v_pk_fma_f32 v[28:29], v[22:23], v[24:25], v[28:29] op_sel_hi:[1,0,1]
	v_pk_fma_f32 v[12:13], v[48:49], v[18:19], v[12:13] op_sel_hi:[1,0,1]
	v_pk_add_f32 v[18:19], v[22:23], 0 neg_lo:[1,1] neg_hi:[1,1]
	v_pk_add_f32 v[10:11], v[10:11], v[28:29] neg_lo:[0,1] neg_hi:[0,1]
	ds_write2_b64 v8, v[10:11], v[24:25] offset0:128 offset1:132
	v_pk_mov_b32 v[10:11], v[22:23], v[18:19] op_sel:[1,0]
	v_pk_fma_f32 v[14:15], v[48:49], v[46:47], v[14:15] op_sel_hi:[1,0,1] neg_lo:[1,0,0] neg_hi:[1,0,0]
	v_pk_mul_f32 v[10:11], v[20:21], v[10:11] op_sel:[1,0]
	s_nop 0
	v_pk_fma_f32 v[10:11], v[22:23], v[20:21], v[10:11] op_sel_hi:[1,0,1] neg_lo:[1,0,0] neg_hi:[1,0,0]
	ds_write2_b64 v8, v[10:11], v[20:21] offset1:4
	v_xor_b32_e32 v10, 0x80000000, v15
	v_mov_b32_e32 v11, v14
	v_pk_mul_f32 v[10:11], v[26:27], v[10:11] op_sel:[1,0]
	s_nop 0
	v_pk_fma_f32 v[10:11], v[14:15], v[26:27], v[10:11] op_sel_hi:[1,0,1]
	s_nop 0
	v_pk_add_f32 v[10:11], v[16:17], v[10:11] neg_lo:[0,1] neg_hi:[0,1]
	ds_write2_b64 v8, v[14:15], v[10:11] offset0:67 offset1:71
	v_pk_add_f32 v[10:11], v[26:27], 0 neg_lo:[1,1] neg_hi:[1,1]
	s_nop 0
	v_pk_mov_b32 v[10:11], v[26:27], v[10:11] op_sel:[1,0]
	s_nop 0
	v_pk_mul_f32 v[10:11], v[12:13], v[10:11] op_sel:[1,0]
	s_nop 0
	v_pk_fma_f32 v[10:11], v[26:27], v[12:13], v[10:11] op_sel_hi:[1,0,1] neg_lo:[1,0,0] neg_hi:[1,0,0]
	ds_write2_b64 v8, v[12:13], v[10:11] offset0:195 offset1:199
.LBB190_6:
	s_or_b64 exec, exec, s[6:7]
	v_cmp_gt_u32_e64 s[6:7], 4, v0
	v_lshlrev_b32_e32 v9, 7, v0
	s_waitcnt lgkmcnt(0)
	; wave barrier
	s_and_saveexec_b64 s[8:9], s[6:7]
	s_cbranch_execz .LBB190_8
; %bb.7:
	ds_read2_b64 v[10:13], v9 offset0:128 offset1:136
	ds_read2_b64 v[14:17], v9 offset0:71 offset1:79
	s_mov_b64 s[10:11], 0x3f800000
	v_add_u32_e32 v47, 0x800, v9
	ds_read_b64 v[38:39], v9
	s_waitcnt lgkmcnt(2)
	v_xor_b32_e32 v18, 0x80000000, v13
	v_mov_b32_e32 v19, v12
	s_waitcnt lgkmcnt(1)
	v_pk_mul_f32 v[18:19], v[14:15], v[18:19] op_sel:[1,0]
	s_waitcnt lgkmcnt(0)
	v_xor_b32_e32 v42, 0x80000000, v39
	v_pk_fma_f32 v[18:19], v[12:13], v[14:15], v[18:19] op_sel_hi:[1,0,1]
	v_mov_b32_e32 v43, v38
	v_pk_add_f32 v[26:27], v[18:19], s[10:11] neg_lo:[1,0] neg_hi:[1,0]
	s_nop 0
	v_mul_f32_e32 v22, v27, v27
	v_fmac_f32_e32 v22, v26, v26
	v_div_scale_f32 v18, s[10:11], v22, v22, 1.0
	v_rcp_f32_e32 v23, v18
	v_div_scale_f32 v19, vcc, 1.0, v22, 1.0
	v_fma_f32 v29, v26, 0, -v27
	v_fma_f32 v20, -v18, v23, 1.0
	v_fmac_f32_e32 v23, v20, v23
	v_mul_f32_e32 v24, v19, v23
	v_fma_f32 v20, -v18, v24, v19
	v_fmac_f32_e32 v24, v20, v23
	v_fma_f32 v25, -v18, v24, v19
	ds_read2_b64 v[18:21], v47 offset0:8 offset1:71
	v_div_fmas_f32 v23, v25, v23, v24
	v_div_fixup_f32 v28, v23, v22, 1.0
	v_fmac_f32_e32 v26, 0, v27
	v_mov_b32_e32 v27, v29
	s_waitcnt lgkmcnt(0)
	v_pk_mul_f32 v[22:23], v[18:19], v[14:15] op_sel:[1,1] op_sel_hi:[1,0] neg_lo:[0,1]
	v_pk_mul_f32 v[48:49], v[26:27], v[28:29] op_sel_hi:[1,0]
	v_pk_fma_f32 v[22:23], v[14:15], v[18:19], v[22:23] op_sel_hi:[1,0,1]
	s_nop 0
	v_pk_add_f32 v[30:31], v[20:21], v[22:23] neg_lo:[0,1] neg_hi:[0,1]
	v_pk_mul_f32 v[22:23], v[12:13], v[20:21] op_sel:[1,1] op_sel_hi:[1,0] neg_lo:[0,1]
	v_xor_b32_e32 v32, 0x80000000, v31
	v_pk_fma_f32 v[20:21], v[20:21], v[12:13], v[22:23] op_sel_hi:[1,0,1]
	v_mov_b32_e32 v33, v30
	v_pk_add_f32 v[34:35], v[18:19], v[20:21] neg_lo:[0,1] neg_hi:[0,1]
	ds_read2_b64 v[18:21], v9 offset0:199 offset1:207
	ds_read2_b64 v[22:25], v9 offset1:8
	ds_read_b64 v[40:41], v9 offset:2680
	v_pk_mul_f32 v[26:27], v[48:49], v[32:33] op_sel:[1,0]
	v_xor_b32_e32 v36, 0x80000000, v35
	v_mov_b32_e32 v37, v34
	s_waitcnt lgkmcnt(1)
	v_mul_f32_e64 v46, v25, -v15
	v_fmac_f32_e32 v46, v14, v24
	v_mul_f32_e32 v14, v25, v14
	v_fmac_f32_e32 v14, v15, v24
	v_add_u32_e32 v15, 0x400, v9
	v_pk_fma_f32 v[30:31], v[30:31], v[48:49], v[26:27] op_sel_hi:[1,0,1]
	ds_read2_b64 v[26:29], v15 offset0:79 offset1:128
	v_pk_mul_f32 v[32:33], v[48:49], v[36:37] op_sel:[1,0]
	v_xor_b32_e32 v44, 0x80000000, v21
	v_pk_fma_f32 v[32:33], v[34:35], v[48:49], v[32:33] op_sel_hi:[1,0,1]
	v_mov_b32_e32 v45, v20
	v_pk_mul_f32 v[34:35], v[32:33], v[42:43] op_sel:[1,0]
	s_nop 0
	v_pk_fma_f32 v[34:35], v[38:39], v[32:33], v[34:35] op_sel_hi:[1,0,1]
	s_waitcnt lgkmcnt(0)
	v_pk_add_f32 v[28:29], v[28:29], v[34:35] neg_lo:[0,1] neg_hi:[0,1]
	ds_write2_b64 v47, v[28:29], v[32:33] offset1:8
	v_pk_mul_f32 v[28:29], v[30:31], v[44:45] op_sel:[1,0]
	s_nop 0
	v_pk_fma_f32 v[20:21], v[20:21], v[30:31], v[28:29] op_sel_hi:[1,0,1]
	s_nop 0
	v_pk_add_f32 v[20:21], v[40:41], v[20:21] neg_lo:[0,1] neg_hi:[0,1]
	ds_write2_b64 v47, v[30:31], v[20:21] offset0:71 offset1:79
	v_pk_add_f32 v[20:21], v[48:49], 0 neg_lo:[1,1] neg_hi:[1,1]
	v_mul_f32_e32 v30, v13, v18
	v_pk_mov_b32 v[28:29], v[48:49], v[20:21] op_sel:[1,0]
	v_pk_mov_b32 v[20:21], v[20:21], v[48:49] op_sel:[1,0]
	v_fmac_f32_e32 v30, v19, v12
	v_pk_mul_f32 v[20:21], v[24:25], v[20:21] op_sel:[1,0]
	v_pk_mul_f32 v[14:15], v[28:29], v[14:15] op_sel_hi:[1,0]
	v_pk_fma_f32 v[20:21], v[48:49], v[24:25], v[20:21] op_sel_hi:[1,0,1]
	v_mul_f32_e64 v24, v13, -v19
	v_fmac_f32_e32 v24, v18, v12
	v_pk_mul_f32 v[28:29], v[28:29], v[30:31] op_sel_hi:[1,0]
	v_xor_b32_e32 v12, 0x80000000, v49
	v_pk_fma_f32 v[24:25], v[48:49], v[24:25], v[28:29] op_sel_hi:[1,0,1] neg_lo:[1,0,0] neg_hi:[1,0,0]
	v_mov_b32_e32 v13, v48
	v_pk_mul_f32 v[28:29], v[24:25], v[22:23] op_sel:[1,1] op_sel_hi:[1,0] neg_lo:[0,1]
	v_pk_mul_f32 v[12:13], v[18:19], v[12:13] op_sel:[1,0]
	v_pk_fma_f32 v[28:29], v[22:23], v[24:25], v[28:29] op_sel_hi:[1,0,1]
	v_pk_fma_f32 v[12:13], v[48:49], v[18:19], v[12:13] op_sel_hi:[1,0,1]
	v_pk_add_f32 v[18:19], v[22:23], 0 neg_lo:[1,1] neg_hi:[1,1]
	v_pk_add_f32 v[10:11], v[10:11], v[28:29] neg_lo:[0,1] neg_hi:[0,1]
	ds_write2_b64 v9, v[10:11], v[24:25] offset0:128 offset1:136
	v_pk_mov_b32 v[10:11], v[22:23], v[18:19] op_sel:[1,0]
	v_pk_fma_f32 v[14:15], v[48:49], v[46:47], v[14:15] op_sel_hi:[1,0,1] neg_lo:[1,0,0] neg_hi:[1,0,0]
	v_pk_mul_f32 v[10:11], v[20:21], v[10:11] op_sel:[1,0]
	s_nop 0
	v_pk_fma_f32 v[10:11], v[22:23], v[20:21], v[10:11] op_sel_hi:[1,0,1] neg_lo:[1,0,0] neg_hi:[1,0,0]
	ds_write2_b64 v9, v[10:11], v[20:21] offset1:8
	v_xor_b32_e32 v10, 0x80000000, v15
	v_mov_b32_e32 v11, v14
	v_pk_mul_f32 v[10:11], v[26:27], v[10:11] op_sel:[1,0]
	s_nop 0
	v_pk_fma_f32 v[10:11], v[14:15], v[26:27], v[10:11] op_sel_hi:[1,0,1]
	s_nop 0
	v_pk_add_f32 v[10:11], v[16:17], v[10:11] neg_lo:[0,1] neg_hi:[0,1]
	ds_write2_b64 v9, v[14:15], v[10:11] offset0:71 offset1:79
	v_pk_add_f32 v[10:11], v[26:27], 0 neg_lo:[1,1] neg_hi:[1,1]
	s_nop 0
	v_pk_mov_b32 v[10:11], v[26:27], v[10:11] op_sel:[1,0]
	s_nop 0
	v_pk_mul_f32 v[10:11], v[12:13], v[10:11] op_sel:[1,0]
	s_nop 0
	v_pk_fma_f32 v[10:11], v[26:27], v[12:13], v[10:11] op_sel_hi:[1,0,1] neg_lo:[1,0,0] neg_hi:[1,0,0]
	ds_write2_b64 v9, v[12:13], v[10:11] offset0:199 offset1:207
.LBB190_8:
	s_or_b64 exec, exec, s[8:9]
	v_cmp_gt_u32_e64 s[8:9], 2, v0
	v_lshlrev_b32_e32 v10, 8, v0
	s_waitcnt lgkmcnt(0)
	; wave barrier
	s_and_saveexec_b64 s[10:11], s[8:9]
	s_cbranch_execz .LBB190_10
; %bb.9:
	ds_read2_b64 v[12:15], v10 offset0:128 offset1:144
	ds_read2_b64 v[16:19], v10 offset0:79 offset1:95
	s_mov_b64 s[12:13], 0x3f800000
	v_add_u32_e32 v49, 0x800, v10
	ds_read_b64 v[40:41], v10
	s_waitcnt lgkmcnt(2)
	v_xor_b32_e32 v20, 0x80000000, v15
	v_mov_b32_e32 v21, v14
	s_waitcnt lgkmcnt(1)
	v_pk_mul_f32 v[20:21], v[16:17], v[20:21] op_sel:[1,0]
	s_waitcnt lgkmcnt(0)
	v_xor_b32_e32 v44, 0x80000000, v41
	v_pk_fma_f32 v[20:21], v[14:15], v[16:17], v[20:21] op_sel_hi:[1,0,1]
	v_mov_b32_e32 v45, v40
	v_pk_add_f32 v[28:29], v[20:21], s[12:13] neg_lo:[1,0] neg_hi:[1,0]
	s_nop 0
	v_mul_f32_e32 v11, v29, v29
	v_fmac_f32_e32 v11, v28, v28
	v_div_scale_f32 v20, s[12:13], v11, v11, 1.0
	v_rcp_f32_e32 v24, v20
	v_div_scale_f32 v21, vcc, 1.0, v11, 1.0
	v_fma_f32 v22, -v20, v24, 1.0
	v_fmac_f32_e32 v24, v22, v24
	v_mul_f32_e32 v25, v21, v24
	v_fma_f32 v22, -v20, v25, v21
	v_fmac_f32_e32 v25, v22, v24
	v_fma_f32 v26, -v20, v25, v21
	ds_read2_b64 v[20:23], v49 offset0:16 offset1:79
	v_div_fmas_f32 v24, v26, v24, v25
	v_div_fixup_f32 v30, v24, v11, 1.0
	v_fma_f32 v11, v28, 0, -v29
	v_fmac_f32_e32 v28, 0, v29
	s_waitcnt lgkmcnt(0)
	v_pk_mul_f32 v[24:25], v[20:21], v[16:17] op_sel:[1,1] op_sel_hi:[1,0] neg_lo:[0,1]
	v_mov_b32_e32 v29, v11
	v_pk_fma_f32 v[24:25], v[16:17], v[20:21], v[24:25] op_sel_hi:[1,0,1]
	v_pk_mul_f32 v[50:51], v[28:29], v[30:31] op_sel_hi:[1,0]
	v_pk_add_f32 v[32:33], v[22:23], v[24:25] neg_lo:[0,1] neg_hi:[0,1]
	v_pk_mul_f32 v[24:25], v[14:15], v[22:23] op_sel:[1,1] op_sel_hi:[1,0] neg_lo:[0,1]
	v_xor_b32_e32 v34, 0x80000000, v33
	v_mov_b32_e32 v35, v32
	v_pk_fma_f32 v[22:23], v[22:23], v[14:15], v[24:25] op_sel_hi:[1,0,1]
	v_pk_mul_f32 v[28:29], v[50:51], v[34:35] op_sel:[1,0]
	v_pk_add_f32 v[36:37], v[20:21], v[22:23] neg_lo:[0,1] neg_hi:[0,1]
	v_add_u32_e32 v11, 0x400, v10
	v_xor_b32_e32 v38, 0x80000000, v37
	v_mov_b32_e32 v39, v36
	ds_read2_b64 v[20:23], v10 offset0:207 offset1:223
	ds_read2_b64 v[24:27], v10 offset1:16
	ds_read_b64 v[42:43], v10 offset:2808
	v_pk_fma_f32 v[32:33], v[32:33], v[50:51], v[28:29] op_sel_hi:[1,0,1]
	ds_read2_b64 v[28:31], v11 offset0:95 offset1:128
	v_pk_mul_f32 v[34:35], v[50:51], v[38:39] op_sel:[1,0]
	s_waitcnt lgkmcnt(3)
	v_xor_b32_e32 v46, 0x80000000, v23
	v_pk_fma_f32 v[34:35], v[36:37], v[50:51], v[34:35] op_sel_hi:[1,0,1]
	v_mov_b32_e32 v47, v22
	v_pk_mul_f32 v[36:37], v[34:35], v[44:45] op_sel:[1,0]
	s_waitcnt lgkmcnt(2)
	v_mul_f32_e64 v48, v27, -v17
	v_pk_fma_f32 v[36:37], v[40:41], v[34:35], v[36:37] op_sel_hi:[1,0,1]
	v_fmac_f32_e32 v48, v16, v26
	s_waitcnt lgkmcnt(0)
	v_pk_add_f32 v[30:31], v[30:31], v[36:37] neg_lo:[0,1] neg_hi:[0,1]
	ds_write2_b64 v49, v[30:31], v[34:35] offset1:16
	v_pk_mul_f32 v[30:31], v[32:33], v[46:47] op_sel:[1,0]
	v_mul_f32_e32 v16, v27, v16
	v_pk_fma_f32 v[22:23], v[22:23], v[32:33], v[30:31] op_sel_hi:[1,0,1]
	v_fmac_f32_e32 v16, v17, v26
	v_pk_add_f32 v[22:23], v[42:43], v[22:23] neg_lo:[0,1] neg_hi:[0,1]
	ds_write2_b64 v49, v[32:33], v[22:23] offset0:79 offset1:95
	v_pk_add_f32 v[22:23], v[50:51], 0 neg_lo:[1,1] neg_hi:[1,1]
	v_mul_f32_e32 v32, v15, v20
	v_pk_mov_b32 v[30:31], v[50:51], v[22:23] op_sel:[1,0]
	v_pk_mov_b32 v[22:23], v[22:23], v[50:51] op_sel:[1,0]
	v_fmac_f32_e32 v32, v21, v14
	v_pk_mul_f32 v[22:23], v[26:27], v[22:23] op_sel:[1,0]
	v_pk_mul_f32 v[16:17], v[30:31], v[16:17] op_sel_hi:[1,0]
	v_pk_fma_f32 v[22:23], v[50:51], v[26:27], v[22:23] op_sel_hi:[1,0,1]
	v_mul_f32_e64 v26, v15, -v21
	v_fmac_f32_e32 v26, v20, v14
	v_pk_mul_f32 v[30:31], v[30:31], v[32:33] op_sel_hi:[1,0]
	v_xor_b32_e32 v14, 0x80000000, v51
	v_pk_fma_f32 v[26:27], v[50:51], v[26:27], v[30:31] op_sel_hi:[1,0,1] neg_lo:[1,0,0] neg_hi:[1,0,0]
	v_mov_b32_e32 v15, v50
	v_pk_mul_f32 v[30:31], v[26:27], v[24:25] op_sel:[1,1] op_sel_hi:[1,0] neg_lo:[0,1]
	v_pk_mul_f32 v[14:15], v[20:21], v[14:15] op_sel:[1,0]
	v_pk_fma_f32 v[30:31], v[24:25], v[26:27], v[30:31] op_sel_hi:[1,0,1]
	v_pk_fma_f32 v[14:15], v[50:51], v[20:21], v[14:15] op_sel_hi:[1,0,1]
	v_pk_add_f32 v[20:21], v[24:25], 0 neg_lo:[1,1] neg_hi:[1,1]
	v_pk_add_f32 v[12:13], v[12:13], v[30:31] neg_lo:[0,1] neg_hi:[0,1]
	ds_write2_b64 v10, v[12:13], v[26:27] offset0:128 offset1:144
	v_pk_mov_b32 v[12:13], v[24:25], v[20:21] op_sel:[1,0]
	v_pk_fma_f32 v[16:17], v[50:51], v[48:49], v[16:17] op_sel_hi:[1,0,1] neg_lo:[1,0,0] neg_hi:[1,0,0]
	v_pk_mul_f32 v[12:13], v[22:23], v[12:13] op_sel:[1,0]
	s_nop 0
	v_pk_fma_f32 v[12:13], v[24:25], v[22:23], v[12:13] op_sel_hi:[1,0,1] neg_lo:[1,0,0] neg_hi:[1,0,0]
	ds_write2_b64 v10, v[12:13], v[22:23] offset1:16
	v_xor_b32_e32 v12, 0x80000000, v17
	v_mov_b32_e32 v13, v16
	v_pk_mul_f32 v[12:13], v[28:29], v[12:13] op_sel:[1,0]
	s_nop 0
	v_pk_fma_f32 v[12:13], v[16:17], v[28:29], v[12:13] op_sel_hi:[1,0,1]
	s_nop 0
	v_pk_add_f32 v[12:13], v[18:19], v[12:13] neg_lo:[0,1] neg_hi:[0,1]
	ds_write2_b64 v10, v[16:17], v[12:13] offset0:79 offset1:95
	v_pk_add_f32 v[12:13], v[28:29], 0 neg_lo:[1,1] neg_hi:[1,1]
	s_nop 0
	v_pk_mov_b32 v[12:13], v[28:29], v[12:13] op_sel:[1,0]
	s_nop 0
	v_pk_mul_f32 v[12:13], v[14:15], v[12:13] op_sel:[1,0]
	s_nop 0
	v_pk_fma_f32 v[12:13], v[28:29], v[14:15], v[12:13] op_sel_hi:[1,0,1] neg_lo:[1,0,0] neg_hi:[1,0,0]
	ds_write2_b64 v10, v[14:15], v[12:13] offset0:207 offset1:223
.LBB190_10:
	s_or_b64 exec, exec, s[10:11]
	s_mov_b32 s13, 0
	v_cmp_eq_u32_e32 vcc, 0, v0
	s_waitcnt lgkmcnt(0)
	; wave barrier
	s_and_saveexec_b64 s[10:11], vcc
	s_cbranch_execz .LBB190_12
; %bb.11:
	v_mov_b32_e32 v11, 0
	ds_read2_b64 v[12:15], v11 offset0:128 offset1:160
	ds_read2_b64 v[16:19], v11 offset0:95 offset1:127
	s_mov_b32 s12, 1.0
	v_mov_b32_e32 v48, 0x7f8
	s_waitcnt lgkmcnt(1)
	v_xor_b32_e32 v20, 0x80000000, v15
	v_mov_b32_e32 v21, v14
	s_waitcnt lgkmcnt(0)
	v_pk_mul_f32 v[20:21], v[16:17], v[20:21] op_sel:[1,0]
	s_nop 0
	v_pk_fma_f32 v[20:21], v[14:15], v[16:17], v[20:21] op_sel_hi:[1,0,1]
	s_nop 0
	v_pk_add_f32 v[30:31], v[20:21], s[12:13] neg_lo:[1,0] neg_hi:[1,0]
	s_nop 0
	v_mul_f32_e32 v24, v31, v31
	v_fmac_f32_e32 v24, v30, v30
	v_div_scale_f32 v20, s[12:13], v24, v24, 1.0
	v_rcp_f32_e32 v25, v20
	v_div_scale_f32 v21, vcc, 1.0, v24, 1.0
	s_movk_i32 s12, 0x800
	v_fma_f32 v22, -v20, v25, 1.0
	v_fmac_f32_e32 v25, v22, v25
	v_mul_f32_e32 v26, v21, v25
	v_fma_f32 v22, -v20, v26, v21
	v_fmac_f32_e32 v26, v22, v25
	v_add_u32_e64 v45, s12, 0
	v_fma_f32 v27, -v20, v26, v21
	ds_read2_b64 v[20:23], v45 offset0:32 offset1:95
	v_div_fmas_f32 v25, v27, v25, v26
	v_div_fixup_f32 v32, v25, v24, 1.0
	v_fma_f32 v33, v30, 0, -v31
	v_fmac_f32_e32 v30, 0, v31
	s_waitcnt lgkmcnt(0)
	v_pk_mul_f32 v[24:25], v[20:21], v[16:17] op_sel:[1,1] op_sel_hi:[1,0] neg_lo:[0,1]
	v_mov_b32_e32 v31, v33
	v_pk_fma_f32 v[24:25], v[16:17], v[20:21], v[24:25] op_sel_hi:[1,0,1]
	v_pk_mul_f32 v[46:47], v[30:31], v[32:33] op_sel_hi:[1,0]
	v_pk_add_f32 v[34:35], v[22:23], v[24:25] neg_lo:[0,1] neg_hi:[0,1]
	v_pk_mul_f32 v[24:25], v[14:15], v[22:23] op_sel:[1,1] op_sel_hi:[1,0] neg_lo:[0,1]
	v_xor_b32_e32 v36, 0x80000000, v35
	v_pk_fma_f32 v[26:27], v[22:23], v[14:15], v[24:25] op_sel_hi:[1,0,1]
	ds_read2_b64 v[22:25], v11 offset1:32
	v_mov_b32_e32 v37, v34
	v_pk_add_f32 v[20:21], v[20:21], v[26:27] neg_lo:[0,1] neg_hi:[0,1]
	ds_read2_b64 v[26:29], v11 offset0:223 offset1:255
	v_pk_mul_f32 v[30:31], v[46:47], v[36:37] op_sel:[1,0]
	v_xor_b32_e32 v38, 0x80000000, v21
	v_mov_b32_e32 v39, v20
	v_pk_fma_f32 v[34:35], v[34:35], v[46:47], v[30:31] op_sel_hi:[1,0,1]
	ds_read2_b64 v[30:33], v48 offset1:1
	v_pk_mul_f32 v[36:37], v[46:47], v[38:39] op_sel:[1,0]
	s_waitcnt lgkmcnt(2)
	v_xor_b32_e32 v40, 0x80000000, v23
	v_mov_b32_e32 v41, v22
	v_pk_fma_f32 v[20:21], v[20:21], v[46:47], v[36:37] op_sel_hi:[1,0,1]
	ds_read_b64 v[38:39], v11 offset:3064
	v_pk_mul_f32 v[36:37], v[20:21], v[40:41] op_sel:[1,0]
	s_waitcnt lgkmcnt(2)
	v_xor_b32_e32 v42, 0x80000000, v29
	v_mov_b32_e32 v43, v28
	v_pk_fma_f32 v[36:37], v[22:23], v[20:21], v[36:37] op_sel_hi:[1,0,1]
	v_mul_f32_e64 v44, v25, -v17
	s_waitcnt lgkmcnt(1)
	v_pk_add_f32 v[32:33], v[32:33], v[36:37] neg_lo:[0,1] neg_hi:[0,1]
	v_pk_mul_f32 v[36:37], v[34:35], v[42:43] op_sel:[1,0]
	v_fmac_f32_e32 v44, v16, v24
	v_pk_fma_f32 v[28:29], v[28:29], v[34:35], v[36:37] op_sel_hi:[1,0,1]
	v_mul_f32_e32 v16, v25, v16
	s_waitcnt lgkmcnt(0)
	v_pk_add_f32 v[28:29], v[38:39], v[28:29] neg_lo:[0,1] neg_hi:[0,1]
	ds_write2_b64 v45, v[34:35], v[28:29] offset0:95 offset1:127
	v_xor_b32_e32 v28, 0x80000000, v47
	v_mov_b32_e32 v29, v46
	v_pk_mul_f32 v[36:37], v[24:25], v[28:29] op_sel:[1,0]
	v_mul_f32_e32 v38, v15, v26
	v_fmac_f32_e32 v16, v17, v24
	v_xor_b32_e32 v35, 0x80000000, v46
	v_mov_b32_e32 v34, v47
	v_pk_fma_f32 v[24:25], v[46:47], v[24:25], v[36:37] op_sel_hi:[1,0,1]
	v_mul_f32_e64 v36, v15, -v27
	v_fmac_f32_e32 v38, v27, v14
	v_fmac_f32_e32 v36, v26, v14
	v_pk_mul_f32 v[14:15], v[34:35], v[38:39] op_sel_hi:[1,0]
	v_pk_mul_f32 v[28:29], v[26:27], v[28:29] op_sel:[1,0]
	s_movk_i32 s12, 0x400
	v_pk_mul_f32 v[16:17], v[34:35], v[16:17] op_sel_hi:[1,0]
	v_pk_fma_f32 v[14:15], v[46:47], v[36:37], v[14:15] op_sel_hi:[1,0,1] neg_lo:[1,0,0] neg_hi:[1,0,0]
	v_pk_fma_f32 v[26:27], v[46:47], v[26:27], v[28:29] op_sel_hi:[1,0,1]
	v_add_u32_e64 v28, s12, 0
	v_pk_fma_f32 v[16:17], v[46:47], v[44:45], v[16:17] op_sel_hi:[1,0,1] neg_lo:[1,0,0] neg_hi:[1,0,0]
	ds_write2_b64 v28, v[26:27], v[20:21] offset0:95 offset1:160
	v_pk_mul_f32 v[28:29], v[14:15], v[22:23] op_sel:[1,1] op_sel_hi:[1,0] neg_lo:[0,1]
	ds_write2_b64 v11, v[16:17], v[14:15] offset0:95 offset1:160
	v_xor_b32_e32 v21, 0x80000000, v22
	v_pk_fma_f32 v[14:15], v[22:23], v[14:15], v[28:29] op_sel_hi:[1,0,1]
	v_mov_b32_e32 v20, v23
	v_pk_add_f32 v[12:13], v[12:13], v[14:15] neg_lo:[0,1] neg_hi:[0,1]
	v_pk_mul_f32 v[14:15], v[24:25], v[20:21] op_sel:[1,0]
	s_nop 0
	v_pk_fma_f32 v[14:15], v[22:23], v[24:25], v[14:15] op_sel_hi:[1,0,1] neg_lo:[1,0,0] neg_hi:[1,0,0]
	ds_write2_b64 v11, v[14:15], v[24:25] offset1:32
	v_xor_b32_e32 v14, 0x80000000, v17
	v_mov_b32_e32 v15, v16
	v_pk_mul_f32 v[14:15], v[30:31], v[14:15] op_sel:[1,0]
	s_nop 0
	v_pk_fma_f32 v[14:15], v[16:17], v[30:31], v[14:15] op_sel_hi:[1,0,1]
	s_nop 0
	v_pk_add_f32 v[14:15], v[18:19], v[14:15] neg_lo:[0,1] neg_hi:[0,1]
	ds_write2_b64 v11, v[14:15], v[12:13] offset0:127 offset1:128
	v_xor_b32_e32 v13, 0x80000000, v30
	v_mov_b32_e32 v12, v31
	v_pk_mul_f32 v[12:13], v[26:27], v[12:13] op_sel:[1,0]
	s_nop 0
	v_pk_fma_f32 v[12:13], v[30:31], v[26:27], v[12:13] op_sel_hi:[1,0,1] neg_lo:[1,0,0] neg_hi:[1,0,0]
	ds_write2_b64 v48, v[12:13], v[32:33] offset1:1
.LBB190_12:
	s_or_b64 exec, exec, s[10:11]
	s_waitcnt lgkmcnt(0)
	; wave barrier
	s_and_saveexec_b64 s[10:11], s[8:9]
	s_cbranch_execz .LBB190_14
; %bb.13:
	v_max_u32_e32 v11, 1, v7
	ds_read2_b64 v[12:15], v10 offset0:144 offset1:207
	v_lshlrev_b32_e32 v11, 3, v11
	ds_read_b64 v[24:25], v11 offset:2552
	v_add_u32_e32 v16, 0x800, v10
	v_min_u32_e32 v20, 31, v7
	ds_read2_b64 v[16:19], v16 offset0:16 offset1:79
	v_lshlrev_b32_e32 v30, 3, v20
	ds_read2_b64 v[20:23], v10 offset0:16 offset1:79
	ds_read_b64 v[28:29], v30 offset:2304
	s_waitcnt lgkmcnt(4)
	v_xor_b32_e32 v26, 0x80000000, v15
	v_mov_b32_e32 v27, v14
	s_waitcnt lgkmcnt(3)
	v_pk_mul_f32 v[26:27], v[24:25], v[26:27] op_sel:[1,0]
	s_nop 0
	v_pk_fma_f32 v[14:15], v[14:15], v[24:25], v[26:27] op_sel_hi:[1,0,1]
	s_waitcnt lgkmcnt(2)
	v_pk_add_f32 v[14:15], v[18:19], v[14:15] neg_lo:[0,1] neg_hi:[0,1]
	s_waitcnt lgkmcnt(1)
	v_xor_b32_e32 v18, 0x80000000, v23
	v_mov_b32_e32 v19, v22
	s_waitcnt lgkmcnt(0)
	v_pk_mul_f32 v[18:19], v[28:29], v[18:19] op_sel:[1,0]
	s_nop 0
	v_pk_fma_f32 v[18:19], v[22:23], v[28:29], v[18:19] op_sel_hi:[1,0,1]
	s_nop 0
	v_pk_add_f32 v[14:15], v[14:15], v[18:19] neg_lo:[0,1] neg_hi:[0,1]
	ds_write_b64 v10, v[14:15] offset:2680
	ds_read_b64 v[14:15], v11 offset:2552
	v_xor_b32_e32 v18, 0x80000000, v13
	v_mov_b32_e32 v19, v12
	s_waitcnt lgkmcnt(0)
	v_pk_mul_f32 v[18:19], v[14:15], v[18:19] op_sel:[1,0]
	s_nop 0
	v_pk_fma_f32 v[12:13], v[12:13], v[14:15], v[18:19] op_sel_hi:[1,0,1]
	s_nop 0
	v_pk_add_f32 v[12:13], v[16:17], v[12:13] neg_lo:[0,1] neg_hi:[0,1]
	ds_write_b64 v10, v[12:13] offset:2176
	ds_read_b64 v[14:15], v30 offset:2304
	v_xor_b32_e32 v16, 0x80000000, v21
	v_mov_b32_e32 v17, v20
	s_waitcnt lgkmcnt(0)
	v_pk_mul_f32 v[16:17], v[14:15], v[16:17] op_sel:[1,0]
	s_nop 0
	v_pk_fma_f32 v[14:15], v[20:21], v[14:15], v[16:17] op_sel_hi:[1,0,1]
	s_nop 0
	v_pk_add_f32 v[12:13], v[12:13], v[14:15] neg_lo:[0,1] neg_hi:[0,1]
	ds_write_b64 v10, v[12:13] offset:2176
.LBB190_14:
	s_or_b64 exec, exec, s[10:11]
	v_lshlrev_b32_e32 v10, 4, v0
	s_waitcnt lgkmcnt(0)
	; wave barrier
	s_and_saveexec_b64 s[8:9], s[6:7]
	s_cbranch_execz .LBB190_16
; %bb.15:
	v_max_u32_e32 v11, 1, v10
	ds_read2_b64 v[12:15], v9 offset0:136 offset1:199
	v_lshlrev_b32_e32 v11, 3, v11
	ds_read_b64 v[24:25], v11 offset:2552
	v_add_u32_e32 v16, 0x800, v9
	v_min_u32_e32 v20, 47, v10
	ds_read2_b64 v[16:19], v16 offset0:8 offset1:71
	v_lshlrev_b32_e32 v30, 3, v20
	ds_read2_b64 v[20:23], v9 offset0:8 offset1:71
	ds_read_b64 v[28:29], v30 offset:2176
	s_waitcnt lgkmcnt(4)
	v_xor_b32_e32 v26, 0x80000000, v15
	v_mov_b32_e32 v27, v14
	s_waitcnt lgkmcnt(3)
	v_pk_mul_f32 v[26:27], v[24:25], v[26:27] op_sel:[1,0]
	s_nop 0
	v_pk_fma_f32 v[14:15], v[14:15], v[24:25], v[26:27] op_sel_hi:[1,0,1]
	s_waitcnt lgkmcnt(2)
	v_pk_add_f32 v[14:15], v[18:19], v[14:15] neg_lo:[0,1] neg_hi:[0,1]
	s_waitcnt lgkmcnt(1)
	v_xor_b32_e32 v18, 0x80000000, v23
	v_mov_b32_e32 v19, v22
	s_waitcnt lgkmcnt(0)
	v_pk_mul_f32 v[18:19], v[28:29], v[18:19] op_sel:[1,0]
	s_nop 0
	v_pk_fma_f32 v[18:19], v[22:23], v[28:29], v[18:19] op_sel_hi:[1,0,1]
	s_nop 0
	v_pk_add_f32 v[14:15], v[14:15], v[18:19] neg_lo:[0,1] neg_hi:[0,1]
	ds_write_b64 v9, v[14:15] offset:2616
	ds_read_b64 v[14:15], v11 offset:2552
	v_xor_b32_e32 v18, 0x80000000, v13
	v_mov_b32_e32 v19, v12
	s_waitcnt lgkmcnt(0)
	v_pk_mul_f32 v[18:19], v[14:15], v[18:19] op_sel:[1,0]
	s_nop 0
	v_pk_fma_f32 v[12:13], v[12:13], v[14:15], v[18:19] op_sel_hi:[1,0,1]
	s_nop 0
	v_pk_add_f32 v[12:13], v[16:17], v[12:13] neg_lo:[0,1] neg_hi:[0,1]
	ds_write_b64 v9, v[12:13] offset:2112
	ds_read_b64 v[14:15], v30 offset:2176
	v_xor_b32_e32 v16, 0x80000000, v21
	v_mov_b32_e32 v17, v20
	s_waitcnt lgkmcnt(0)
	v_pk_mul_f32 v[16:17], v[14:15], v[16:17] op_sel:[1,0]
	s_nop 0
	v_pk_fma_f32 v[14:15], v[20:21], v[14:15], v[16:17] op_sel_hi:[1,0,1]
	s_nop 0
	v_pk_add_f32 v[12:13], v[12:13], v[14:15] neg_lo:[0,1] neg_hi:[0,1]
	ds_write_b64 v9, v[12:13] offset:2112
.LBB190_16:
	s_or_b64 exec, exec, s[8:9]
	s_waitcnt lgkmcnt(0)
	; wave barrier
	s_and_saveexec_b64 s[6:7], s[4:5]
	s_cbranch_execz .LBB190_18
; %bb.17:
	v_max_u32_e32 v9, 1, v6
	ds_read2_b64 v[12:15], v8 offset0:132 offset1:195
	v_lshlrev_b32_e32 v9, 3, v9
	ds_read_b64 v[24:25], v9 offset:2552
	v_add_u32_e32 v11, 0x800, v8
	v_min_u32_e32 v6, 55, v6
	ds_read2_b64 v[16:19], v11 offset0:4 offset1:67
	v_lshlrev_b32_e32 v6, 3, v6
	ds_read2_b64 v[20:23], v8 offset0:4 offset1:67
	ds_read_b64 v[28:29], v6 offset:2112
	s_waitcnt lgkmcnt(4)
	v_xor_b32_e32 v26, 0x80000000, v15
	v_mov_b32_e32 v27, v14
	s_waitcnt lgkmcnt(3)
	v_pk_mul_f32 v[26:27], v[24:25], v[26:27] op_sel:[1,0]
	s_nop 0
	v_pk_fma_f32 v[14:15], v[14:15], v[24:25], v[26:27] op_sel_hi:[1,0,1]
	s_waitcnt lgkmcnt(2)
	v_pk_add_f32 v[14:15], v[18:19], v[14:15] neg_lo:[0,1] neg_hi:[0,1]
	s_waitcnt lgkmcnt(1)
	v_xor_b32_e32 v18, 0x80000000, v23
	v_mov_b32_e32 v19, v22
	s_waitcnt lgkmcnt(0)
	v_pk_mul_f32 v[18:19], v[28:29], v[18:19] op_sel:[1,0]
	s_nop 0
	v_pk_fma_f32 v[18:19], v[22:23], v[28:29], v[18:19] op_sel_hi:[1,0,1]
	s_nop 0
	v_pk_add_f32 v[14:15], v[14:15], v[18:19] neg_lo:[0,1] neg_hi:[0,1]
	ds_write_b64 v8, v[14:15] offset:2584
	ds_read_b64 v[14:15], v9 offset:2552
	v_xor_b32_e32 v18, 0x80000000, v13
	v_mov_b32_e32 v19, v12
	s_waitcnt lgkmcnt(0)
	v_pk_mul_f32 v[18:19], v[14:15], v[18:19] op_sel:[1,0]
	s_nop 0
	v_pk_fma_f32 v[12:13], v[12:13], v[14:15], v[18:19] op_sel_hi:[1,0,1]
	s_nop 0
	v_pk_add_f32 v[12:13], v[16:17], v[12:13] neg_lo:[0,1] neg_hi:[0,1]
	ds_write_b64 v8, v[12:13] offset:2080
	ds_read_b64 v[14:15], v6 offset:2112
	v_xor_b32_e32 v16, 0x80000000, v21
	v_mov_b32_e32 v17, v20
	s_waitcnt lgkmcnt(0)
	v_pk_mul_f32 v[16:17], v[14:15], v[16:17] op_sel:[1,0]
	s_nop 0
	v_pk_fma_f32 v[14:15], v[20:21], v[14:15], v[16:17] op_sel_hi:[1,0,1]
	s_nop 0
	v_pk_add_f32 v[12:13], v[12:13], v[14:15] neg_lo:[0,1] neg_hi:[0,1]
	ds_write_b64 v8, v[12:13] offset:2080
.LBB190_18:
	s_or_b64 exec, exec, s[6:7]
	s_waitcnt lgkmcnt(0)
	; wave barrier
	s_and_saveexec_b64 s[4:5], s[2:3]
	s_cbranch_execz .LBB190_20
; %bb.19:
	v_lshlrev_b32_e32 v6, 2, v0
	v_max_u32_e32 v8, 1, v6
	ds_read2_b64 v[12:15], v7 offset0:130 offset1:193
	v_lshlrev_b32_e32 v11, 3, v8
	ds_read_b64 v[8:9], v11 offset:2552
	v_min_u32_e32 v6, 59, v6
	v_add_u32_e32 v16, 0x800, v7
	ds_read2_b64 v[16:19], v16 offset0:2 offset1:65
	v_lshlrev_b32_e32 v6, 3, v6
	ds_read2_b64 v[20:23], v7 offset0:2 offset1:65
	ds_read_b64 v[26:27], v6 offset:2080
	s_waitcnt lgkmcnt(4)
	v_xor_b32_e32 v24, 0x80000000, v15
	v_mov_b32_e32 v25, v14
	s_waitcnt lgkmcnt(3)
	v_pk_mul_f32 v[24:25], v[8:9], v[24:25] op_sel:[1,0]
	s_nop 0
	v_pk_fma_f32 v[8:9], v[14:15], v[8:9], v[24:25] op_sel_hi:[1,0,1]
	s_waitcnt lgkmcnt(1)
	v_xor_b32_e32 v14, 0x80000000, v23
	v_mov_b32_e32 v15, v22
	s_waitcnt lgkmcnt(0)
	v_pk_mul_f32 v[14:15], v[26:27], v[14:15] op_sel:[1,0]
	v_pk_add_f32 v[8:9], v[18:19], v[8:9] neg_lo:[0,1] neg_hi:[0,1]
	v_pk_fma_f32 v[14:15], v[22:23], v[26:27], v[14:15] op_sel_hi:[1,0,1]
	s_nop 0
	v_pk_add_f32 v[8:9], v[8:9], v[14:15] neg_lo:[0,1] neg_hi:[0,1]
	ds_write_b64 v7, v[8:9] offset:2568
	ds_read_b64 v[8:9], v11 offset:2552
	v_xor_b32_e32 v14, 0x80000000, v13
	v_mov_b32_e32 v15, v12
	s_waitcnt lgkmcnt(0)
	v_pk_mul_f32 v[14:15], v[8:9], v[14:15] op_sel:[1,0]
	s_nop 0
	v_pk_fma_f32 v[8:9], v[12:13], v[8:9], v[14:15] op_sel_hi:[1,0,1]
	v_xor_b32_e32 v14, 0x80000000, v21
	v_pk_add_f32 v[8:9], v[16:17], v[8:9] neg_lo:[0,1] neg_hi:[0,1]
	ds_write_b64 v7, v[8:9] offset:2064
	ds_read_b64 v[12:13], v6 offset:2080
	v_mov_b32_e32 v15, v20
	s_waitcnt lgkmcnt(0)
	v_pk_mul_f32 v[14:15], v[12:13], v[14:15] op_sel:[1,0]
	s_nop 0
	v_pk_fma_f32 v[12:13], v[20:21], v[12:13], v[14:15] op_sel_hi:[1,0,1]
	s_nop 0
	v_pk_add_f32 v[8:9], v[8:9], v[12:13] neg_lo:[0,1] neg_hi:[0,1]
	ds_write_b64 v7, v[8:9] offset:2064
.LBB190_20:
	s_or_b64 exec, exec, s[4:5]
	s_waitcnt lgkmcnt(0)
	; wave barrier
	s_and_saveexec_b64 s[2:3], s[0:1]
	s_cbranch_execz .LBB190_22
; %bb.21:
	v_lshlrev_b32_e32 v0, 1, v0
	v_max_u32_e32 v11, 1, v0
	ds_read2_b64 v[6:9], v10 offset0:129 offset1:192
	v_lshlrev_b32_e32 v11, 3, v11
	ds_read_b64 v[20:21], v11 offset:2552
	v_add_u32_e32 v12, 0x800, v10
	v_min_u32_e32 v0, 61, v0
	ds_read2_b64 v[12:15], v12 offset0:1 offset1:64
	v_lshlrev_b32_e32 v0, 3, v0
	ds_read2_b64 v[16:19], v10 offset0:1 offset1:64
	ds_read_b64 v[24:25], v0 offset:2064
	s_waitcnt lgkmcnt(4)
	v_xor_b32_e32 v22, 0x80000000, v9
	v_mov_b32_e32 v23, v8
	s_waitcnt lgkmcnt(3)
	v_pk_mul_f32 v[22:23], v[20:21], v[22:23] op_sel:[1,0]
	s_nop 0
	v_pk_fma_f32 v[8:9], v[8:9], v[20:21], v[22:23] op_sel_hi:[1,0,1]
	s_waitcnt lgkmcnt(2)
	v_pk_add_f32 v[8:9], v[14:15], v[8:9] neg_lo:[0,1] neg_hi:[0,1]
	s_waitcnt lgkmcnt(1)
	v_xor_b32_e32 v14, 0x80000000, v19
	v_mov_b32_e32 v15, v18
	s_waitcnt lgkmcnt(0)
	v_pk_mul_f32 v[14:15], v[24:25], v[14:15] op_sel:[1,0]
	s_nop 0
	v_pk_fma_f32 v[14:15], v[18:19], v[24:25], v[14:15] op_sel_hi:[1,0,1]
	s_nop 0
	v_pk_add_f32 v[8:9], v[8:9], v[14:15] neg_lo:[0,1] neg_hi:[0,1]
	ds_write_b64 v10, v[8:9] offset:2560
	ds_read_b64 v[8:9], v11 offset:2552
	v_xor_b32_e32 v14, 0x80000000, v7
	v_mov_b32_e32 v15, v6
	s_waitcnt lgkmcnt(0)
	v_pk_mul_f32 v[14:15], v[8:9], v[14:15] op_sel:[1,0]
	s_nop 0
	v_pk_fma_f32 v[6:7], v[6:7], v[8:9], v[14:15] op_sel_hi:[1,0,1]
	s_nop 0
	v_pk_add_f32 v[6:7], v[12:13], v[6:7] neg_lo:[0,1] neg_hi:[0,1]
	ds_write_b64 v10, v[6:7] offset:2056
	ds_read_b64 v[8:9], v0 offset:2064
	v_xor_b32_e32 v12, 0x80000000, v17
	v_mov_b32_e32 v13, v16
	s_waitcnt lgkmcnt(0)
	v_pk_mul_f32 v[12:13], v[8:9], v[12:13] op_sel:[1,0]
	s_nop 0
	v_pk_fma_f32 v[8:9], v[16:17], v[8:9], v[12:13] op_sel_hi:[1,0,1]
	s_nop 0
	v_pk_add_f32 v[6:7], v[6:7], v[8:9] neg_lo:[0,1] neg_hi:[0,1]
	ds_write_b64 v10, v[6:7] offset:2056
.LBB190_22:
	s_or_b64 exec, exec, s[2:3]
	s_waitcnt lgkmcnt(0)
	; wave barrier
	ds_read2st64_b64 v[6:9], v1 offset1:1
	s_waitcnt lgkmcnt(0)
	global_store_dwordx2 v[2:3], v[6:7], off
	global_store_dwordx2 v[4:5], v[8:9], off
	s_endpgm
	.section	.rodata,"a",@progbits
	.p2align	6, 0x0
	.amdhsa_kernel _ZN9rocsparseL34gtsv_solve_spike_grid_level_kernelILj64E21rocsparse_complex_numIfEEEviiiPT0_PKS3_S6_
		.amdhsa_group_segment_fixed_size 3072
		.amdhsa_private_segment_fixed_size 0
		.amdhsa_kernarg_size 40
		.amdhsa_user_sgpr_count 2
		.amdhsa_user_sgpr_dispatch_ptr 0
		.amdhsa_user_sgpr_queue_ptr 0
		.amdhsa_user_sgpr_kernarg_segment_ptr 1
		.amdhsa_user_sgpr_dispatch_id 0
		.amdhsa_user_sgpr_kernarg_preload_length 0
		.amdhsa_user_sgpr_kernarg_preload_offset 0
		.amdhsa_user_sgpr_private_segment_size 0
		.amdhsa_uses_dynamic_stack 0
		.amdhsa_enable_private_segment 0
		.amdhsa_system_sgpr_workgroup_id_x 1
		.amdhsa_system_sgpr_workgroup_id_y 1
		.amdhsa_system_sgpr_workgroup_id_z 0
		.amdhsa_system_sgpr_workgroup_info 0
		.amdhsa_system_vgpr_workitem_id 0
		.amdhsa_next_free_vgpr 52
		.amdhsa_next_free_sgpr 14
		.amdhsa_accum_offset 52
		.amdhsa_reserve_vcc 1
		.amdhsa_float_round_mode_32 0
		.amdhsa_float_round_mode_16_64 0
		.amdhsa_float_denorm_mode_32 3
		.amdhsa_float_denorm_mode_16_64 3
		.amdhsa_dx10_clamp 1
		.amdhsa_ieee_mode 1
		.amdhsa_fp16_overflow 0
		.amdhsa_tg_split 0
		.amdhsa_exception_fp_ieee_invalid_op 0
		.amdhsa_exception_fp_denorm_src 0
		.amdhsa_exception_fp_ieee_div_zero 0
		.amdhsa_exception_fp_ieee_overflow 0
		.amdhsa_exception_fp_ieee_underflow 0
		.amdhsa_exception_fp_ieee_inexact 0
		.amdhsa_exception_int_div_zero 0
	.end_amdhsa_kernel
	.section	.text._ZN9rocsparseL34gtsv_solve_spike_grid_level_kernelILj64E21rocsparse_complex_numIfEEEviiiPT0_PKS3_S6_,"axG",@progbits,_ZN9rocsparseL34gtsv_solve_spike_grid_level_kernelILj64E21rocsparse_complex_numIfEEEviiiPT0_PKS3_S6_,comdat
.Lfunc_end190:
	.size	_ZN9rocsparseL34gtsv_solve_spike_grid_level_kernelILj64E21rocsparse_complex_numIfEEEviiiPT0_PKS3_S6_, .Lfunc_end190-_ZN9rocsparseL34gtsv_solve_spike_grid_level_kernelILj64E21rocsparse_complex_numIfEEEviiiPT0_PKS3_S6_
                                        ; -- End function
	.set _ZN9rocsparseL34gtsv_solve_spike_grid_level_kernelILj64E21rocsparse_complex_numIfEEEviiiPT0_PKS3_S6_.num_vgpr, 52
	.set _ZN9rocsparseL34gtsv_solve_spike_grid_level_kernelILj64E21rocsparse_complex_numIfEEEviiiPT0_PKS3_S6_.num_agpr, 0
	.set _ZN9rocsparseL34gtsv_solve_spike_grid_level_kernelILj64E21rocsparse_complex_numIfEEEviiiPT0_PKS3_S6_.numbered_sgpr, 14
	.set _ZN9rocsparseL34gtsv_solve_spike_grid_level_kernelILj64E21rocsparse_complex_numIfEEEviiiPT0_PKS3_S6_.num_named_barrier, 0
	.set _ZN9rocsparseL34gtsv_solve_spike_grid_level_kernelILj64E21rocsparse_complex_numIfEEEviiiPT0_PKS3_S6_.private_seg_size, 0
	.set _ZN9rocsparseL34gtsv_solve_spike_grid_level_kernelILj64E21rocsparse_complex_numIfEEEviiiPT0_PKS3_S6_.uses_vcc, 1
	.set _ZN9rocsparseL34gtsv_solve_spike_grid_level_kernelILj64E21rocsparse_complex_numIfEEEviiiPT0_PKS3_S6_.uses_flat_scratch, 0
	.set _ZN9rocsparseL34gtsv_solve_spike_grid_level_kernelILj64E21rocsparse_complex_numIfEEEviiiPT0_PKS3_S6_.has_dyn_sized_stack, 0
	.set _ZN9rocsparseL34gtsv_solve_spike_grid_level_kernelILj64E21rocsparse_complex_numIfEEEviiiPT0_PKS3_S6_.has_recursion, 0
	.set _ZN9rocsparseL34gtsv_solve_spike_grid_level_kernelILj64E21rocsparse_complex_numIfEEEviiiPT0_PKS3_S6_.has_indirect_call, 0
	.section	.AMDGPU.csdata,"",@progbits
; Kernel info:
; codeLenInByte = 6584
; TotalNumSgprs: 20
; NumVgprs: 52
; NumAgprs: 0
; TotalNumVgprs: 52
; ScratchSize: 0
; MemoryBound: 0
; FloatMode: 240
; IeeeMode: 1
; LDSByteSize: 3072 bytes/workgroup (compile time only)
; SGPRBlocks: 2
; VGPRBlocks: 6
; NumSGPRsForWavesPerEU: 20
; NumVGPRsForWavesPerEU: 52
; AccumOffset: 52
; Occupancy: 8
; WaveLimiterHint : 1
; COMPUTE_PGM_RSRC2:SCRATCH_EN: 0
; COMPUTE_PGM_RSRC2:USER_SGPR: 2
; COMPUTE_PGM_RSRC2:TRAP_HANDLER: 0
; COMPUTE_PGM_RSRC2:TGID_X_EN: 1
; COMPUTE_PGM_RSRC2:TGID_Y_EN: 1
; COMPUTE_PGM_RSRC2:TGID_Z_EN: 0
; COMPUTE_PGM_RSRC2:TIDIG_COMP_CNT: 0
; COMPUTE_PGM_RSRC3_GFX90A:ACCUM_OFFSET: 12
; COMPUTE_PGM_RSRC3_GFX90A:TG_SPLIT: 0
	.section	.text._ZN9rocsparseL34gtsv_solve_spike_grid_level_kernelILj128E21rocsparse_complex_numIfEEEviiiPT0_PKS3_S6_,"axG",@progbits,_ZN9rocsparseL34gtsv_solve_spike_grid_level_kernelILj128E21rocsparse_complex_numIfEEEviiiPT0_PKS3_S6_,comdat
	.globl	_ZN9rocsparseL34gtsv_solve_spike_grid_level_kernelILj128E21rocsparse_complex_numIfEEEviiiPT0_PKS3_S6_ ; -- Begin function _ZN9rocsparseL34gtsv_solve_spike_grid_level_kernelILj128E21rocsparse_complex_numIfEEEviiiPT0_PKS3_S6_
	.p2align	8
	.type	_ZN9rocsparseL34gtsv_solve_spike_grid_level_kernelILj128E21rocsparse_complex_numIfEEEviiiPT0_PKS3_S6_,@function
_ZN9rocsparseL34gtsv_solve_spike_grid_level_kernelILj128E21rocsparse_complex_numIfEEEviiiPT0_PKS3_S6_: ; @_ZN9rocsparseL34gtsv_solve_spike_grid_level_kernelILj128E21rocsparse_complex_numIfEEEviiiPT0_PKS3_S6_
; %bb.0:
	s_load_dwordx4 s[4:7], s[0:1], 0x10
	s_load_dwordx2 s[8:9], s[0:1], 0x20
	v_lshl_or_b32 v4, s3, 8, v0
	v_mov_b32_e32 v5, 0
	v_lshlrev_b32_e32 v6, 3, v0
	s_waitcnt lgkmcnt(0)
	v_lshl_add_u64 v[2:3], v[4:5], 3, s[4:5]
	v_or_b32_e32 v4, 0x80, v4
	global_load_dwordx2 v[8:9], v6, s[6:7]
	global_load_dwordx2 v[10:11], v6, s[6:7] offset:1024
	global_load_dwordx2 v[12:13], v6, s[8:9]
	global_load_dwordx2 v[14:15], v6, s[8:9] offset:1024
	v_lshl_add_u64 v[4:5], v[4:5], 3, s[4:5]
	global_load_dwordx2 v[16:17], v[2:3], off
	global_load_dwordx2 v[18:19], v[4:5], off
	v_or_b32_e32 v1, 0x1000, v6
	v_cmp_gt_u32_e64 s[0:1], 64, v0
	s_waitcnt vmcnt(4)
	ds_write2st64_b64 v6, v[8:9], v[10:11] offset0:4 offset1:6
	s_waitcnt vmcnt(2)
	ds_write2st64_b64 v6, v[12:13], v[14:15] offset1:2
	s_waitcnt vmcnt(0)
	ds_write2st64_b64 v6, v[16:17], v[18:19] offset0:8 offset1:10
	s_waitcnt lgkmcnt(0)
	s_barrier
	s_and_saveexec_b64 s[2:3], s[0:1]
	s_cbranch_execz .LBB191_2
; %bb.1:
	v_or_b32_e32 v7, 0x800, v6
	v_add_u32_e32 v7, v7, v6
	ds_read2_b64 v[8:11], v7 offset1:1
	v_add_u32_e32 v47, v6, v6
	ds_read_b128 v[12:15], v47 offset:1024
	ds_read2_b64 v[16:19], v7 offset0:128 offset1:129
	s_mov_b64 s[4:5], 0x3f800000
	v_add_u32_e32 v49, v1, v6
	s_waitcnt lgkmcnt(2)
	v_xor_b32_e32 v24, 0x80000000, v11
	v_mov_b32_e32 v25, v10
	s_waitcnt lgkmcnt(1)
	v_pk_mul_f32 v[24:25], v[12:13], v[24:25] op_sel:[1,0]
	ds_read_b128 v[20:23], v49
	v_pk_fma_f32 v[12:13], v[10:11], v[12:13], v[24:25] op_sel_hi:[1,0,1]
	s_waitcnt lgkmcnt(1)
	v_xor_b32_e32 v42, 0x80000000, v19
	v_pk_add_f32 v[12:13], v[12:13], s[4:5] neg_lo:[1,0] neg_hi:[1,0]
	v_mov_b32_e32 v43, v18
	v_mul_f32_e32 v24, v13, v13
	v_fmac_f32_e32 v24, v12, v12
	v_div_scale_f32 v25, s[4:5], v24, v24, 1.0
	v_rcp_f32_e32 v26, v25
	v_fma_f32 v37, v12, 0, -v13
	v_fmac_f32_e32 v12, 0, v13
	v_mov_b32_e32 v13, v37
	v_fma_f32 v27, -v25, v26, 1.0
	v_fmac_f32_e32 v26, v27, v26
	v_div_scale_f32 v27, vcc, 1.0, v24, 1.0
	v_mul_f32_e32 v28, v27, v26
	v_fma_f32 v29, -v25, v28, v27
	v_fmac_f32_e32 v28, v29, v26
	v_fma_f32 v25, -v25, v28, v27
	v_div_fmas_f32 v25, v25, v26, v28
	v_div_fixup_f32 v36, v25, v24, 1.0
	ds_read2st64_b64 v[24:27], v47 offset1:2
	ds_read2_b64 v[28:31], v49 offset0:128 offset1:129
	s_waitcnt lgkmcnt(2)
	v_mov_b32_e32 v32, v23
	v_pk_mul_f32 v[36:37], v[12:13], v[36:37] op_sel_hi:[1,0]
	ds_read_b64 v[44:45], v7 offset:1032
	s_waitcnt lgkmcnt(2)
	v_pk_mul_f32 v[32:33], v[32:33], v[26:27] op_sel:[0,1] op_sel_hi:[0,0] neg_lo:[0,1]
	v_pk_fma_f32 v[32:33], v[26:27], v[22:23], v[32:33] op_sel_hi:[1,0,1]
	s_waitcnt lgkmcnt(1)
	v_pk_add_f32 v[38:39], v[28:29], v[32:33] neg_lo:[0,1] neg_hi:[0,1]
	v_pk_mul_f32 v[32:33], v[10:11], v[28:29] op_sel:[1,1] op_sel_hi:[1,0] neg_lo:[0,1]
	v_xor_b32_e32 v40, 0x80000000, v39
	v_pk_fma_f32 v[28:29], v[28:29], v[10:11], v[32:33] op_sel_hi:[1,0,1]
	ds_read_b128 v[32:35], v47
	v_mov_b32_e32 v41, v38
	v_pk_add_f32 v[22:23], v[22:23], v[28:29] neg_lo:[0,1] neg_hi:[0,1]
	v_pk_mul_f32 v[12:13], v[36:37], v[40:41] op_sel:[1,0]
	v_xor_b32_e32 v28, 0x80000000, v23
	v_mov_b32_e32 v29, v22
	s_waitcnt lgkmcnt(0)
	v_mul_f32_e64 v46, v35, -v27
	v_mul_f32_e32 v48, v35, v26
	v_fmac_f32_e32 v46, v26, v34
	v_fmac_f32_e32 v48, v27, v34
	v_pk_fma_f32 v[26:27], v[38:39], v[36:37], v[12:13] op_sel_hi:[1,0,1]
	v_pk_mul_f32 v[12:13], v[36:37], v[28:29] op_sel:[1,0]
	s_nop 0
	v_pk_fma_f32 v[22:23], v[22:23], v[36:37], v[12:13] op_sel_hi:[1,0,1]
	s_nop 0
	v_pk_mul_f32 v[12:13], v[22:23], v[32:33] op_sel:[1,1] op_sel_hi:[1,0] neg_lo:[0,1]
	s_nop 0
	v_pk_fma_f32 v[12:13], v[32:33], v[22:23], v[12:13] op_sel_hi:[1,0,1]
	s_nop 0
	v_pk_add_f32 v[20:21], v[20:21], v[12:13] neg_lo:[0,1] neg_hi:[0,1]
	v_pk_mul_f32 v[12:13], v[26:27], v[42:43] op_sel:[1,0]
	ds_write_b128 v49, v[20:23]
	v_pk_fma_f32 v[12:13], v[18:19], v[26:27], v[12:13] op_sel_hi:[1,0,1]
	v_pk_add_f32 v[18:19], v[36:37], 0 neg_lo:[1,1] neg_hi:[1,1]
	v_pk_add_f32 v[28:29], v[30:31], v[12:13] neg_lo:[0,1] neg_hi:[0,1]
	ds_write_b128 v49, v[26:29] offset:1024
	v_pk_mov_b32 v[20:21], v[36:37], v[18:19] op_sel:[1,0]
	v_mov_b32_e32 v22, v35
	v_pk_mov_b32 v[18:19], v[18:19], v[36:37] op_sel:[1,0]
	v_mul_f32_e32 v26, v11, v16
	v_pk_mul_f32 v[18:19], v[22:23], v[18:19] op_sel_hi:[0,1]
	v_mul_f32_e64 v22, v11, -v17
	v_fmac_f32_e32 v26, v17, v10
	v_fmac_f32_e32 v22, v16, v10
	v_pk_mul_f32 v[10:11], v[20:21], v[26:27] op_sel_hi:[1,0]
	v_xor_b32_e32 v28, 0x80000000, v37
	v_pk_fma_f32 v[10:11], v[36:37], v[22:23], v[10:11] op_sel_hi:[1,0,1] neg_lo:[1,0,0] neg_hi:[1,0,0]
	v_mov_b32_e32 v29, v36
	v_pk_mul_f32 v[22:23], v[10:11], v[24:25] op_sel:[1,1] op_sel_hi:[1,0] neg_lo:[0,1]
	v_pk_mul_f32 v[12:13], v[20:21], v[48:49] op_sel_hi:[1,0]
	v_pk_mul_f32 v[20:21], v[16:17], v[28:29] op_sel:[1,0]
	v_pk_fma_f32 v[22:23], v[24:25], v[10:11], v[22:23] op_sel_hi:[1,0,1]
	v_pk_fma_f32 v[20:21], v[36:37], v[16:17], v[20:21] op_sel_hi:[1,0,1]
	v_pk_add_f32 v[16:17], v[24:25], 0 neg_lo:[1,1] neg_hi:[1,1]
	v_pk_add_f32 v[8:9], v[8:9], v[22:23] neg_lo:[0,1] neg_hi:[0,1]
	v_pk_fma_f32 v[18:19], v[36:37], v[34:35], v[18:19] op_sel_hi:[1,0,1]
	ds_write_b128 v7, v[8:11]
	v_pk_mov_b32 v[8:9], v[24:25], v[16:17] op_sel:[1,0]
	v_pk_fma_f32 v[12:13], v[36:37], v[46:47], v[12:13] op_sel_hi:[1,0,1] neg_lo:[1,0,0] neg_hi:[1,0,0]
	v_pk_mul_f32 v[8:9], v[18:19], v[8:9] op_sel:[1,0]
	s_nop 0
	v_pk_fma_f32 v[16:17], v[24:25], v[18:19], v[8:9] op_sel_hi:[1,0,1] neg_lo:[1,0,0] neg_hi:[1,0,0]
	v_xor_b32_e32 v8, 0x80000000, v13
	v_mov_b32_e32 v9, v12
	v_pk_mul_f32 v[8:9], v[44:45], v[8:9] op_sel:[1,0]
	ds_write_b128 v47, v[16:19]
	v_pk_fma_f32 v[8:9], v[12:13], v[44:45], v[8:9] op_sel_hi:[1,0,1]
	s_nop 0
	v_pk_add_f32 v[14:15], v[14:15], v[8:9] neg_lo:[0,1] neg_hi:[0,1]
	v_pk_add_f32 v[8:9], v[44:45], 0 neg_lo:[1,1] neg_hi:[1,1]
	ds_write_b128 v47, v[12:15] offset:1024
	v_pk_mov_b32 v[8:9], v[44:45], v[8:9] op_sel:[1,0]
	s_nop 0
	v_pk_mul_f32 v[8:9], v[20:21], v[8:9] op_sel:[1,0]
	s_nop 0
	v_pk_fma_f32 v[22:23], v[44:45], v[20:21], v[8:9] op_sel_hi:[1,0,1] neg_lo:[1,0,0] neg_hi:[1,0,0]
	ds_write_b128 v7, v[20:23] offset:1024
.LBB191_2:
	s_or_b64 exec, exec, s[2:3]
	v_cmp_gt_u32_e64 s[2:3], 32, v0
	v_lshlrev_b32_e32 v7, 5, v0
	s_waitcnt lgkmcnt(0)
	s_barrier
	s_and_saveexec_b64 s[4:5], s[2:3]
	s_cbranch_execz .LBB191_4
; %bb.3:
	v_add_u32_e32 v45, 0x800, v7
	ds_read2_b64 v[8:11], v45 offset1:2
	ds_read2_b64 v[12:15], v7 offset0:129 offset1:131
	s_mov_b64 s[6:7], 0x3f800000
	v_add_u32_e32 v48, 0x1000, v7
	ds_read_b64 v[36:37], v7
	s_waitcnt lgkmcnt(2)
	v_xor_b32_e32 v16, 0x80000000, v11
	v_mov_b32_e32 v17, v10
	s_waitcnt lgkmcnt(1)
	v_pk_mul_f32 v[16:17], v[12:13], v[16:17] op_sel:[1,0]
	s_waitcnt lgkmcnt(0)
	v_xor_b32_e32 v40, 0x80000000, v37
	v_pk_fma_f32 v[16:17], v[10:11], v[12:13], v[16:17] op_sel_hi:[1,0,1]
	v_mov_b32_e32 v41, v36
	v_pk_add_f32 v[24:25], v[16:17], s[6:7] neg_lo:[1,0] neg_hi:[1,0]
	s_nop 0
	v_mul_f32_e32 v20, v25, v25
	v_fmac_f32_e32 v20, v24, v24
	v_div_scale_f32 v16, s[6:7], v20, v20, 1.0
	v_rcp_f32_e32 v21, v16
	v_div_scale_f32 v17, vcc, 1.0, v20, 1.0
	v_fma_f32 v27, v24, 0, -v25
	v_fma_f32 v18, -v16, v21, 1.0
	v_fmac_f32_e32 v21, v18, v21
	v_mul_f32_e32 v22, v17, v21
	v_fma_f32 v18, -v16, v22, v17
	v_fmac_f32_e32 v22, v18, v21
	v_fma_f32 v23, -v16, v22, v17
	ds_read2_b64 v[16:19], v48 offset0:2 offset1:129
	v_div_fmas_f32 v21, v23, v21, v22
	v_div_fixup_f32 v26, v21, v20, 1.0
	v_fmac_f32_e32 v24, 0, v25
	v_mov_b32_e32 v25, v27
	s_waitcnt lgkmcnt(0)
	v_pk_mul_f32 v[20:21], v[16:17], v[12:13] op_sel:[1,1] op_sel_hi:[1,0] neg_lo:[0,1]
	v_pk_mul_f32 v[46:47], v[24:25], v[26:27] op_sel_hi:[1,0]
	v_pk_fma_f32 v[20:21], v[12:13], v[16:17], v[20:21] op_sel_hi:[1,0,1]
	s_nop 0
	v_pk_add_f32 v[28:29], v[18:19], v[20:21] neg_lo:[0,1] neg_hi:[0,1]
	v_pk_mul_f32 v[20:21], v[10:11], v[18:19] op_sel:[1,1] op_sel_hi:[1,0] neg_lo:[0,1]
	v_xor_b32_e32 v30, 0x80000000, v29
	v_pk_fma_f32 v[18:19], v[18:19], v[10:11], v[20:21] op_sel_hi:[1,0,1]
	v_mov_b32_e32 v31, v28
	v_pk_add_f32 v[32:33], v[16:17], v[18:19] neg_lo:[0,1] neg_hi:[0,1]
	ds_read2_b64 v[16:19], v45 offset0:129 offset1:131
	ds_read2_b64 v[20:23], v7 offset1:2
	ds_read_b64 v[38:39], v7 offset:5144
	v_pk_mul_f32 v[24:25], v[46:47], v[30:31] op_sel:[1,0]
	v_xor_b32_e32 v34, 0x80000000, v33
	v_mov_b32_e32 v35, v32
	s_waitcnt lgkmcnt(1)
	v_mul_f32_e64 v44, v23, -v13
	v_fmac_f32_e32 v44, v12, v22
	v_mul_f32_e32 v12, v23, v12
	v_fmac_f32_e32 v12, v13, v22
	v_add_u32_e32 v13, 0xc00, v7
	v_pk_fma_f32 v[28:29], v[28:29], v[46:47], v[24:25] op_sel_hi:[1,0,1]
	ds_read2_b64 v[24:27], v13 offset0:3 offset1:128
	v_pk_mul_f32 v[30:31], v[46:47], v[34:35] op_sel:[1,0]
	v_xor_b32_e32 v42, 0x80000000, v19
	v_pk_fma_f32 v[30:31], v[32:33], v[46:47], v[30:31] op_sel_hi:[1,0,1]
	v_mov_b32_e32 v43, v18
	v_pk_mul_f32 v[32:33], v[30:31], v[40:41] op_sel:[1,0]
	s_nop 0
	v_pk_fma_f32 v[32:33], v[36:37], v[30:31], v[32:33] op_sel_hi:[1,0,1]
	s_waitcnt lgkmcnt(0)
	v_pk_add_f32 v[26:27], v[26:27], v[32:33] neg_lo:[0,1] neg_hi:[0,1]
	ds_write2_b64 v48, v[26:27], v[30:31] offset1:2
	v_pk_mul_f32 v[26:27], v[28:29], v[42:43] op_sel:[1,0]
	s_nop 0
	v_pk_fma_f32 v[18:19], v[18:19], v[28:29], v[26:27] op_sel_hi:[1,0,1]
	s_nop 0
	v_pk_add_f32 v[18:19], v[38:39], v[18:19] neg_lo:[0,1] neg_hi:[0,1]
	ds_write2_b64 v48, v[28:29], v[18:19] offset0:129 offset1:131
	v_pk_add_f32 v[18:19], v[46:47], 0 neg_lo:[1,1] neg_hi:[1,1]
	v_mul_f32_e32 v28, v11, v16
	v_pk_mov_b32 v[26:27], v[46:47], v[18:19] op_sel:[1,0]
	v_pk_mov_b32 v[18:19], v[18:19], v[46:47] op_sel:[1,0]
	v_fmac_f32_e32 v28, v17, v10
	v_pk_mul_f32 v[18:19], v[22:23], v[18:19] op_sel:[1,0]
	v_pk_mul_f32 v[12:13], v[26:27], v[12:13] op_sel_hi:[1,0]
	v_pk_fma_f32 v[18:19], v[46:47], v[22:23], v[18:19] op_sel_hi:[1,0,1]
	v_mul_f32_e64 v22, v11, -v17
	v_fmac_f32_e32 v22, v16, v10
	v_pk_mul_f32 v[26:27], v[26:27], v[28:29] op_sel_hi:[1,0]
	v_xor_b32_e32 v10, 0x80000000, v47
	v_pk_fma_f32 v[22:23], v[46:47], v[22:23], v[26:27] op_sel_hi:[1,0,1] neg_lo:[1,0,0] neg_hi:[1,0,0]
	v_mov_b32_e32 v11, v46
	v_pk_mul_f32 v[26:27], v[22:23], v[20:21] op_sel:[1,1] op_sel_hi:[1,0] neg_lo:[0,1]
	v_pk_mul_f32 v[10:11], v[16:17], v[10:11] op_sel:[1,0]
	v_pk_fma_f32 v[26:27], v[20:21], v[22:23], v[26:27] op_sel_hi:[1,0,1]
	v_pk_fma_f32 v[10:11], v[46:47], v[16:17], v[10:11] op_sel_hi:[1,0,1]
	v_pk_add_f32 v[16:17], v[20:21], 0 neg_lo:[1,1] neg_hi:[1,1]
	v_pk_add_f32 v[8:9], v[8:9], v[26:27] neg_lo:[0,1] neg_hi:[0,1]
	ds_write2_b64 v45, v[8:9], v[22:23] offset1:2
	v_pk_mov_b32 v[8:9], v[20:21], v[16:17] op_sel:[1,0]
	v_pk_fma_f32 v[12:13], v[46:47], v[44:45], v[12:13] op_sel_hi:[1,0,1] neg_lo:[1,0,0] neg_hi:[1,0,0]
	v_pk_mul_f32 v[8:9], v[18:19], v[8:9] op_sel:[1,0]
	s_nop 0
	v_pk_fma_f32 v[8:9], v[20:21], v[18:19], v[8:9] op_sel_hi:[1,0,1] neg_lo:[1,0,0] neg_hi:[1,0,0]
	ds_write2_b64 v7, v[8:9], v[18:19] offset1:2
	v_xor_b32_e32 v8, 0x80000000, v13
	v_mov_b32_e32 v9, v12
	v_pk_mul_f32 v[8:9], v[24:25], v[8:9] op_sel:[1,0]
	s_nop 0
	v_pk_fma_f32 v[8:9], v[12:13], v[24:25], v[8:9] op_sel_hi:[1,0,1]
	s_nop 0
	v_pk_add_f32 v[8:9], v[14:15], v[8:9] neg_lo:[0,1] neg_hi:[0,1]
	ds_write2_b64 v7, v[12:13], v[8:9] offset0:129 offset1:131
	v_pk_add_f32 v[8:9], v[24:25], 0 neg_lo:[1,1] neg_hi:[1,1]
	s_nop 0
	v_pk_mov_b32 v[8:9], v[24:25], v[8:9] op_sel:[1,0]
	s_nop 0
	v_pk_mul_f32 v[8:9], v[10:11], v[8:9] op_sel:[1,0]
	s_nop 0
	v_pk_fma_f32 v[8:9], v[24:25], v[10:11], v[8:9] op_sel_hi:[1,0,1] neg_lo:[1,0,0] neg_hi:[1,0,0]
	ds_write2_b64 v45, v[10:11], v[8:9] offset0:129 offset1:131
.LBB191_4:
	s_or_b64 exec, exec, s[4:5]
	v_cmp_gt_u32_e64 s[4:5], 16, v0
	v_lshlrev_b32_e32 v8, 6, v0
	s_waitcnt lgkmcnt(0)
	s_barrier
	s_and_saveexec_b64 s[6:7], s[4:5]
	s_cbranch_execz .LBB191_6
; %bb.5:
	v_add_u32_e32 v9, 0x800, v8
	ds_read2_b64 v[10:13], v9 offset1:4
	ds_read2_b64 v[14:17], v8 offset0:131 offset1:135
	s_mov_b64 s[8:9], 0x3f800000
	v_add_u32_e32 v47, 0x1000, v8
	ds_read_b64 v[38:39], v8
	s_waitcnt lgkmcnt(2)
	v_xor_b32_e32 v18, 0x80000000, v13
	v_mov_b32_e32 v19, v12
	s_waitcnt lgkmcnt(1)
	v_pk_mul_f32 v[18:19], v[14:15], v[18:19] op_sel:[1,0]
	s_waitcnt lgkmcnt(0)
	v_xor_b32_e32 v42, 0x80000000, v39
	v_pk_fma_f32 v[18:19], v[12:13], v[14:15], v[18:19] op_sel_hi:[1,0,1]
	v_mov_b32_e32 v43, v38
	v_pk_add_f32 v[26:27], v[18:19], s[8:9] neg_lo:[1,0] neg_hi:[1,0]
	s_nop 0
	v_mul_f32_e32 v22, v27, v27
	v_fmac_f32_e32 v22, v26, v26
	v_div_scale_f32 v18, s[8:9], v22, v22, 1.0
	v_rcp_f32_e32 v23, v18
	v_div_scale_f32 v19, vcc, 1.0, v22, 1.0
	v_fma_f32 v29, v26, 0, -v27
	v_fma_f32 v20, -v18, v23, 1.0
	v_fmac_f32_e32 v23, v20, v23
	v_mul_f32_e32 v24, v19, v23
	v_fma_f32 v20, -v18, v24, v19
	v_fmac_f32_e32 v24, v20, v23
	v_fma_f32 v25, -v18, v24, v19
	ds_read2_b64 v[18:21], v47 offset0:4 offset1:131
	v_div_fmas_f32 v23, v25, v23, v24
	v_div_fixup_f32 v28, v23, v22, 1.0
	v_fmac_f32_e32 v26, 0, v27
	v_mov_b32_e32 v27, v29
	s_waitcnt lgkmcnt(0)
	v_pk_mul_f32 v[22:23], v[18:19], v[14:15] op_sel:[1,1] op_sel_hi:[1,0] neg_lo:[0,1]
	v_pk_mul_f32 v[48:49], v[26:27], v[28:29] op_sel_hi:[1,0]
	v_pk_fma_f32 v[22:23], v[14:15], v[18:19], v[22:23] op_sel_hi:[1,0,1]
	s_nop 0
	v_pk_add_f32 v[30:31], v[20:21], v[22:23] neg_lo:[0,1] neg_hi:[0,1]
	v_pk_mul_f32 v[22:23], v[12:13], v[20:21] op_sel:[1,1] op_sel_hi:[1,0] neg_lo:[0,1]
	v_xor_b32_e32 v32, 0x80000000, v31
	v_pk_fma_f32 v[20:21], v[20:21], v[12:13], v[22:23] op_sel_hi:[1,0,1]
	v_mov_b32_e32 v33, v30
	v_pk_add_f32 v[34:35], v[18:19], v[20:21] neg_lo:[0,1] neg_hi:[0,1]
	ds_read2_b64 v[18:21], v9 offset0:131 offset1:135
	ds_read2_b64 v[22:25], v8 offset1:4
	ds_read_b64 v[40:41], v8 offset:5176
	v_pk_mul_f32 v[26:27], v[48:49], v[32:33] op_sel:[1,0]
	v_xor_b32_e32 v36, 0x80000000, v35
	v_mov_b32_e32 v37, v34
	s_waitcnt lgkmcnt(1)
	v_mul_f32_e64 v46, v25, -v15
	v_fmac_f32_e32 v46, v14, v24
	v_mul_f32_e32 v14, v25, v14
	v_fmac_f32_e32 v14, v15, v24
	v_add_u32_e32 v15, 0xc00, v8
	v_pk_fma_f32 v[30:31], v[30:31], v[48:49], v[26:27] op_sel_hi:[1,0,1]
	ds_read2_b64 v[26:29], v15 offset0:7 offset1:128
	v_pk_mul_f32 v[32:33], v[48:49], v[36:37] op_sel:[1,0]
	v_xor_b32_e32 v44, 0x80000000, v21
	v_pk_fma_f32 v[32:33], v[34:35], v[48:49], v[32:33] op_sel_hi:[1,0,1]
	v_mov_b32_e32 v45, v20
	v_pk_mul_f32 v[34:35], v[32:33], v[42:43] op_sel:[1,0]
	s_nop 0
	v_pk_fma_f32 v[34:35], v[38:39], v[32:33], v[34:35] op_sel_hi:[1,0,1]
	s_waitcnt lgkmcnt(0)
	v_pk_add_f32 v[28:29], v[28:29], v[34:35] neg_lo:[0,1] neg_hi:[0,1]
	ds_write2_b64 v47, v[28:29], v[32:33] offset1:4
	v_pk_mul_f32 v[28:29], v[30:31], v[44:45] op_sel:[1,0]
	s_nop 0
	v_pk_fma_f32 v[20:21], v[20:21], v[30:31], v[28:29] op_sel_hi:[1,0,1]
	s_nop 0
	v_pk_add_f32 v[20:21], v[40:41], v[20:21] neg_lo:[0,1] neg_hi:[0,1]
	ds_write2_b64 v47, v[30:31], v[20:21] offset0:131 offset1:135
	v_pk_add_f32 v[20:21], v[48:49], 0 neg_lo:[1,1] neg_hi:[1,1]
	v_mul_f32_e32 v30, v13, v18
	v_pk_mov_b32 v[28:29], v[48:49], v[20:21] op_sel:[1,0]
	v_pk_mov_b32 v[20:21], v[20:21], v[48:49] op_sel:[1,0]
	v_fmac_f32_e32 v30, v19, v12
	v_pk_mul_f32 v[20:21], v[24:25], v[20:21] op_sel:[1,0]
	v_pk_mul_f32 v[14:15], v[28:29], v[14:15] op_sel_hi:[1,0]
	v_pk_fma_f32 v[20:21], v[48:49], v[24:25], v[20:21] op_sel_hi:[1,0,1]
	v_mul_f32_e64 v24, v13, -v19
	v_fmac_f32_e32 v24, v18, v12
	v_pk_mul_f32 v[28:29], v[28:29], v[30:31] op_sel_hi:[1,0]
	v_xor_b32_e32 v12, 0x80000000, v49
	v_pk_fma_f32 v[24:25], v[48:49], v[24:25], v[28:29] op_sel_hi:[1,0,1] neg_lo:[1,0,0] neg_hi:[1,0,0]
	v_mov_b32_e32 v13, v48
	v_pk_mul_f32 v[28:29], v[24:25], v[22:23] op_sel:[1,1] op_sel_hi:[1,0] neg_lo:[0,1]
	v_pk_mul_f32 v[12:13], v[18:19], v[12:13] op_sel:[1,0]
	v_pk_fma_f32 v[28:29], v[22:23], v[24:25], v[28:29] op_sel_hi:[1,0,1]
	v_pk_fma_f32 v[12:13], v[48:49], v[18:19], v[12:13] op_sel_hi:[1,0,1]
	v_pk_add_f32 v[18:19], v[22:23], 0 neg_lo:[1,1] neg_hi:[1,1]
	v_pk_add_f32 v[10:11], v[10:11], v[28:29] neg_lo:[0,1] neg_hi:[0,1]
	ds_write2_b64 v9, v[10:11], v[24:25] offset1:4
	v_pk_mov_b32 v[10:11], v[22:23], v[18:19] op_sel:[1,0]
	v_pk_fma_f32 v[14:15], v[48:49], v[46:47], v[14:15] op_sel_hi:[1,0,1] neg_lo:[1,0,0] neg_hi:[1,0,0]
	v_pk_mul_f32 v[10:11], v[20:21], v[10:11] op_sel:[1,0]
	s_nop 0
	v_pk_fma_f32 v[10:11], v[22:23], v[20:21], v[10:11] op_sel_hi:[1,0,1] neg_lo:[1,0,0] neg_hi:[1,0,0]
	ds_write2_b64 v8, v[10:11], v[20:21] offset1:4
	v_xor_b32_e32 v10, 0x80000000, v15
	v_mov_b32_e32 v11, v14
	v_pk_mul_f32 v[10:11], v[26:27], v[10:11] op_sel:[1,0]
	s_nop 0
	v_pk_fma_f32 v[10:11], v[14:15], v[26:27], v[10:11] op_sel_hi:[1,0,1]
	s_nop 0
	v_pk_add_f32 v[10:11], v[16:17], v[10:11] neg_lo:[0,1] neg_hi:[0,1]
	ds_write2_b64 v8, v[14:15], v[10:11] offset0:131 offset1:135
	v_pk_add_f32 v[10:11], v[26:27], 0 neg_lo:[1,1] neg_hi:[1,1]
	s_nop 0
	v_pk_mov_b32 v[10:11], v[26:27], v[10:11] op_sel:[1,0]
	s_nop 0
	v_pk_mul_f32 v[10:11], v[12:13], v[10:11] op_sel:[1,0]
	s_nop 0
	v_pk_fma_f32 v[10:11], v[26:27], v[12:13], v[10:11] op_sel_hi:[1,0,1] neg_lo:[1,0,0] neg_hi:[1,0,0]
	ds_write2_b64 v9, v[12:13], v[10:11] offset0:131 offset1:135
.LBB191_6:
	s_or_b64 exec, exec, s[6:7]
	v_cmp_gt_u32_e64 s[6:7], 8, v0
	v_lshlrev_b32_e32 v9, 7, v0
	s_waitcnt lgkmcnt(0)
	s_barrier
	s_and_saveexec_b64 s[8:9], s[6:7]
	s_cbranch_execz .LBB191_8
; %bb.7:
	v_add_u32_e32 v47, 0x800, v9
	ds_read2_b64 v[10:13], v47 offset1:8
	ds_read2_b64 v[14:17], v9 offset0:135 offset1:143
	s_mov_b64 s[10:11], 0x3f800000
	v_add_u32_e32 v50, 0x1000, v9
	ds_read_b64 v[38:39], v9
	s_waitcnt lgkmcnt(2)
	v_xor_b32_e32 v18, 0x80000000, v13
	v_mov_b32_e32 v19, v12
	s_waitcnt lgkmcnt(1)
	v_pk_mul_f32 v[18:19], v[14:15], v[18:19] op_sel:[1,0]
	s_waitcnt lgkmcnt(0)
	v_xor_b32_e32 v42, 0x80000000, v39
	v_pk_fma_f32 v[18:19], v[12:13], v[14:15], v[18:19] op_sel_hi:[1,0,1]
	v_mov_b32_e32 v43, v38
	v_pk_add_f32 v[26:27], v[18:19], s[10:11] neg_lo:[1,0] neg_hi:[1,0]
	s_nop 0
	v_mul_f32_e32 v22, v27, v27
	v_fmac_f32_e32 v22, v26, v26
	v_div_scale_f32 v18, s[10:11], v22, v22, 1.0
	v_rcp_f32_e32 v23, v18
	v_div_scale_f32 v19, vcc, 1.0, v22, 1.0
	v_fma_f32 v29, v26, 0, -v27
	v_fma_f32 v20, -v18, v23, 1.0
	v_fmac_f32_e32 v23, v20, v23
	v_mul_f32_e32 v24, v19, v23
	v_fma_f32 v20, -v18, v24, v19
	v_fmac_f32_e32 v24, v20, v23
	v_fma_f32 v25, -v18, v24, v19
	ds_read2_b64 v[18:21], v50 offset0:8 offset1:135
	v_div_fmas_f32 v23, v25, v23, v24
	v_div_fixup_f32 v28, v23, v22, 1.0
	v_fmac_f32_e32 v26, 0, v27
	v_mov_b32_e32 v27, v29
	s_waitcnt lgkmcnt(0)
	v_pk_mul_f32 v[22:23], v[18:19], v[14:15] op_sel:[1,1] op_sel_hi:[1,0] neg_lo:[0,1]
	v_pk_mul_f32 v[48:49], v[26:27], v[28:29] op_sel_hi:[1,0]
	v_pk_fma_f32 v[22:23], v[14:15], v[18:19], v[22:23] op_sel_hi:[1,0,1]
	s_nop 0
	v_pk_add_f32 v[30:31], v[20:21], v[22:23] neg_lo:[0,1] neg_hi:[0,1]
	v_pk_mul_f32 v[22:23], v[12:13], v[20:21] op_sel:[1,1] op_sel_hi:[1,0] neg_lo:[0,1]
	v_xor_b32_e32 v32, 0x80000000, v31
	v_pk_fma_f32 v[20:21], v[20:21], v[12:13], v[22:23] op_sel_hi:[1,0,1]
	v_mov_b32_e32 v33, v30
	v_pk_add_f32 v[34:35], v[18:19], v[20:21] neg_lo:[0,1] neg_hi:[0,1]
	ds_read2_b64 v[18:21], v47 offset0:135 offset1:143
	ds_read2_b64 v[22:25], v9 offset1:8
	ds_read_b64 v[40:41], v9 offset:5240
	v_pk_mul_f32 v[26:27], v[48:49], v[32:33] op_sel:[1,0]
	v_xor_b32_e32 v36, 0x80000000, v35
	v_mov_b32_e32 v37, v34
	s_waitcnt lgkmcnt(1)
	v_mul_f32_e64 v46, v25, -v15
	v_fmac_f32_e32 v46, v14, v24
	v_mul_f32_e32 v14, v25, v14
	v_fmac_f32_e32 v14, v15, v24
	v_add_u32_e32 v15, 0xc00, v9
	v_pk_fma_f32 v[30:31], v[30:31], v[48:49], v[26:27] op_sel_hi:[1,0,1]
	ds_read2_b64 v[26:29], v15 offset0:15 offset1:128
	v_pk_mul_f32 v[32:33], v[48:49], v[36:37] op_sel:[1,0]
	v_xor_b32_e32 v44, 0x80000000, v21
	v_pk_fma_f32 v[32:33], v[34:35], v[48:49], v[32:33] op_sel_hi:[1,0,1]
	v_mov_b32_e32 v45, v20
	v_pk_mul_f32 v[34:35], v[32:33], v[42:43] op_sel:[1,0]
	s_nop 0
	v_pk_fma_f32 v[34:35], v[38:39], v[32:33], v[34:35] op_sel_hi:[1,0,1]
	s_waitcnt lgkmcnt(0)
	v_pk_add_f32 v[28:29], v[28:29], v[34:35] neg_lo:[0,1] neg_hi:[0,1]
	ds_write2_b64 v50, v[28:29], v[32:33] offset1:8
	v_pk_mul_f32 v[28:29], v[30:31], v[44:45] op_sel:[1,0]
	s_nop 0
	v_pk_fma_f32 v[20:21], v[20:21], v[30:31], v[28:29] op_sel_hi:[1,0,1]
	s_nop 0
	v_pk_add_f32 v[20:21], v[40:41], v[20:21] neg_lo:[0,1] neg_hi:[0,1]
	ds_write2_b64 v50, v[30:31], v[20:21] offset0:135 offset1:143
	v_pk_add_f32 v[20:21], v[48:49], 0 neg_lo:[1,1] neg_hi:[1,1]
	v_mul_f32_e32 v30, v13, v18
	v_pk_mov_b32 v[28:29], v[48:49], v[20:21] op_sel:[1,0]
	v_pk_mov_b32 v[20:21], v[20:21], v[48:49] op_sel:[1,0]
	v_fmac_f32_e32 v30, v19, v12
	v_pk_mul_f32 v[20:21], v[24:25], v[20:21] op_sel:[1,0]
	v_pk_mul_f32 v[14:15], v[28:29], v[14:15] op_sel_hi:[1,0]
	v_pk_fma_f32 v[20:21], v[48:49], v[24:25], v[20:21] op_sel_hi:[1,0,1]
	v_mul_f32_e64 v24, v13, -v19
	v_fmac_f32_e32 v24, v18, v12
	v_pk_mul_f32 v[28:29], v[28:29], v[30:31] op_sel_hi:[1,0]
	v_xor_b32_e32 v12, 0x80000000, v49
	v_pk_fma_f32 v[24:25], v[48:49], v[24:25], v[28:29] op_sel_hi:[1,0,1] neg_lo:[1,0,0] neg_hi:[1,0,0]
	v_mov_b32_e32 v13, v48
	v_pk_mul_f32 v[28:29], v[24:25], v[22:23] op_sel:[1,1] op_sel_hi:[1,0] neg_lo:[0,1]
	v_pk_mul_f32 v[12:13], v[18:19], v[12:13] op_sel:[1,0]
	v_pk_fma_f32 v[28:29], v[22:23], v[24:25], v[28:29] op_sel_hi:[1,0,1]
	v_pk_fma_f32 v[12:13], v[48:49], v[18:19], v[12:13] op_sel_hi:[1,0,1]
	v_pk_add_f32 v[18:19], v[22:23], 0 neg_lo:[1,1] neg_hi:[1,1]
	v_pk_add_f32 v[10:11], v[10:11], v[28:29] neg_lo:[0,1] neg_hi:[0,1]
	ds_write2_b64 v47, v[10:11], v[24:25] offset1:8
	v_pk_mov_b32 v[10:11], v[22:23], v[18:19] op_sel:[1,0]
	v_pk_fma_f32 v[14:15], v[48:49], v[46:47], v[14:15] op_sel_hi:[1,0,1] neg_lo:[1,0,0] neg_hi:[1,0,0]
	v_pk_mul_f32 v[10:11], v[20:21], v[10:11] op_sel:[1,0]
	s_nop 0
	v_pk_fma_f32 v[10:11], v[22:23], v[20:21], v[10:11] op_sel_hi:[1,0,1] neg_lo:[1,0,0] neg_hi:[1,0,0]
	ds_write2_b64 v9, v[10:11], v[20:21] offset1:8
	v_xor_b32_e32 v10, 0x80000000, v15
	v_mov_b32_e32 v11, v14
	v_pk_mul_f32 v[10:11], v[26:27], v[10:11] op_sel:[1,0]
	s_nop 0
	v_pk_fma_f32 v[10:11], v[14:15], v[26:27], v[10:11] op_sel_hi:[1,0,1]
	s_nop 0
	v_pk_add_f32 v[10:11], v[16:17], v[10:11] neg_lo:[0,1] neg_hi:[0,1]
	ds_write2_b64 v9, v[14:15], v[10:11] offset0:135 offset1:143
	v_pk_add_f32 v[10:11], v[26:27], 0 neg_lo:[1,1] neg_hi:[1,1]
	s_nop 0
	v_pk_mov_b32 v[10:11], v[26:27], v[10:11] op_sel:[1,0]
	s_nop 0
	v_pk_mul_f32 v[10:11], v[12:13], v[10:11] op_sel:[1,0]
	s_nop 0
	v_pk_fma_f32 v[10:11], v[26:27], v[12:13], v[10:11] op_sel_hi:[1,0,1] neg_lo:[1,0,0] neg_hi:[1,0,0]
	ds_write2_b64 v47, v[12:13], v[10:11] offset0:135 offset1:143
.LBB191_8:
	s_or_b64 exec, exec, s[8:9]
	v_cmp_gt_u32_e64 s[8:9], 4, v0
	v_lshlrev_b32_e32 v10, 8, v0
	s_waitcnt lgkmcnt(0)
	s_barrier
	s_and_saveexec_b64 s[10:11], s[8:9]
	s_cbranch_execz .LBB191_10
; %bb.9:
	v_add_u32_e32 v11, 0x800, v10
	ds_read2_b64 v[12:15], v11 offset1:16
	ds_read2_b64 v[16:19], v10 offset0:143 offset1:159
	s_mov_b64 s[12:13], 0x3f800000
	v_add_u32_e32 v49, 0x1000, v10
	ds_read_b64 v[40:41], v10
	s_waitcnt lgkmcnt(2)
	v_xor_b32_e32 v20, 0x80000000, v15
	v_mov_b32_e32 v21, v14
	s_waitcnt lgkmcnt(1)
	v_pk_mul_f32 v[20:21], v[16:17], v[20:21] op_sel:[1,0]
	s_waitcnt lgkmcnt(0)
	v_xor_b32_e32 v44, 0x80000000, v41
	v_pk_fma_f32 v[20:21], v[14:15], v[16:17], v[20:21] op_sel_hi:[1,0,1]
	v_mov_b32_e32 v45, v40
	v_pk_add_f32 v[28:29], v[20:21], s[12:13] neg_lo:[1,0] neg_hi:[1,0]
	s_nop 0
	v_mul_f32_e32 v24, v29, v29
	v_fmac_f32_e32 v24, v28, v28
	v_div_scale_f32 v20, s[12:13], v24, v24, 1.0
	v_rcp_f32_e32 v25, v20
	v_div_scale_f32 v21, vcc, 1.0, v24, 1.0
	v_fma_f32 v31, v28, 0, -v29
	v_fma_f32 v22, -v20, v25, 1.0
	v_fmac_f32_e32 v25, v22, v25
	v_mul_f32_e32 v26, v21, v25
	v_fma_f32 v22, -v20, v26, v21
	v_fmac_f32_e32 v26, v22, v25
	v_fma_f32 v27, -v20, v26, v21
	ds_read2_b64 v[20:23], v49 offset0:16 offset1:143
	v_div_fmas_f32 v25, v27, v25, v26
	v_div_fixup_f32 v30, v25, v24, 1.0
	v_fmac_f32_e32 v28, 0, v29
	v_mov_b32_e32 v29, v31
	s_waitcnt lgkmcnt(0)
	v_pk_mul_f32 v[24:25], v[20:21], v[16:17] op_sel:[1,1] op_sel_hi:[1,0] neg_lo:[0,1]
	v_pk_mul_f32 v[50:51], v[28:29], v[30:31] op_sel_hi:[1,0]
	v_pk_fma_f32 v[24:25], v[16:17], v[20:21], v[24:25] op_sel_hi:[1,0,1]
	s_nop 0
	v_pk_add_f32 v[32:33], v[22:23], v[24:25] neg_lo:[0,1] neg_hi:[0,1]
	v_pk_mul_f32 v[24:25], v[14:15], v[22:23] op_sel:[1,1] op_sel_hi:[1,0] neg_lo:[0,1]
	v_xor_b32_e32 v34, 0x80000000, v33
	v_pk_fma_f32 v[22:23], v[22:23], v[14:15], v[24:25] op_sel_hi:[1,0,1]
	v_mov_b32_e32 v35, v32
	v_pk_add_f32 v[36:37], v[20:21], v[22:23] neg_lo:[0,1] neg_hi:[0,1]
	ds_read2_b64 v[20:23], v11 offset0:143 offset1:159
	ds_read2_b64 v[24:27], v10 offset1:16
	ds_read_b64 v[42:43], v10 offset:5368
	v_pk_mul_f32 v[28:29], v[50:51], v[34:35] op_sel:[1,0]
	v_xor_b32_e32 v38, 0x80000000, v37
	v_mov_b32_e32 v39, v36
	s_waitcnt lgkmcnt(1)
	v_mul_f32_e64 v48, v27, -v17
	v_fmac_f32_e32 v48, v16, v26
	v_mul_f32_e32 v16, v27, v16
	v_fmac_f32_e32 v16, v17, v26
	v_add_u32_e32 v17, 0xc00, v10
	v_pk_fma_f32 v[32:33], v[32:33], v[50:51], v[28:29] op_sel_hi:[1,0,1]
	ds_read2_b64 v[28:31], v17 offset0:31 offset1:128
	v_pk_mul_f32 v[34:35], v[50:51], v[38:39] op_sel:[1,0]
	v_xor_b32_e32 v46, 0x80000000, v23
	v_pk_fma_f32 v[34:35], v[36:37], v[50:51], v[34:35] op_sel_hi:[1,0,1]
	v_mov_b32_e32 v47, v22
	v_pk_mul_f32 v[36:37], v[34:35], v[44:45] op_sel:[1,0]
	s_nop 0
	v_pk_fma_f32 v[36:37], v[40:41], v[34:35], v[36:37] op_sel_hi:[1,0,1]
	s_waitcnt lgkmcnt(0)
	v_pk_add_f32 v[30:31], v[30:31], v[36:37] neg_lo:[0,1] neg_hi:[0,1]
	ds_write2_b64 v49, v[30:31], v[34:35] offset1:16
	v_pk_mul_f32 v[30:31], v[32:33], v[46:47] op_sel:[1,0]
	s_nop 0
	v_pk_fma_f32 v[22:23], v[22:23], v[32:33], v[30:31] op_sel_hi:[1,0,1]
	s_nop 0
	v_pk_add_f32 v[22:23], v[42:43], v[22:23] neg_lo:[0,1] neg_hi:[0,1]
	ds_write2_b64 v49, v[32:33], v[22:23] offset0:143 offset1:159
	v_pk_add_f32 v[22:23], v[50:51], 0 neg_lo:[1,1] neg_hi:[1,1]
	v_mul_f32_e32 v32, v15, v20
	v_pk_mov_b32 v[30:31], v[50:51], v[22:23] op_sel:[1,0]
	v_pk_mov_b32 v[22:23], v[22:23], v[50:51] op_sel:[1,0]
	v_fmac_f32_e32 v32, v21, v14
	v_pk_mul_f32 v[22:23], v[26:27], v[22:23] op_sel:[1,0]
	v_pk_mul_f32 v[16:17], v[30:31], v[16:17] op_sel_hi:[1,0]
	v_pk_fma_f32 v[22:23], v[50:51], v[26:27], v[22:23] op_sel_hi:[1,0,1]
	v_mul_f32_e64 v26, v15, -v21
	v_fmac_f32_e32 v26, v20, v14
	v_pk_mul_f32 v[30:31], v[30:31], v[32:33] op_sel_hi:[1,0]
	v_xor_b32_e32 v14, 0x80000000, v51
	v_pk_fma_f32 v[26:27], v[50:51], v[26:27], v[30:31] op_sel_hi:[1,0,1] neg_lo:[1,0,0] neg_hi:[1,0,0]
	v_mov_b32_e32 v15, v50
	v_pk_mul_f32 v[30:31], v[26:27], v[24:25] op_sel:[1,1] op_sel_hi:[1,0] neg_lo:[0,1]
	v_pk_mul_f32 v[14:15], v[20:21], v[14:15] op_sel:[1,0]
	v_pk_fma_f32 v[30:31], v[24:25], v[26:27], v[30:31] op_sel_hi:[1,0,1]
	v_pk_fma_f32 v[14:15], v[50:51], v[20:21], v[14:15] op_sel_hi:[1,0,1]
	v_pk_add_f32 v[20:21], v[24:25], 0 neg_lo:[1,1] neg_hi:[1,1]
	v_pk_add_f32 v[12:13], v[12:13], v[30:31] neg_lo:[0,1] neg_hi:[0,1]
	ds_write2_b64 v11, v[12:13], v[26:27] offset1:16
	v_pk_mov_b32 v[12:13], v[24:25], v[20:21] op_sel:[1,0]
	v_pk_fma_f32 v[16:17], v[50:51], v[48:49], v[16:17] op_sel_hi:[1,0,1] neg_lo:[1,0,0] neg_hi:[1,0,0]
	v_pk_mul_f32 v[12:13], v[22:23], v[12:13] op_sel:[1,0]
	s_nop 0
	v_pk_fma_f32 v[12:13], v[24:25], v[22:23], v[12:13] op_sel_hi:[1,0,1] neg_lo:[1,0,0] neg_hi:[1,0,0]
	ds_write2_b64 v10, v[12:13], v[22:23] offset1:16
	v_xor_b32_e32 v12, 0x80000000, v17
	v_mov_b32_e32 v13, v16
	v_pk_mul_f32 v[12:13], v[28:29], v[12:13] op_sel:[1,0]
	s_nop 0
	v_pk_fma_f32 v[12:13], v[16:17], v[28:29], v[12:13] op_sel_hi:[1,0,1]
	s_nop 0
	v_pk_add_f32 v[12:13], v[18:19], v[12:13] neg_lo:[0,1] neg_hi:[0,1]
	ds_write2_b64 v10, v[16:17], v[12:13] offset0:143 offset1:159
	v_pk_add_f32 v[12:13], v[28:29], 0 neg_lo:[1,1] neg_hi:[1,1]
	s_nop 0
	v_pk_mov_b32 v[12:13], v[28:29], v[12:13] op_sel:[1,0]
	s_nop 0
	v_pk_mul_f32 v[12:13], v[14:15], v[12:13] op_sel:[1,0]
	s_nop 0
	v_pk_fma_f32 v[12:13], v[28:29], v[14:15], v[12:13] op_sel_hi:[1,0,1] neg_lo:[1,0,0] neg_hi:[1,0,0]
	ds_write2_b64 v11, v[14:15], v[12:13] offset0:143 offset1:159
.LBB191_10:
	s_or_b64 exec, exec, s[10:11]
	v_cmp_gt_u32_e64 s[10:11], 2, v0
	v_lshlrev_b32_e32 v11, 9, v0
	s_waitcnt lgkmcnt(0)
	s_barrier
	s_and_saveexec_b64 s[12:13], s[10:11]
	s_cbranch_execz .LBB191_12
; %bb.11:
	v_add_u32_e32 v49, 0x800, v11
	ds_read2_b64 v[12:15], v49 offset1:32
	ds_read2_b64 v[16:19], v11 offset0:159 offset1:191
	s_mov_b64 s[14:15], 0x3f800000
	v_add_u32_e32 v52, 0x1000, v11
	ds_read_b64 v[40:41], v11
	s_waitcnt lgkmcnt(2)
	v_xor_b32_e32 v20, 0x80000000, v15
	v_mov_b32_e32 v21, v14
	s_waitcnt lgkmcnt(1)
	v_pk_mul_f32 v[20:21], v[16:17], v[20:21] op_sel:[1,0]
	s_waitcnt lgkmcnt(0)
	v_xor_b32_e32 v44, 0x80000000, v41
	v_pk_fma_f32 v[20:21], v[14:15], v[16:17], v[20:21] op_sel_hi:[1,0,1]
	v_mov_b32_e32 v45, v40
	v_pk_add_f32 v[28:29], v[20:21], s[14:15] neg_lo:[1,0] neg_hi:[1,0]
	s_nop 0
	v_mul_f32_e32 v24, v29, v29
	v_fmac_f32_e32 v24, v28, v28
	v_div_scale_f32 v20, s[14:15], v24, v24, 1.0
	v_rcp_f32_e32 v25, v20
	v_div_scale_f32 v21, vcc, 1.0, v24, 1.0
	v_fma_f32 v31, v28, 0, -v29
	v_fma_f32 v22, -v20, v25, 1.0
	v_fmac_f32_e32 v25, v22, v25
	v_mul_f32_e32 v26, v21, v25
	v_fma_f32 v22, -v20, v26, v21
	v_fmac_f32_e32 v26, v22, v25
	v_fma_f32 v27, -v20, v26, v21
	ds_read2_b64 v[20:23], v52 offset0:32 offset1:159
	v_div_fmas_f32 v25, v27, v25, v26
	v_div_fixup_f32 v30, v25, v24, 1.0
	v_fmac_f32_e32 v28, 0, v29
	v_mov_b32_e32 v29, v31
	s_waitcnt lgkmcnt(0)
	v_pk_mul_f32 v[24:25], v[20:21], v[16:17] op_sel:[1,1] op_sel_hi:[1,0] neg_lo:[0,1]
	v_pk_mul_f32 v[50:51], v[28:29], v[30:31] op_sel_hi:[1,0]
	v_pk_fma_f32 v[24:25], v[16:17], v[20:21], v[24:25] op_sel_hi:[1,0,1]
	s_nop 0
	v_pk_add_f32 v[32:33], v[22:23], v[24:25] neg_lo:[0,1] neg_hi:[0,1]
	v_pk_mul_f32 v[24:25], v[14:15], v[22:23] op_sel:[1,1] op_sel_hi:[1,0] neg_lo:[0,1]
	v_xor_b32_e32 v34, 0x80000000, v33
	v_pk_fma_f32 v[22:23], v[22:23], v[14:15], v[24:25] op_sel_hi:[1,0,1]
	v_mov_b32_e32 v35, v32
	v_pk_add_f32 v[36:37], v[20:21], v[22:23] neg_lo:[0,1] neg_hi:[0,1]
	ds_read2_b64 v[20:23], v49 offset0:159 offset1:191
	ds_read2_b64 v[24:27], v11 offset1:32
	ds_read_b64 v[42:43], v11 offset:5624
	v_pk_mul_f32 v[28:29], v[50:51], v[34:35] op_sel:[1,0]
	v_xor_b32_e32 v38, 0x80000000, v37
	v_mov_b32_e32 v39, v36
	s_waitcnt lgkmcnt(1)
	v_mul_f32_e64 v48, v27, -v17
	v_fmac_f32_e32 v48, v16, v26
	v_mul_f32_e32 v16, v27, v16
	v_fmac_f32_e32 v16, v17, v26
	v_add_u32_e32 v17, 0xc00, v11
	v_pk_fma_f32 v[32:33], v[32:33], v[50:51], v[28:29] op_sel_hi:[1,0,1]
	ds_read2_b64 v[28:31], v17 offset0:63 offset1:128
	v_pk_mul_f32 v[34:35], v[50:51], v[38:39] op_sel:[1,0]
	v_xor_b32_e32 v46, 0x80000000, v23
	v_pk_fma_f32 v[34:35], v[36:37], v[50:51], v[34:35] op_sel_hi:[1,0,1]
	v_mov_b32_e32 v47, v22
	v_pk_mul_f32 v[36:37], v[34:35], v[44:45] op_sel:[1,0]
	s_nop 0
	v_pk_fma_f32 v[36:37], v[40:41], v[34:35], v[36:37] op_sel_hi:[1,0,1]
	s_waitcnt lgkmcnt(0)
	v_pk_add_f32 v[30:31], v[30:31], v[36:37] neg_lo:[0,1] neg_hi:[0,1]
	ds_write2_b64 v52, v[30:31], v[34:35] offset1:32
	v_pk_mul_f32 v[30:31], v[32:33], v[46:47] op_sel:[1,0]
	s_nop 0
	v_pk_fma_f32 v[22:23], v[22:23], v[32:33], v[30:31] op_sel_hi:[1,0,1]
	s_nop 0
	v_pk_add_f32 v[22:23], v[42:43], v[22:23] neg_lo:[0,1] neg_hi:[0,1]
	ds_write2_b64 v52, v[32:33], v[22:23] offset0:159 offset1:191
	v_pk_add_f32 v[22:23], v[50:51], 0 neg_lo:[1,1] neg_hi:[1,1]
	v_mul_f32_e32 v32, v15, v20
	v_pk_mov_b32 v[30:31], v[50:51], v[22:23] op_sel:[1,0]
	v_pk_mov_b32 v[22:23], v[22:23], v[50:51] op_sel:[1,0]
	v_fmac_f32_e32 v32, v21, v14
	v_pk_mul_f32 v[22:23], v[26:27], v[22:23] op_sel:[1,0]
	v_pk_mul_f32 v[16:17], v[30:31], v[16:17] op_sel_hi:[1,0]
	v_pk_fma_f32 v[22:23], v[50:51], v[26:27], v[22:23] op_sel_hi:[1,0,1]
	v_mul_f32_e64 v26, v15, -v21
	v_fmac_f32_e32 v26, v20, v14
	v_pk_mul_f32 v[30:31], v[30:31], v[32:33] op_sel_hi:[1,0]
	v_xor_b32_e32 v14, 0x80000000, v51
	v_pk_fma_f32 v[26:27], v[50:51], v[26:27], v[30:31] op_sel_hi:[1,0,1] neg_lo:[1,0,0] neg_hi:[1,0,0]
	v_mov_b32_e32 v15, v50
	v_pk_mul_f32 v[30:31], v[26:27], v[24:25] op_sel:[1,1] op_sel_hi:[1,0] neg_lo:[0,1]
	v_pk_mul_f32 v[14:15], v[20:21], v[14:15] op_sel:[1,0]
	v_pk_fma_f32 v[30:31], v[24:25], v[26:27], v[30:31] op_sel_hi:[1,0,1]
	v_pk_fma_f32 v[14:15], v[50:51], v[20:21], v[14:15] op_sel_hi:[1,0,1]
	v_pk_add_f32 v[20:21], v[24:25], 0 neg_lo:[1,1] neg_hi:[1,1]
	v_pk_add_f32 v[12:13], v[12:13], v[30:31] neg_lo:[0,1] neg_hi:[0,1]
	ds_write2_b64 v49, v[12:13], v[26:27] offset1:32
	v_pk_mov_b32 v[12:13], v[24:25], v[20:21] op_sel:[1,0]
	v_pk_fma_f32 v[16:17], v[50:51], v[48:49], v[16:17] op_sel_hi:[1,0,1] neg_lo:[1,0,0] neg_hi:[1,0,0]
	v_pk_mul_f32 v[12:13], v[22:23], v[12:13] op_sel:[1,0]
	s_nop 0
	v_pk_fma_f32 v[12:13], v[24:25], v[22:23], v[12:13] op_sel_hi:[1,0,1] neg_lo:[1,0,0] neg_hi:[1,0,0]
	ds_write2_b64 v11, v[12:13], v[22:23] offset1:32
	v_xor_b32_e32 v12, 0x80000000, v17
	v_mov_b32_e32 v13, v16
	v_pk_mul_f32 v[12:13], v[28:29], v[12:13] op_sel:[1,0]
	s_nop 0
	v_pk_fma_f32 v[12:13], v[16:17], v[28:29], v[12:13] op_sel_hi:[1,0,1]
	s_nop 0
	v_pk_add_f32 v[12:13], v[18:19], v[12:13] neg_lo:[0,1] neg_hi:[0,1]
	ds_write2_b64 v11, v[16:17], v[12:13] offset0:159 offset1:191
	v_pk_add_f32 v[12:13], v[28:29], 0 neg_lo:[1,1] neg_hi:[1,1]
	s_nop 0
	v_pk_mov_b32 v[12:13], v[28:29], v[12:13] op_sel:[1,0]
	s_nop 0
	v_pk_mul_f32 v[12:13], v[14:15], v[12:13] op_sel:[1,0]
	s_nop 0
	v_pk_fma_f32 v[12:13], v[28:29], v[14:15], v[12:13] op_sel_hi:[1,0,1] neg_lo:[1,0,0] neg_hi:[1,0,0]
	ds_write2_b64 v49, v[14:15], v[12:13] offset0:159 offset1:191
.LBB191_12:
	s_or_b64 exec, exec, s[12:13]
	s_mov_b32 s15, 0
	v_cmp_eq_u32_e32 vcc, 0, v0
	s_waitcnt lgkmcnt(0)
	s_barrier
	s_and_saveexec_b64 s[12:13], vcc
	s_cbranch_execz .LBB191_14
; %bb.13:
	v_mov_b32_e32 v45, 0
	ds_read2st64_b64 v[12:15], v45 offset0:4 offset1:5
	ds_read2_b64 v[16:19], v45 offset0:191 offset1:255
	s_mov_b32 s14, 1.0
	ds_read2st64_b64 v[20:23], v45 offset1:1
	v_mov_b32_e32 v49, 0xff8
	s_waitcnt lgkmcnt(2)
	v_xor_b32_e32 v24, 0x80000000, v15
	v_mov_b32_e32 v25, v14
	s_waitcnt lgkmcnt(1)
	v_pk_mul_f32 v[24:25], v[16:17], v[24:25] op_sel:[1,0]
	s_nop 0
	v_pk_fma_f32 v[24:25], v[14:15], v[16:17], v[24:25] op_sel_hi:[1,0,1]
	s_nop 0
	v_pk_add_f32 v[28:29], v[24:25], s[14:15] neg_lo:[1,0] neg_hi:[1,0]
	s_nop 0
	v_mul_f32_e32 v30, v29, v29
	v_fmac_f32_e32 v30, v28, v28
	v_div_scale_f32 v24, s[14:15], v30, v30, 1.0
	v_rcp_f32_e32 v31, v24
	v_div_scale_f32 v25, vcc, 1.0, v30, 1.0
	s_movk_i32 s14, 0x1000
	v_fma_f32 v26, -v24, v31, 1.0
	v_fmac_f32_e32 v31, v26, v31
	v_mul_f32_e32 v32, v25, v31
	v_fma_f32 v26, -v24, v32, v25
	v_fmac_f32_e32 v32, v26, v31
	v_fma_f32 v33, -v24, v32, v25
	v_add_u32_e64 v24, s14, 0
	ds_read2_b64 v[24:27], v24 offset0:64 offset1:191
	v_div_fmas_f32 v31, v33, v31, v32
	v_div_fixup_f32 v30, v31, v30, 1.0
	v_fma_f32 v31, v28, 0, -v29
	v_fmac_f32_e32 v28, 0, v29
	s_waitcnt lgkmcnt(0)
	v_pk_mul_f32 v[32:33], v[24:25], v[16:17] op_sel:[1,1] op_sel_hi:[1,0] neg_lo:[0,1]
	v_pk_mul_f32 v[36:37], v[14:15], v[26:27] op_sel:[1,1] op_sel_hi:[1,0] neg_lo:[0,1]
	v_pk_fma_f32 v[32:33], v[16:17], v[24:25], v[32:33] op_sel_hi:[1,0,1]
	s_movk_i32 s14, 0x1f8
	v_pk_add_f32 v[32:33], v[26:27], v[32:33] neg_lo:[0,1] neg_hi:[0,1]
	v_mov_b32_e32 v29, v31
	v_xor_b32_e32 v34, 0x80000000, v33
	v_mov_b32_e32 v35, v32
	v_pk_fma_f32 v[26:27], v[26:27], v[14:15], v[36:37] op_sel_hi:[1,0,1]
	v_add_u32_e64 v48, s14, 0
	v_pk_mul_f32 v[46:47], v[28:29], v[30:31] op_sel_hi:[1,0]
	v_pk_add_f32 v[36:37], v[24:25], v[26:27] neg_lo:[0,1] neg_hi:[0,1]
	ds_read2st64_b64 v[24:27], v48 offset0:6 offset1:7
	v_pk_mul_f32 v[28:29], v[46:47], v[34:35] op_sel:[1,0]
	v_xor_b32_e32 v38, 0x80000000, v37
	v_mov_b32_e32 v39, v36
	v_pk_fma_f32 v[32:33], v[32:33], v[46:47], v[28:29] op_sel_hi:[1,0,1]
	ds_read2_b64 v[28:31], v49 offset1:1
	v_pk_mul_f32 v[34:35], v[46:47], v[38:39] op_sel:[1,0]
	ds_read_b64 v[38:39], v45 offset:6136
	v_xor_b32_e32 v40, 0x80000000, v21
	v_mov_b32_e32 v41, v20
	v_pk_fma_f32 v[34:35], v[36:37], v[46:47], v[34:35] op_sel_hi:[1,0,1]
	s_waitcnt lgkmcnt(2)
	v_xor_b32_e32 v42, 0x80000000, v27
	v_pk_mul_f32 v[36:37], v[34:35], v[40:41] op_sel:[1,0]
	v_mov_b32_e32 v43, v26
	v_pk_fma_f32 v[36:37], v[20:21], v[34:35], v[36:37] op_sel_hi:[1,0,1]
	v_mul_f32_e64 v44, v23, -v17
	s_waitcnt lgkmcnt(1)
	v_pk_add_f32 v[30:31], v[30:31], v[36:37] neg_lo:[0,1] neg_hi:[0,1]
	v_pk_mul_f32 v[36:37], v[32:33], v[42:43] op_sel:[1,0]
	v_fmac_f32_e32 v44, v16, v22
	v_pk_fma_f32 v[26:27], v[26:27], v[32:33], v[36:37] op_sel_hi:[1,0,1]
	v_mul_f32_e32 v16, v23, v16
	s_waitcnt lgkmcnt(0)
	v_pk_add_f32 v[26:27], v[38:39], v[26:27] neg_lo:[0,1] neg_hi:[0,1]
	ds_write2st64_b64 v48, v[32:33], v[26:27] offset0:10 offset1:11
	v_xor_b32_e32 v26, 0x80000000, v47
	v_mov_b32_e32 v27, v46
	v_pk_mul_f32 v[36:37], v[22:23], v[26:27] op_sel:[1,0]
	v_mul_f32_e32 v38, v15, v24
	v_fmac_f32_e32 v16, v17, v22
	v_xor_b32_e32 v33, 0x80000000, v46
	v_mov_b32_e32 v32, v47
	v_pk_fma_f32 v[22:23], v[46:47], v[22:23], v[36:37] op_sel_hi:[1,0,1]
	v_mul_f32_e64 v36, v15, -v25
	v_fmac_f32_e32 v38, v25, v14
	v_pk_mul_f32 v[16:17], v[32:33], v[16:17] op_sel_hi:[1,0]
	v_fmac_f32_e32 v36, v24, v14
	v_pk_mul_f32 v[14:15], v[32:33], v[38:39] op_sel_hi:[1,0]
	s_movk_i32 s14, 0x400
	v_pk_fma_f32 v[16:17], v[46:47], v[44:45], v[16:17] op_sel_hi:[1,0,1] neg_lo:[1,0,0] neg_hi:[1,0,0]
	v_pk_fma_f32 v[14:15], v[46:47], v[36:37], v[14:15] op_sel_hi:[1,0,1] neg_lo:[1,0,0] neg_hi:[1,0,0]
	v_add_u32_e64 v32, s14, 0
	v_pk_mul_f32 v[26:27], v[24:25], v[26:27] op_sel:[1,0]
	s_movk_i32 s14, 0xc00
	ds_write2_b64 v32, v[16:17], v[14:15] offset0:63 offset1:192
	v_pk_fma_f32 v[24:25], v[46:47], v[24:25], v[26:27] op_sel_hi:[1,0,1]
	v_add_u32_e64 v26, s14, 0
	v_pk_mul_f32 v[32:33], v[14:15], v[20:21] op_sel:[1,1] op_sel_hi:[1,0] neg_lo:[0,1]
	ds_write2_b64 v26, v[24:25], v[34:35] offset0:63 offset1:192
	v_xor_b32_e32 v27, 0x80000000, v20
	v_pk_fma_f32 v[14:15], v[20:21], v[14:15], v[32:33] op_sel_hi:[1,0,1]
	v_mov_b32_e32 v26, v21
	v_pk_add_f32 v[12:13], v[12:13], v[14:15] neg_lo:[0,1] neg_hi:[0,1]
	v_pk_mul_f32 v[14:15], v[22:23], v[26:27] op_sel:[1,0]
	s_nop 0
	v_pk_fma_f32 v[14:15], v[20:21], v[22:23], v[14:15] op_sel_hi:[1,0,1] neg_lo:[1,0,0] neg_hi:[1,0,0]
	ds_write2st64_b64 v45, v[14:15], v[22:23] offset1:1
	v_xor_b32_e32 v14, 0x80000000, v17
	v_mov_b32_e32 v15, v16
	v_pk_mul_f32 v[14:15], v[28:29], v[14:15] op_sel:[1,0]
	s_nop 0
	v_pk_fma_f32 v[14:15], v[16:17], v[28:29], v[14:15] op_sel_hi:[1,0,1]
	v_mov_b32_e32 v16, 0x7f8
	v_pk_add_f32 v[14:15], v[18:19], v[14:15] neg_lo:[0,1] neg_hi:[0,1]
	ds_write2_b64 v16, v[14:15], v[12:13] offset1:1
	v_xor_b32_e32 v13, 0x80000000, v28
	v_mov_b32_e32 v12, v29
	v_pk_mul_f32 v[12:13], v[24:25], v[12:13] op_sel:[1,0]
	s_nop 0
	v_pk_fma_f32 v[12:13], v[28:29], v[24:25], v[12:13] op_sel_hi:[1,0,1] neg_lo:[1,0,0] neg_hi:[1,0,0]
	ds_write2_b64 v49, v[12:13], v[30:31] offset1:1
.LBB191_14:
	s_or_b64 exec, exec, s[12:13]
	s_waitcnt lgkmcnt(0)
	s_barrier
	s_and_saveexec_b64 s[12:13], s[10:11]
	s_cbranch_execz .LBB191_16
; %bb.15:
	v_max_u32_e32 v16, 1, v8
	v_add_u32_e32 v12, 0x800, v11
	ds_read2_b64 v[12:15], v12 offset0:32 offset1:159
	v_lshlrev_b32_e32 v30, 3, v16
	ds_read_b64 v[24:25], v30 offset:5112
	v_add_u32_e32 v16, 0x1000, v11
	v_min_u32_e32 v20, 63, v8
	ds_read2_b64 v[16:19], v16 offset0:32 offset1:159
	v_lshlrev_b32_e32 v31, 3, v20
	ds_read2_b64 v[20:23], v11 offset0:32 offset1:159
	ds_read_b64 v[28:29], v31 offset:4608
	s_waitcnt lgkmcnt(4)
	v_xor_b32_e32 v26, 0x80000000, v15
	v_mov_b32_e32 v27, v14
	s_waitcnt lgkmcnt(3)
	v_pk_mul_f32 v[26:27], v[24:25], v[26:27] op_sel:[1,0]
	s_nop 0
	v_pk_fma_f32 v[14:15], v[14:15], v[24:25], v[26:27] op_sel_hi:[1,0,1]
	s_waitcnt lgkmcnt(2)
	v_pk_add_f32 v[14:15], v[18:19], v[14:15] neg_lo:[0,1] neg_hi:[0,1]
	s_waitcnt lgkmcnt(1)
	v_xor_b32_e32 v18, 0x80000000, v23
	v_mov_b32_e32 v19, v22
	s_waitcnt lgkmcnt(0)
	v_pk_mul_f32 v[18:19], v[28:29], v[18:19] op_sel:[1,0]
	s_nop 0
	v_pk_fma_f32 v[18:19], v[22:23], v[28:29], v[18:19] op_sel_hi:[1,0,1]
	s_nop 0
	v_pk_add_f32 v[14:15], v[14:15], v[18:19] neg_lo:[0,1] neg_hi:[0,1]
	ds_write_b64 v11, v[14:15] offset:5368
	ds_read_b64 v[14:15], v30 offset:5112
	v_xor_b32_e32 v18, 0x80000000, v13
	v_mov_b32_e32 v19, v12
	s_waitcnt lgkmcnt(0)
	v_pk_mul_f32 v[18:19], v[14:15], v[18:19] op_sel:[1,0]
	s_nop 0
	v_pk_fma_f32 v[12:13], v[12:13], v[14:15], v[18:19] op_sel_hi:[1,0,1]
	s_nop 0
	v_pk_add_f32 v[12:13], v[16:17], v[12:13] neg_lo:[0,1] neg_hi:[0,1]
	ds_write_b64 v11, v[12:13] offset:4352
	ds_read_b64 v[14:15], v31 offset:4608
	v_xor_b32_e32 v16, 0x80000000, v21
	v_mov_b32_e32 v17, v20
	s_waitcnt lgkmcnt(0)
	v_pk_mul_f32 v[16:17], v[14:15], v[16:17] op_sel:[1,0]
	s_nop 0
	v_pk_fma_f32 v[14:15], v[20:21], v[14:15], v[16:17] op_sel_hi:[1,0,1]
	s_nop 0
	v_pk_add_f32 v[12:13], v[12:13], v[14:15] neg_lo:[0,1] neg_hi:[0,1]
	ds_write_b64 v11, v[12:13] offset:4352
.LBB191_16:
	s_or_b64 exec, exec, s[12:13]
	s_waitcnt lgkmcnt(0)
	s_barrier
	s_and_saveexec_b64 s[10:11], s[8:9]
	s_cbranch_execz .LBB191_18
; %bb.17:
	v_max_u32_e32 v11, 1, v7
	v_add_u32_e32 v12, 0x800, v10
	ds_read2_b64 v[12:15], v12 offset0:16 offset1:143
	v_lshlrev_b32_e32 v11, 3, v11
	ds_read_b64 v[24:25], v11 offset:5112
	v_add_u32_e32 v16, 0x1000, v10
	v_min_u32_e32 v20, 0x5f, v7
	ds_read2_b64 v[16:19], v16 offset0:16 offset1:143
	v_lshlrev_b32_e32 v30, 3, v20
	ds_read2_b64 v[20:23], v10 offset0:16 offset1:143
	ds_read_b64 v[28:29], v30 offset:4352
	s_waitcnt lgkmcnt(4)
	v_xor_b32_e32 v26, 0x80000000, v15
	v_mov_b32_e32 v27, v14
	s_waitcnt lgkmcnt(3)
	v_pk_mul_f32 v[26:27], v[24:25], v[26:27] op_sel:[1,0]
	s_nop 0
	v_pk_fma_f32 v[14:15], v[14:15], v[24:25], v[26:27] op_sel_hi:[1,0,1]
	s_waitcnt lgkmcnt(2)
	v_pk_add_f32 v[14:15], v[18:19], v[14:15] neg_lo:[0,1] neg_hi:[0,1]
	s_waitcnt lgkmcnt(1)
	v_xor_b32_e32 v18, 0x80000000, v23
	v_mov_b32_e32 v19, v22
	s_waitcnt lgkmcnt(0)
	v_pk_mul_f32 v[18:19], v[28:29], v[18:19] op_sel:[1,0]
	s_nop 0
	v_pk_fma_f32 v[18:19], v[22:23], v[28:29], v[18:19] op_sel_hi:[1,0,1]
	s_nop 0
	v_pk_add_f32 v[14:15], v[14:15], v[18:19] neg_lo:[0,1] neg_hi:[0,1]
	ds_write_b64 v10, v[14:15] offset:5240
	ds_read_b64 v[14:15], v11 offset:5112
	v_xor_b32_e32 v18, 0x80000000, v13
	v_mov_b32_e32 v19, v12
	s_waitcnt lgkmcnt(0)
	v_pk_mul_f32 v[18:19], v[14:15], v[18:19] op_sel:[1,0]
	s_nop 0
	v_pk_fma_f32 v[12:13], v[12:13], v[14:15], v[18:19] op_sel_hi:[1,0,1]
	s_nop 0
	v_pk_add_f32 v[12:13], v[16:17], v[12:13] neg_lo:[0,1] neg_hi:[0,1]
	ds_write_b64 v10, v[12:13] offset:4224
	ds_read_b64 v[14:15], v30 offset:4352
	v_xor_b32_e32 v16, 0x80000000, v21
	v_mov_b32_e32 v17, v20
	s_waitcnt lgkmcnt(0)
	v_pk_mul_f32 v[16:17], v[14:15], v[16:17] op_sel:[1,0]
	s_nop 0
	v_pk_fma_f32 v[14:15], v[20:21], v[14:15], v[16:17] op_sel_hi:[1,0,1]
	s_nop 0
	v_pk_add_f32 v[12:13], v[12:13], v[14:15] neg_lo:[0,1] neg_hi:[0,1]
	ds_write_b64 v10, v[12:13] offset:4224
.LBB191_18:
	s_or_b64 exec, exec, s[10:11]
	v_lshlrev_b32_e32 v10, 4, v0
	s_waitcnt lgkmcnt(0)
	s_barrier
	s_and_saveexec_b64 s[8:9], s[6:7]
	s_cbranch_execz .LBB191_20
; %bb.19:
	v_max_u32_e32 v11, 1, v10
	v_add_u32_e32 v12, 0x800, v9
	ds_read2_b64 v[12:15], v12 offset0:8 offset1:135
	v_lshlrev_b32_e32 v11, 3, v11
	ds_read_b64 v[24:25], v11 offset:5112
	v_add_u32_e32 v16, 0x1000, v9
	v_min_u32_e32 v20, 0x6f, v10
	ds_read2_b64 v[16:19], v16 offset0:8 offset1:135
	v_lshlrev_b32_e32 v30, 3, v20
	ds_read2_b64 v[20:23], v9 offset0:8 offset1:135
	ds_read_b64 v[28:29], v30 offset:4224
	s_waitcnt lgkmcnt(4)
	v_xor_b32_e32 v26, 0x80000000, v15
	v_mov_b32_e32 v27, v14
	s_waitcnt lgkmcnt(3)
	v_pk_mul_f32 v[26:27], v[24:25], v[26:27] op_sel:[1,0]
	s_nop 0
	v_pk_fma_f32 v[14:15], v[14:15], v[24:25], v[26:27] op_sel_hi:[1,0,1]
	s_waitcnt lgkmcnt(2)
	v_pk_add_f32 v[14:15], v[18:19], v[14:15] neg_lo:[0,1] neg_hi:[0,1]
	s_waitcnt lgkmcnt(1)
	v_xor_b32_e32 v18, 0x80000000, v23
	v_mov_b32_e32 v19, v22
	s_waitcnt lgkmcnt(0)
	v_pk_mul_f32 v[18:19], v[28:29], v[18:19] op_sel:[1,0]
	s_nop 0
	v_pk_fma_f32 v[18:19], v[22:23], v[28:29], v[18:19] op_sel_hi:[1,0,1]
	s_nop 0
	v_pk_add_f32 v[14:15], v[14:15], v[18:19] neg_lo:[0,1] neg_hi:[0,1]
	ds_write_b64 v9, v[14:15] offset:5176
	ds_read_b64 v[14:15], v11 offset:5112
	v_xor_b32_e32 v18, 0x80000000, v13
	v_mov_b32_e32 v19, v12
	s_waitcnt lgkmcnt(0)
	v_pk_mul_f32 v[18:19], v[14:15], v[18:19] op_sel:[1,0]
	s_nop 0
	v_pk_fma_f32 v[12:13], v[12:13], v[14:15], v[18:19] op_sel_hi:[1,0,1]
	s_nop 0
	v_pk_add_f32 v[12:13], v[16:17], v[12:13] neg_lo:[0,1] neg_hi:[0,1]
	ds_write_b64 v9, v[12:13] offset:4160
	ds_read_b64 v[14:15], v30 offset:4224
	v_xor_b32_e32 v16, 0x80000000, v21
	v_mov_b32_e32 v17, v20
	s_waitcnt lgkmcnt(0)
	v_pk_mul_f32 v[16:17], v[14:15], v[16:17] op_sel:[1,0]
	s_nop 0
	v_pk_fma_f32 v[14:15], v[20:21], v[14:15], v[16:17] op_sel_hi:[1,0,1]
	s_nop 0
	v_pk_add_f32 v[12:13], v[12:13], v[14:15] neg_lo:[0,1] neg_hi:[0,1]
	ds_write_b64 v9, v[12:13] offset:4160
.LBB191_20:
	s_or_b64 exec, exec, s[8:9]
	s_waitcnt lgkmcnt(0)
	s_barrier
	s_and_saveexec_b64 s[6:7], s[4:5]
	s_cbranch_execz .LBB191_22
; %bb.21:
	v_max_u32_e32 v9, 1, v6
	v_add_u32_e32 v11, 0x800, v8
	ds_read2_b64 v[12:15], v11 offset0:4 offset1:131
	v_lshlrev_b32_e32 v9, 3, v9
	ds_read_b64 v[24:25], v9 offset:5112
	v_add_u32_e32 v11, 0x1000, v8
	v_min_u32_e32 v6, 0x77, v6
	ds_read2_b64 v[16:19], v11 offset0:4 offset1:131
	v_lshlrev_b32_e32 v6, 3, v6
	ds_read2_b64 v[20:23], v8 offset0:4 offset1:131
	ds_read_b64 v[28:29], v6 offset:4160
	s_waitcnt lgkmcnt(4)
	v_xor_b32_e32 v26, 0x80000000, v15
	v_mov_b32_e32 v27, v14
	s_waitcnt lgkmcnt(3)
	v_pk_mul_f32 v[26:27], v[24:25], v[26:27] op_sel:[1,0]
	s_nop 0
	v_pk_fma_f32 v[14:15], v[14:15], v[24:25], v[26:27] op_sel_hi:[1,0,1]
	s_waitcnt lgkmcnt(2)
	v_pk_add_f32 v[14:15], v[18:19], v[14:15] neg_lo:[0,1] neg_hi:[0,1]
	s_waitcnt lgkmcnt(1)
	v_xor_b32_e32 v18, 0x80000000, v23
	v_mov_b32_e32 v19, v22
	s_waitcnt lgkmcnt(0)
	v_pk_mul_f32 v[18:19], v[28:29], v[18:19] op_sel:[1,0]
	s_nop 0
	v_pk_fma_f32 v[18:19], v[22:23], v[28:29], v[18:19] op_sel_hi:[1,0,1]
	s_nop 0
	v_pk_add_f32 v[14:15], v[14:15], v[18:19] neg_lo:[0,1] neg_hi:[0,1]
	ds_write_b64 v8, v[14:15] offset:5144
	ds_read_b64 v[14:15], v9 offset:5112
	v_xor_b32_e32 v18, 0x80000000, v13
	v_mov_b32_e32 v19, v12
	s_waitcnt lgkmcnt(0)
	v_pk_mul_f32 v[18:19], v[14:15], v[18:19] op_sel:[1,0]
	s_nop 0
	v_pk_fma_f32 v[12:13], v[12:13], v[14:15], v[18:19] op_sel_hi:[1,0,1]
	s_nop 0
	v_pk_add_f32 v[12:13], v[16:17], v[12:13] neg_lo:[0,1] neg_hi:[0,1]
	ds_write_b64 v8, v[12:13] offset:4128
	ds_read_b64 v[14:15], v6 offset:4160
	v_xor_b32_e32 v16, 0x80000000, v21
	v_mov_b32_e32 v17, v20
	s_waitcnt lgkmcnt(0)
	v_pk_mul_f32 v[16:17], v[14:15], v[16:17] op_sel:[1,0]
	s_nop 0
	v_pk_fma_f32 v[14:15], v[20:21], v[14:15], v[16:17] op_sel_hi:[1,0,1]
	s_nop 0
	v_pk_add_f32 v[12:13], v[12:13], v[14:15] neg_lo:[0,1] neg_hi:[0,1]
	ds_write_b64 v8, v[12:13] offset:4128
.LBB191_22:
	s_or_b64 exec, exec, s[6:7]
	s_waitcnt lgkmcnt(0)
	s_barrier
	s_and_saveexec_b64 s[4:5], s[2:3]
	s_cbranch_execz .LBB191_24
; %bb.23:
	v_lshlrev_b32_e32 v6, 2, v0
	v_max_u32_e32 v8, 1, v6
	v_add_u32_e32 v9, 0x800, v7
	ds_read2_b64 v[12:15], v9 offset0:2 offset1:129
	v_lshlrev_b32_e32 v11, 3, v8
	ds_read_b64 v[8:9], v11 offset:5112
	v_min_u32_e32 v6, 0x7b, v6
	v_add_u32_e32 v16, 0x1000, v7
	ds_read2_b64 v[16:19], v16 offset0:2 offset1:129
	v_lshlrev_b32_e32 v6, 3, v6
	ds_read2_b64 v[20:23], v7 offset0:2 offset1:129
	ds_read_b64 v[26:27], v6 offset:4128
	s_waitcnt lgkmcnt(4)
	v_xor_b32_e32 v24, 0x80000000, v15
	v_mov_b32_e32 v25, v14
	s_waitcnt lgkmcnt(3)
	v_pk_mul_f32 v[24:25], v[8:9], v[24:25] op_sel:[1,0]
	s_nop 0
	v_pk_fma_f32 v[8:9], v[14:15], v[8:9], v[24:25] op_sel_hi:[1,0,1]
	s_waitcnt lgkmcnt(1)
	v_xor_b32_e32 v14, 0x80000000, v23
	v_mov_b32_e32 v15, v22
	s_waitcnt lgkmcnt(0)
	v_pk_mul_f32 v[14:15], v[26:27], v[14:15] op_sel:[1,0]
	v_pk_add_f32 v[8:9], v[18:19], v[8:9] neg_lo:[0,1] neg_hi:[0,1]
	v_pk_fma_f32 v[14:15], v[22:23], v[26:27], v[14:15] op_sel_hi:[1,0,1]
	s_nop 0
	v_pk_add_f32 v[8:9], v[8:9], v[14:15] neg_lo:[0,1] neg_hi:[0,1]
	ds_write_b64 v7, v[8:9] offset:5128
	ds_read_b64 v[8:9], v11 offset:5112
	v_xor_b32_e32 v14, 0x80000000, v13
	v_mov_b32_e32 v15, v12
	s_waitcnt lgkmcnt(0)
	v_pk_mul_f32 v[14:15], v[8:9], v[14:15] op_sel:[1,0]
	s_nop 0
	v_pk_fma_f32 v[8:9], v[12:13], v[8:9], v[14:15] op_sel_hi:[1,0,1]
	v_xor_b32_e32 v14, 0x80000000, v21
	v_pk_add_f32 v[8:9], v[16:17], v[8:9] neg_lo:[0,1] neg_hi:[0,1]
	ds_write_b64 v7, v[8:9] offset:4112
	ds_read_b64 v[12:13], v6 offset:4128
	v_mov_b32_e32 v15, v20
	s_waitcnt lgkmcnt(0)
	v_pk_mul_f32 v[14:15], v[12:13], v[14:15] op_sel:[1,0]
	s_nop 0
	v_pk_fma_f32 v[12:13], v[20:21], v[12:13], v[14:15] op_sel_hi:[1,0,1]
	s_nop 0
	v_pk_add_f32 v[8:9], v[8:9], v[12:13] neg_lo:[0,1] neg_hi:[0,1]
	ds_write_b64 v7, v[8:9] offset:4112
.LBB191_24:
	s_or_b64 exec, exec, s[4:5]
	s_waitcnt lgkmcnt(0)
	s_barrier
	s_and_saveexec_b64 s[2:3], s[0:1]
	s_cbranch_execz .LBB191_26
; %bb.25:
	v_lshlrev_b32_e32 v0, 1, v0
	v_max_u32_e32 v11, 1, v0
	v_add_u32_e32 v6, 0x800, v10
	ds_read2_b64 v[6:9], v6 offset0:1 offset1:128
	v_lshlrev_b32_e32 v11, 3, v11
	ds_read_b64 v[20:21], v11 offset:5112
	v_add_u32_e32 v12, 0x1000, v10
	v_min_u32_e32 v0, 0x7d, v0
	ds_read2_b64 v[12:15], v12 offset0:1 offset1:128
	v_lshlrev_b32_e32 v0, 3, v0
	ds_read2_b64 v[16:19], v10 offset0:1 offset1:128
	ds_read_b64 v[24:25], v0 offset:4112
	s_waitcnt lgkmcnt(4)
	v_xor_b32_e32 v22, 0x80000000, v9
	v_mov_b32_e32 v23, v8
	s_waitcnt lgkmcnt(3)
	v_pk_mul_f32 v[22:23], v[20:21], v[22:23] op_sel:[1,0]
	s_nop 0
	v_pk_fma_f32 v[8:9], v[8:9], v[20:21], v[22:23] op_sel_hi:[1,0,1]
	s_waitcnt lgkmcnt(2)
	v_pk_add_f32 v[8:9], v[14:15], v[8:9] neg_lo:[0,1] neg_hi:[0,1]
	s_waitcnt lgkmcnt(1)
	v_xor_b32_e32 v14, 0x80000000, v19
	v_mov_b32_e32 v15, v18
	s_waitcnt lgkmcnt(0)
	v_pk_mul_f32 v[14:15], v[24:25], v[14:15] op_sel:[1,0]
	s_nop 0
	v_pk_fma_f32 v[14:15], v[18:19], v[24:25], v[14:15] op_sel_hi:[1,0,1]
	s_nop 0
	v_pk_add_f32 v[8:9], v[8:9], v[14:15] neg_lo:[0,1] neg_hi:[0,1]
	ds_write_b64 v10, v[8:9] offset:5120
	ds_read_b64 v[8:9], v11 offset:5112
	v_xor_b32_e32 v14, 0x80000000, v7
	v_mov_b32_e32 v15, v6
	s_waitcnt lgkmcnt(0)
	v_pk_mul_f32 v[14:15], v[8:9], v[14:15] op_sel:[1,0]
	s_nop 0
	v_pk_fma_f32 v[6:7], v[6:7], v[8:9], v[14:15] op_sel_hi:[1,0,1]
	s_nop 0
	v_pk_add_f32 v[6:7], v[12:13], v[6:7] neg_lo:[0,1] neg_hi:[0,1]
	ds_write_b64 v10, v[6:7] offset:4104
	ds_read_b64 v[8:9], v0 offset:4112
	v_xor_b32_e32 v12, 0x80000000, v17
	v_mov_b32_e32 v13, v16
	s_waitcnt lgkmcnt(0)
	v_pk_mul_f32 v[12:13], v[8:9], v[12:13] op_sel:[1,0]
	s_nop 0
	v_pk_fma_f32 v[8:9], v[16:17], v[8:9], v[12:13] op_sel_hi:[1,0,1]
	s_nop 0
	v_pk_add_f32 v[6:7], v[6:7], v[8:9] neg_lo:[0,1] neg_hi:[0,1]
	ds_write_b64 v10, v[6:7] offset:4104
.LBB191_26:
	s_or_b64 exec, exec, s[2:3]
	s_waitcnt lgkmcnt(0)
	s_barrier
	ds_read2st64_b64 v[6:9], v1 offset1:2
	s_waitcnt lgkmcnt(0)
	global_store_dwordx2 v[2:3], v[6:7], off
	global_store_dwordx2 v[4:5], v[8:9], off
	s_endpgm
	.section	.rodata,"a",@progbits
	.p2align	6, 0x0
	.amdhsa_kernel _ZN9rocsparseL34gtsv_solve_spike_grid_level_kernelILj128E21rocsparse_complex_numIfEEEviiiPT0_PKS3_S6_
		.amdhsa_group_segment_fixed_size 6144
		.amdhsa_private_segment_fixed_size 0
		.amdhsa_kernarg_size 40
		.amdhsa_user_sgpr_count 2
		.amdhsa_user_sgpr_dispatch_ptr 0
		.amdhsa_user_sgpr_queue_ptr 0
		.amdhsa_user_sgpr_kernarg_segment_ptr 1
		.amdhsa_user_sgpr_dispatch_id 0
		.amdhsa_user_sgpr_kernarg_preload_length 0
		.amdhsa_user_sgpr_kernarg_preload_offset 0
		.amdhsa_user_sgpr_private_segment_size 0
		.amdhsa_uses_dynamic_stack 0
		.amdhsa_enable_private_segment 0
		.amdhsa_system_sgpr_workgroup_id_x 1
		.amdhsa_system_sgpr_workgroup_id_y 1
		.amdhsa_system_sgpr_workgroup_id_z 0
		.amdhsa_system_sgpr_workgroup_info 0
		.amdhsa_system_vgpr_workitem_id 0
		.amdhsa_next_free_vgpr 53
		.amdhsa_next_free_sgpr 16
		.amdhsa_accum_offset 56
		.amdhsa_reserve_vcc 1
		.amdhsa_float_round_mode_32 0
		.amdhsa_float_round_mode_16_64 0
		.amdhsa_float_denorm_mode_32 3
		.amdhsa_float_denorm_mode_16_64 3
		.amdhsa_dx10_clamp 1
		.amdhsa_ieee_mode 1
		.amdhsa_fp16_overflow 0
		.amdhsa_tg_split 0
		.amdhsa_exception_fp_ieee_invalid_op 0
		.amdhsa_exception_fp_denorm_src 0
		.amdhsa_exception_fp_ieee_div_zero 0
		.amdhsa_exception_fp_ieee_overflow 0
		.amdhsa_exception_fp_ieee_underflow 0
		.amdhsa_exception_fp_ieee_inexact 0
		.amdhsa_exception_int_div_zero 0
	.end_amdhsa_kernel
	.section	.text._ZN9rocsparseL34gtsv_solve_spike_grid_level_kernelILj128E21rocsparse_complex_numIfEEEviiiPT0_PKS3_S6_,"axG",@progbits,_ZN9rocsparseL34gtsv_solve_spike_grid_level_kernelILj128E21rocsparse_complex_numIfEEEviiiPT0_PKS3_S6_,comdat
.Lfunc_end191:
	.size	_ZN9rocsparseL34gtsv_solve_spike_grid_level_kernelILj128E21rocsparse_complex_numIfEEEviiiPT0_PKS3_S6_, .Lfunc_end191-_ZN9rocsparseL34gtsv_solve_spike_grid_level_kernelILj128E21rocsparse_complex_numIfEEEviiiPT0_PKS3_S6_
                                        ; -- End function
	.set _ZN9rocsparseL34gtsv_solve_spike_grid_level_kernelILj128E21rocsparse_complex_numIfEEEviiiPT0_PKS3_S6_.num_vgpr, 53
	.set _ZN9rocsparseL34gtsv_solve_spike_grid_level_kernelILj128E21rocsparse_complex_numIfEEEviiiPT0_PKS3_S6_.num_agpr, 0
	.set _ZN9rocsparseL34gtsv_solve_spike_grid_level_kernelILj128E21rocsparse_complex_numIfEEEviiiPT0_PKS3_S6_.numbered_sgpr, 16
	.set _ZN9rocsparseL34gtsv_solve_spike_grid_level_kernelILj128E21rocsparse_complex_numIfEEEviiiPT0_PKS3_S6_.num_named_barrier, 0
	.set _ZN9rocsparseL34gtsv_solve_spike_grid_level_kernelILj128E21rocsparse_complex_numIfEEEviiiPT0_PKS3_S6_.private_seg_size, 0
	.set _ZN9rocsparseL34gtsv_solve_spike_grid_level_kernelILj128E21rocsparse_complex_numIfEEEviiiPT0_PKS3_S6_.uses_vcc, 1
	.set _ZN9rocsparseL34gtsv_solve_spike_grid_level_kernelILj128E21rocsparse_complex_numIfEEEviiiPT0_PKS3_S6_.uses_flat_scratch, 0
	.set _ZN9rocsparseL34gtsv_solve_spike_grid_level_kernelILj128E21rocsparse_complex_numIfEEEviiiPT0_PKS3_S6_.has_dyn_sized_stack, 0
	.set _ZN9rocsparseL34gtsv_solve_spike_grid_level_kernelILj128E21rocsparse_complex_numIfEEEviiiPT0_PKS3_S6_.has_recursion, 0
	.set _ZN9rocsparseL34gtsv_solve_spike_grid_level_kernelILj128E21rocsparse_complex_numIfEEEviiiPT0_PKS3_S6_.has_indirect_call, 0
	.section	.AMDGPU.csdata,"",@progbits
; Kernel info:
; codeLenInByte = 7940
; TotalNumSgprs: 22
; NumVgprs: 53
; NumAgprs: 0
; TotalNumVgprs: 53
; ScratchSize: 0
; MemoryBound: 0
; FloatMode: 240
; IeeeMode: 1
; LDSByteSize: 6144 bytes/workgroup (compile time only)
; SGPRBlocks: 2
; VGPRBlocks: 6
; NumSGPRsForWavesPerEU: 22
; NumVGPRsForWavesPerEU: 53
; AccumOffset: 56
; Occupancy: 8
; WaveLimiterHint : 1
; COMPUTE_PGM_RSRC2:SCRATCH_EN: 0
; COMPUTE_PGM_RSRC2:USER_SGPR: 2
; COMPUTE_PGM_RSRC2:TRAP_HANDLER: 0
; COMPUTE_PGM_RSRC2:TGID_X_EN: 1
; COMPUTE_PGM_RSRC2:TGID_Y_EN: 1
; COMPUTE_PGM_RSRC2:TGID_Z_EN: 0
; COMPUTE_PGM_RSRC2:TIDIG_COMP_CNT: 0
; COMPUTE_PGM_RSRC3_GFX90A:ACCUM_OFFSET: 13
; COMPUTE_PGM_RSRC3_GFX90A:TG_SPLIT: 0
	.section	.text._ZN9rocsparseL34gtsv_solve_spike_grid_level_kernelILj256E21rocsparse_complex_numIfEEEviiiPT0_PKS3_S6_,"axG",@progbits,_ZN9rocsparseL34gtsv_solve_spike_grid_level_kernelILj256E21rocsparse_complex_numIfEEEviiiPT0_PKS3_S6_,comdat
	.globl	_ZN9rocsparseL34gtsv_solve_spike_grid_level_kernelILj256E21rocsparse_complex_numIfEEEviiiPT0_PKS3_S6_ ; -- Begin function _ZN9rocsparseL34gtsv_solve_spike_grid_level_kernelILj256E21rocsparse_complex_numIfEEEviiiPT0_PKS3_S6_
	.p2align	8
	.type	_ZN9rocsparseL34gtsv_solve_spike_grid_level_kernelILj256E21rocsparse_complex_numIfEEEviiiPT0_PKS3_S6_,@function
_ZN9rocsparseL34gtsv_solve_spike_grid_level_kernelILj256E21rocsparse_complex_numIfEEEviiiPT0_PKS3_S6_: ; @_ZN9rocsparseL34gtsv_solve_spike_grid_level_kernelILj256E21rocsparse_complex_numIfEEEviiiPT0_PKS3_S6_
; %bb.0:
	s_load_dwordx4 s[4:7], s[0:1], 0x10
	s_load_dwordx2 s[8:9], s[0:1], 0x20
	v_lshl_or_b32 v4, s3, 9, v0
	v_mov_b32_e32 v5, 0
	v_lshlrev_b32_e32 v6, 3, v0
	s_waitcnt lgkmcnt(0)
	v_lshl_add_u64 v[2:3], v[4:5], 3, s[4:5]
	v_or_b32_e32 v4, 0x100, v4
	global_load_dwordx2 v[8:9], v6, s[6:7]
	global_load_dwordx2 v[10:11], v6, s[6:7] offset:2048
	global_load_dwordx2 v[12:13], v6, s[8:9]
	global_load_dwordx2 v[14:15], v6, s[8:9] offset:2048
	v_lshl_add_u64 v[4:5], v[4:5], 3, s[4:5]
	global_load_dwordx2 v[16:17], v[2:3], off
	global_load_dwordx2 v[18:19], v[4:5], off
	s_movk_i32 s0, 0x80
	v_or_b32_e32 v1, 0x2000, v6
	v_cmp_gt_u32_e64 s[0:1], s0, v0
	s_waitcnt vmcnt(4)
	ds_write2st64_b64 v6, v[8:9], v[10:11] offset0:8 offset1:12
	s_waitcnt vmcnt(2)
	ds_write2st64_b64 v6, v[12:13], v[14:15] offset1:4
	s_waitcnt vmcnt(0)
	ds_write2st64_b64 v6, v[16:17], v[18:19] offset0:16 offset1:20
	s_waitcnt lgkmcnt(0)
	s_barrier
	s_and_saveexec_b64 s[2:3], s[0:1]
	s_cbranch_execz .LBB192_2
; %bb.1:
	v_or_b32_e32 v7, 0x1000, v6
	v_add_u32_e32 v7, v7, v6
	ds_read2_b64 v[8:11], v7 offset1:1
	v_add_u32_e32 v47, v6, v6
	ds_read_b128 v[12:15], v47 offset:2048
	ds_read_b64 v[36:37], v7 offset:2056
	s_mov_b64 s[4:5], 0x3f800000
	v_add_u32_e32 v49, v1, v6
	s_waitcnt lgkmcnt(2)
	v_xor_b32_e32 v20, 0x80000000, v11
	v_mov_b32_e32 v21, v10
	s_waitcnt lgkmcnt(1)
	v_pk_mul_f32 v[20:21], v[12:13], v[20:21] op_sel:[1,0]
	ds_read_b128 v[16:19], v47
	v_pk_fma_f32 v[12:13], v[10:11], v[12:13], v[20:21] op_sel_hi:[1,0,1]
	v_add_u32_e32 v28, 0x800, v49
	v_pk_add_f32 v[12:13], v[12:13], s[4:5] neg_lo:[1,0] neg_hi:[1,0]
	s_nop 0
	v_mul_f32_e32 v20, v13, v13
	v_fmac_f32_e32 v20, v12, v12
	v_div_scale_f32 v21, s[4:5], v20, v20, 1.0
	v_rcp_f32_e32 v22, v21
	v_fma_f32 v39, v12, 0, -v13
	v_fmac_f32_e32 v12, 0, v13
	v_add_u32_e32 v13, 0x800, v7
	v_fma_f32 v23, -v21, v22, 1.0
	v_fmac_f32_e32 v22, v23, v22
	v_div_scale_f32 v23, vcc, 1.0, v20, 1.0
	v_mul_f32_e32 v24, v23, v22
	v_fma_f32 v25, -v21, v24, v23
	v_fmac_f32_e32 v24, v25, v22
	v_fma_f32 v21, -v21, v24, v23
	v_div_fmas_f32 v21, v21, v22, v24
	v_div_fixup_f32 v38, v21, v20, 1.0
	ds_read_b128 v[20:23], v49
	ds_read2st64_b64 v[24:27], v47 offset1:4
	ds_read2_b64 v[28:31], v28 offset1:1
	s_waitcnt lgkmcnt(2)
	v_mov_b32_e32 v32, v23
	s_waitcnt lgkmcnt(1)
	v_pk_mul_f32 v[32:33], v[32:33], v[26:27] op_sel:[0,1] op_sel_hi:[0,0] neg_lo:[0,1]
	v_pk_fma_f32 v[32:33], v[26:27], v[22:23], v[32:33] op_sel_hi:[1,0,1]
	s_waitcnt lgkmcnt(0)
	v_pk_mul_f32 v[44:45], v[10:11], v[28:29] op_sel:[1,1] op_sel_hi:[1,0] neg_lo:[0,1]
	v_pk_add_f32 v[40:41], v[28:29], v[32:33] neg_lo:[0,1] neg_hi:[0,1]
	ds_read2_b64 v[32:35], v13 offset1:1
	v_pk_fma_f32 v[28:29], v[28:29], v[10:11], v[44:45] op_sel_hi:[1,0,1]
	v_mov_b32_e32 v13, v39
	v_xor_b32_e32 v42, 0x80000000, v41
	v_mov_b32_e32 v43, v40
	v_pk_add_f32 v[22:23], v[22:23], v[28:29] neg_lo:[0,1] neg_hi:[0,1]
	v_pk_mul_f32 v[38:39], v[12:13], v[38:39] op_sel_hi:[1,0]
	v_xor_b32_e32 v28, 0x80000000, v23
	v_mov_b32_e32 v29, v22
	v_mul_f32_e64 v46, v19, -v27
	v_mul_f32_e32 v48, v19, v26
	v_pk_mul_f32 v[12:13], v[38:39], v[42:43] op_sel:[1,0]
	v_fmac_f32_e32 v46, v26, v18
	v_fmac_f32_e32 v48, v27, v18
	v_pk_fma_f32 v[26:27], v[40:41], v[38:39], v[12:13] op_sel_hi:[1,0,1]
	v_pk_mul_f32 v[12:13], v[38:39], v[28:29] op_sel:[1,0]
	s_waitcnt lgkmcnt(0)
	v_xor_b32_e32 v44, 0x80000000, v35
	v_pk_fma_f32 v[22:23], v[22:23], v[38:39], v[12:13] op_sel_hi:[1,0,1]
	v_mov_b32_e32 v45, v34
	v_pk_mul_f32 v[12:13], v[22:23], v[16:17] op_sel:[1,1] op_sel_hi:[1,0] neg_lo:[0,1]
	s_nop 0
	v_pk_fma_f32 v[12:13], v[16:17], v[22:23], v[12:13] op_sel_hi:[1,0,1]
	v_pk_add_f32 v[16:17], v[38:39], 0 neg_lo:[1,1] neg_hi:[1,1]
	v_pk_add_f32 v[20:21], v[20:21], v[12:13] neg_lo:[0,1] neg_hi:[0,1]
	ds_write_b128 v49, v[20:23]
	v_pk_mov_b32 v[20:21], v[38:39], v[16:17] op_sel:[1,0]
	v_mov_b32_e32 v22, v19
	v_pk_mov_b32 v[16:17], v[16:17], v[38:39] op_sel:[1,0]
	v_pk_mul_f32 v[12:13], v[26:27], v[44:45] op_sel:[1,0]
	v_pk_mul_f32 v[16:17], v[22:23], v[16:17] op_sel_hi:[0,1]
	v_mul_f32_e32 v22, v11, v32
	v_pk_fma_f32 v[18:19], v[38:39], v[18:19], v[16:17] op_sel_hi:[1,0,1]
	v_mul_f32_e64 v16, v11, -v33
	v_fmac_f32_e32 v22, v33, v10
	v_pk_fma_f32 v[12:13], v[34:35], v[26:27], v[12:13] op_sel_hi:[1,0,1]
	v_fmac_f32_e32 v16, v32, v10
	v_pk_mul_f32 v[10:11], v[20:21], v[22:23] op_sel_hi:[1,0]
	v_pk_add_f32 v[28:29], v[30:31], v[12:13] neg_lo:[0,1] neg_hi:[0,1]
	v_pk_fma_f32 v[10:11], v[38:39], v[16:17], v[10:11] op_sel_hi:[1,0,1] neg_lo:[1,0,0] neg_hi:[1,0,0]
	ds_write_b128 v49, v[26:29] offset:2048
	v_xor_b32_e32 v26, 0x80000000, v39
	v_mov_b32_e32 v27, v38
	v_pk_mul_f32 v[22:23], v[10:11], v[24:25] op_sel:[1,1] op_sel_hi:[1,0] neg_lo:[0,1]
	v_pk_mul_f32 v[16:17], v[32:33], v[26:27] op_sel:[1,0]
	v_pk_fma_f32 v[22:23], v[24:25], v[10:11], v[22:23] op_sel_hi:[1,0,1]
	v_pk_mul_f32 v[12:13], v[20:21], v[48:49] op_sel_hi:[1,0]
	v_pk_fma_f32 v[20:21], v[38:39], v[32:33], v[16:17] op_sel_hi:[1,0,1]
	v_pk_add_f32 v[16:17], v[24:25], 0 neg_lo:[1,1] neg_hi:[1,1]
	v_pk_add_f32 v[8:9], v[8:9], v[22:23] neg_lo:[0,1] neg_hi:[0,1]
	ds_write_b128 v7, v[8:11]
	v_pk_mov_b32 v[8:9], v[24:25], v[16:17] op_sel:[1,0]
	v_pk_fma_f32 v[12:13], v[38:39], v[46:47], v[12:13] op_sel_hi:[1,0,1] neg_lo:[1,0,0] neg_hi:[1,0,0]
	v_pk_mul_f32 v[8:9], v[18:19], v[8:9] op_sel:[1,0]
	s_nop 0
	v_pk_fma_f32 v[16:17], v[24:25], v[18:19], v[8:9] op_sel_hi:[1,0,1] neg_lo:[1,0,0] neg_hi:[1,0,0]
	v_xor_b32_e32 v8, 0x80000000, v13
	v_mov_b32_e32 v9, v12
	v_pk_mul_f32 v[8:9], v[36:37], v[8:9] op_sel:[1,0]
	ds_write_b128 v47, v[16:19]
	v_pk_fma_f32 v[8:9], v[12:13], v[36:37], v[8:9] op_sel_hi:[1,0,1]
	s_nop 0
	v_pk_add_f32 v[14:15], v[14:15], v[8:9] neg_lo:[0,1] neg_hi:[0,1]
	v_pk_add_f32 v[8:9], v[36:37], 0 neg_lo:[1,1] neg_hi:[1,1]
	ds_write_b128 v47, v[12:15] offset:2048
	v_pk_mov_b32 v[8:9], v[36:37], v[8:9] op_sel:[1,0]
	s_nop 0
	v_pk_mul_f32 v[8:9], v[20:21], v[8:9] op_sel:[1,0]
	s_nop 0
	v_pk_fma_f32 v[22:23], v[36:37], v[20:21], v[8:9] op_sel_hi:[1,0,1] neg_lo:[1,0,0] neg_hi:[1,0,0]
	ds_write_b128 v7, v[20:23] offset:2048
.LBB192_2:
	s_or_b64 exec, exec, s[2:3]
	v_cmp_gt_u32_e64 s[2:3], 64, v0
	v_lshlrev_b32_e32 v7, 5, v0
	s_waitcnt lgkmcnt(0)
	s_barrier
	s_and_saveexec_b64 s[4:5], s[2:3]
	s_cbranch_execz .LBB192_4
; %bb.3:
	v_add_u32_e32 v45, 0x1000, v7
	ds_read2_b64 v[8:11], v45 offset1:2
	v_add_u32_e32 v48, 0x800, v7
	ds_read2_b64 v[12:15], v48 offset0:1 offset1:3
	s_mov_b64 s[6:7], 0x3f800000
	v_add_u32_e32 v49, 0x1800, v7
	s_waitcnt lgkmcnt(1)
	v_xor_b32_e32 v16, 0x80000000, v11
	v_mov_b32_e32 v17, v10
	s_waitcnt lgkmcnt(0)
	v_pk_mul_f32 v[16:17], v[12:13], v[16:17] op_sel:[1,0]
	ds_read_b64 v[36:37], v7
	v_pk_fma_f32 v[16:17], v[10:11], v[12:13], v[16:17] op_sel_hi:[1,0,1]
	s_waitcnt lgkmcnt(0)
	v_xor_b32_e32 v40, 0x80000000, v37
	v_pk_add_f32 v[24:25], v[16:17], s[6:7] neg_lo:[1,0] neg_hi:[1,0]
	v_mov_b32_e32 v41, v36
	v_mul_f32_e32 v20, v25, v25
	v_fmac_f32_e32 v20, v24, v24
	v_div_scale_f32 v16, s[6:7], v20, v20, 1.0
	v_rcp_f32_e32 v21, v16
	v_fma_f32 v27, v24, 0, -v25
	v_fmac_f32_e32 v24, 0, v25
	v_mov_b32_e32 v25, v27
	v_fma_f32 v17, -v16, v21, 1.0
	v_fmac_f32_e32 v21, v17, v21
	v_div_scale_f32 v17, vcc, 1.0, v20, 1.0
	v_mul_f32_e32 v22, v17, v21
	v_fma_f32 v18, -v16, v22, v17
	v_fmac_f32_e32 v22, v18, v21
	v_fma_f32 v23, -v16, v22, v17
	v_add_u32_e32 v16, 0x2010, v7
	ds_read2_b64 v[16:19], v16 offset1:255
	v_div_fmas_f32 v21, v23, v21, v22
	v_div_fixup_f32 v26, v21, v20, 1.0
	v_pk_mul_f32 v[46:47], v[24:25], v[26:27] op_sel_hi:[1,0]
	s_waitcnt lgkmcnt(0)
	v_pk_mul_f32 v[20:21], v[16:17], v[12:13] op_sel:[1,1] op_sel_hi:[1,0] neg_lo:[0,1]
	s_nop 0
	v_pk_fma_f32 v[20:21], v[12:13], v[16:17], v[20:21] op_sel_hi:[1,0,1]
	s_nop 0
	v_pk_add_f32 v[28:29], v[18:19], v[20:21] neg_lo:[0,1] neg_hi:[0,1]
	v_pk_mul_f32 v[20:21], v[10:11], v[18:19] op_sel:[1,1] op_sel_hi:[1,0] neg_lo:[0,1]
	v_xor_b32_e32 v30, 0x80000000, v29
	v_pk_fma_f32 v[18:19], v[18:19], v[10:11], v[20:21] op_sel_hi:[1,0,1]
	v_mov_b32_e32 v31, v28
	v_pk_add_f32 v[32:33], v[16:17], v[18:19] neg_lo:[0,1] neg_hi:[0,1]
	ds_read2_b64 v[16:19], v49 offset0:1 offset1:3
	ds_read2_b64 v[20:23], v7 offset1:2
	ds_read_b64 v[38:39], v7 offset:10264
	v_pk_mul_f32 v[24:25], v[46:47], v[30:31] op_sel:[1,0]
	v_xor_b32_e32 v34, 0x80000000, v33
	v_mov_b32_e32 v35, v32
	s_waitcnt lgkmcnt(1)
	v_mul_f32_e64 v44, v23, -v13
	v_fmac_f32_e32 v44, v12, v22
	v_mul_f32_e32 v12, v23, v12
	v_fmac_f32_e32 v12, v13, v22
	v_add_u32_e32 v13, 0x1810, v7
	v_pk_fma_f32 v[28:29], v[28:29], v[46:47], v[24:25] op_sel_hi:[1,0,1]
	ds_read2_b64 v[24:27], v13 offset0:1 offset1:254
	v_pk_mul_f32 v[30:31], v[46:47], v[34:35] op_sel:[1,0]
	v_xor_b32_e32 v42, 0x80000000, v19
	v_pk_fma_f32 v[30:31], v[32:33], v[46:47], v[30:31] op_sel_hi:[1,0,1]
	v_mov_b32_e32 v43, v18
	v_pk_mul_f32 v[32:33], v[30:31], v[40:41] op_sel:[1,0]
	v_add_u32_e32 v13, 0x2000, v7
	v_pk_fma_f32 v[32:33], v[36:37], v[30:31], v[32:33] op_sel_hi:[1,0,1]
	s_waitcnt lgkmcnt(0)
	v_pk_add_f32 v[26:27], v[26:27], v[32:33] neg_lo:[0,1] neg_hi:[0,1]
	ds_write2_b64 v13, v[26:27], v[30:31] offset1:2
	v_pk_mul_f32 v[26:27], v[28:29], v[42:43] op_sel:[1,0]
	v_add_u32_e32 v13, 0x2800, v7
	v_pk_fma_f32 v[18:19], v[18:19], v[28:29], v[26:27] op_sel_hi:[1,0,1]
	s_nop 0
	v_pk_add_f32 v[18:19], v[38:39], v[18:19] neg_lo:[0,1] neg_hi:[0,1]
	ds_write2_b64 v13, v[28:29], v[18:19] offset0:1 offset1:3
	v_pk_add_f32 v[18:19], v[46:47], 0 neg_lo:[1,1] neg_hi:[1,1]
	v_mul_f32_e32 v28, v11, v16
	v_pk_mov_b32 v[26:27], v[46:47], v[18:19] op_sel:[1,0]
	v_pk_mov_b32 v[18:19], v[18:19], v[46:47] op_sel:[1,0]
	v_fmac_f32_e32 v28, v17, v10
	v_pk_mul_f32 v[18:19], v[22:23], v[18:19] op_sel:[1,0]
	v_pk_mul_f32 v[12:13], v[26:27], v[12:13] op_sel_hi:[1,0]
	v_pk_fma_f32 v[18:19], v[46:47], v[22:23], v[18:19] op_sel_hi:[1,0,1]
	v_mul_f32_e64 v22, v11, -v17
	v_fmac_f32_e32 v22, v16, v10
	v_pk_mul_f32 v[26:27], v[26:27], v[28:29] op_sel_hi:[1,0]
	v_xor_b32_e32 v10, 0x80000000, v47
	v_pk_fma_f32 v[22:23], v[46:47], v[22:23], v[26:27] op_sel_hi:[1,0,1] neg_lo:[1,0,0] neg_hi:[1,0,0]
	v_mov_b32_e32 v11, v46
	v_pk_mul_f32 v[26:27], v[22:23], v[20:21] op_sel:[1,1] op_sel_hi:[1,0] neg_lo:[0,1]
	v_pk_mul_f32 v[10:11], v[16:17], v[10:11] op_sel:[1,0]
	v_pk_fma_f32 v[26:27], v[20:21], v[22:23], v[26:27] op_sel_hi:[1,0,1]
	v_pk_fma_f32 v[10:11], v[46:47], v[16:17], v[10:11] op_sel_hi:[1,0,1]
	v_pk_add_f32 v[16:17], v[20:21], 0 neg_lo:[1,1] neg_hi:[1,1]
	v_pk_add_f32 v[8:9], v[8:9], v[26:27] neg_lo:[0,1] neg_hi:[0,1]
	ds_write2_b64 v45, v[8:9], v[22:23] offset1:2
	v_pk_mov_b32 v[8:9], v[20:21], v[16:17] op_sel:[1,0]
	v_pk_fma_f32 v[12:13], v[46:47], v[44:45], v[12:13] op_sel_hi:[1,0,1] neg_lo:[1,0,0] neg_hi:[1,0,0]
	v_pk_mul_f32 v[8:9], v[18:19], v[8:9] op_sel:[1,0]
	s_nop 0
	v_pk_fma_f32 v[8:9], v[20:21], v[18:19], v[8:9] op_sel_hi:[1,0,1] neg_lo:[1,0,0] neg_hi:[1,0,0]
	ds_write2_b64 v7, v[8:9], v[18:19] offset1:2
	v_xor_b32_e32 v8, 0x80000000, v13
	v_mov_b32_e32 v9, v12
	v_pk_mul_f32 v[8:9], v[24:25], v[8:9] op_sel:[1,0]
	s_nop 0
	v_pk_fma_f32 v[8:9], v[12:13], v[24:25], v[8:9] op_sel_hi:[1,0,1]
	s_nop 0
	v_pk_add_f32 v[8:9], v[14:15], v[8:9] neg_lo:[0,1] neg_hi:[0,1]
	ds_write2_b64 v48, v[12:13], v[8:9] offset0:1 offset1:3
	v_pk_add_f32 v[8:9], v[24:25], 0 neg_lo:[1,1] neg_hi:[1,1]
	s_nop 0
	v_pk_mov_b32 v[8:9], v[24:25], v[8:9] op_sel:[1,0]
	s_nop 0
	v_pk_mul_f32 v[8:9], v[10:11], v[8:9] op_sel:[1,0]
	s_nop 0
	v_pk_fma_f32 v[8:9], v[24:25], v[10:11], v[8:9] op_sel_hi:[1,0,1] neg_lo:[1,0,0] neg_hi:[1,0,0]
	ds_write2_b64 v49, v[10:11], v[8:9] offset0:1 offset1:3
.LBB192_4:
	s_or_b64 exec, exec, s[4:5]
	v_cmp_gt_u32_e64 s[4:5], 32, v0
	v_lshlrev_b32_e32 v8, 6, v0
	s_waitcnt lgkmcnt(0)
	s_barrier
	s_and_saveexec_b64 s[6:7], s[4:5]
	s_cbranch_execz .LBB192_6
; %bb.5:
	v_add_u32_e32 v9, 0x1000, v8
	ds_read2_b64 v[10:13], v9 offset1:4
	v_add_u32_e32 v47, 0x800, v8
	ds_read2_b64 v[14:17], v47 offset0:3 offset1:7
	s_mov_b64 s[8:9], 0x3f800000
	v_add_u32_e32 v50, 0x1800, v8
	s_waitcnt lgkmcnt(1)
	v_xor_b32_e32 v18, 0x80000000, v13
	v_mov_b32_e32 v19, v12
	s_waitcnt lgkmcnt(0)
	v_pk_mul_f32 v[18:19], v[14:15], v[18:19] op_sel:[1,0]
	ds_read_b64 v[38:39], v8
	v_pk_fma_f32 v[18:19], v[12:13], v[14:15], v[18:19] op_sel_hi:[1,0,1]
	s_waitcnt lgkmcnt(0)
	v_xor_b32_e32 v42, 0x80000000, v39
	v_pk_add_f32 v[26:27], v[18:19], s[8:9] neg_lo:[1,0] neg_hi:[1,0]
	v_mov_b32_e32 v43, v38
	v_mul_f32_e32 v22, v27, v27
	v_fmac_f32_e32 v22, v26, v26
	v_div_scale_f32 v18, s[8:9], v22, v22, 1.0
	v_rcp_f32_e32 v23, v18
	v_fma_f32 v29, v26, 0, -v27
	v_fmac_f32_e32 v26, 0, v27
	v_mov_b32_e32 v27, v29
	v_fma_f32 v19, -v18, v23, 1.0
	v_fmac_f32_e32 v23, v19, v23
	v_div_scale_f32 v19, vcc, 1.0, v22, 1.0
	v_mul_f32_e32 v24, v19, v23
	v_fma_f32 v20, -v18, v24, v19
	v_fmac_f32_e32 v24, v20, v23
	v_fma_f32 v25, -v18, v24, v19
	v_add_u32_e32 v18, 0x2020, v8
	ds_read2_b64 v[18:21], v18 offset1:255
	v_div_fmas_f32 v23, v25, v23, v24
	v_div_fixup_f32 v28, v23, v22, 1.0
	v_pk_mul_f32 v[48:49], v[26:27], v[28:29] op_sel_hi:[1,0]
	s_waitcnt lgkmcnt(0)
	v_pk_mul_f32 v[22:23], v[18:19], v[14:15] op_sel:[1,1] op_sel_hi:[1,0] neg_lo:[0,1]
	s_nop 0
	v_pk_fma_f32 v[22:23], v[14:15], v[18:19], v[22:23] op_sel_hi:[1,0,1]
	s_nop 0
	v_pk_add_f32 v[30:31], v[20:21], v[22:23] neg_lo:[0,1] neg_hi:[0,1]
	v_pk_mul_f32 v[22:23], v[12:13], v[20:21] op_sel:[1,1] op_sel_hi:[1,0] neg_lo:[0,1]
	v_xor_b32_e32 v32, 0x80000000, v31
	v_pk_fma_f32 v[20:21], v[20:21], v[12:13], v[22:23] op_sel_hi:[1,0,1]
	v_mov_b32_e32 v33, v30
	v_pk_add_f32 v[34:35], v[18:19], v[20:21] neg_lo:[0,1] neg_hi:[0,1]
	ds_read2_b64 v[18:21], v50 offset0:3 offset1:7
	ds_read2_b64 v[22:25], v8 offset1:4
	ds_read_b64 v[40:41], v8 offset:10296
	v_pk_mul_f32 v[26:27], v[48:49], v[32:33] op_sel:[1,0]
	v_xor_b32_e32 v36, 0x80000000, v35
	v_mov_b32_e32 v37, v34
	s_waitcnt lgkmcnt(1)
	v_mul_f32_e64 v46, v25, -v15
	v_fmac_f32_e32 v46, v14, v24
	v_mul_f32_e32 v14, v25, v14
	v_fmac_f32_e32 v14, v15, v24
	v_add_u32_e32 v15, 0x1820, v8
	v_pk_fma_f32 v[30:31], v[30:31], v[48:49], v[26:27] op_sel_hi:[1,0,1]
	ds_read2_b64 v[26:29], v15 offset0:3 offset1:252
	v_pk_mul_f32 v[32:33], v[48:49], v[36:37] op_sel:[1,0]
	v_xor_b32_e32 v44, 0x80000000, v21
	v_pk_fma_f32 v[32:33], v[34:35], v[48:49], v[32:33] op_sel_hi:[1,0,1]
	v_mov_b32_e32 v45, v20
	v_pk_mul_f32 v[34:35], v[32:33], v[42:43] op_sel:[1,0]
	v_add_u32_e32 v15, 0x2000, v8
	v_pk_fma_f32 v[34:35], v[38:39], v[32:33], v[34:35] op_sel_hi:[1,0,1]
	s_waitcnt lgkmcnt(0)
	v_pk_add_f32 v[28:29], v[28:29], v[34:35] neg_lo:[0,1] neg_hi:[0,1]
	ds_write2_b64 v15, v[28:29], v[32:33] offset1:4
	v_pk_mul_f32 v[28:29], v[30:31], v[44:45] op_sel:[1,0]
	v_add_u32_e32 v15, 0x2800, v8
	v_pk_fma_f32 v[20:21], v[20:21], v[30:31], v[28:29] op_sel_hi:[1,0,1]
	s_nop 0
	v_pk_add_f32 v[20:21], v[40:41], v[20:21] neg_lo:[0,1] neg_hi:[0,1]
	ds_write2_b64 v15, v[30:31], v[20:21] offset0:3 offset1:7
	v_pk_add_f32 v[20:21], v[48:49], 0 neg_lo:[1,1] neg_hi:[1,1]
	v_mul_f32_e32 v30, v13, v18
	v_pk_mov_b32 v[28:29], v[48:49], v[20:21] op_sel:[1,0]
	v_pk_mov_b32 v[20:21], v[20:21], v[48:49] op_sel:[1,0]
	v_fmac_f32_e32 v30, v19, v12
	v_pk_mul_f32 v[20:21], v[24:25], v[20:21] op_sel:[1,0]
	v_pk_mul_f32 v[14:15], v[28:29], v[14:15] op_sel_hi:[1,0]
	v_pk_fma_f32 v[20:21], v[48:49], v[24:25], v[20:21] op_sel_hi:[1,0,1]
	v_mul_f32_e64 v24, v13, -v19
	v_fmac_f32_e32 v24, v18, v12
	v_pk_mul_f32 v[28:29], v[28:29], v[30:31] op_sel_hi:[1,0]
	v_xor_b32_e32 v12, 0x80000000, v49
	v_pk_fma_f32 v[24:25], v[48:49], v[24:25], v[28:29] op_sel_hi:[1,0,1] neg_lo:[1,0,0] neg_hi:[1,0,0]
	v_mov_b32_e32 v13, v48
	v_pk_mul_f32 v[28:29], v[24:25], v[22:23] op_sel:[1,1] op_sel_hi:[1,0] neg_lo:[0,1]
	v_pk_mul_f32 v[12:13], v[18:19], v[12:13] op_sel:[1,0]
	v_pk_fma_f32 v[28:29], v[22:23], v[24:25], v[28:29] op_sel_hi:[1,0,1]
	v_pk_fma_f32 v[12:13], v[48:49], v[18:19], v[12:13] op_sel_hi:[1,0,1]
	v_pk_add_f32 v[18:19], v[22:23], 0 neg_lo:[1,1] neg_hi:[1,1]
	v_pk_add_f32 v[10:11], v[10:11], v[28:29] neg_lo:[0,1] neg_hi:[0,1]
	ds_write2_b64 v9, v[10:11], v[24:25] offset1:4
	v_pk_mov_b32 v[10:11], v[22:23], v[18:19] op_sel:[1,0]
	v_pk_fma_f32 v[14:15], v[48:49], v[46:47], v[14:15] op_sel_hi:[1,0,1] neg_lo:[1,0,0] neg_hi:[1,0,0]
	v_pk_mul_f32 v[10:11], v[20:21], v[10:11] op_sel:[1,0]
	s_nop 0
	v_pk_fma_f32 v[10:11], v[22:23], v[20:21], v[10:11] op_sel_hi:[1,0,1] neg_lo:[1,0,0] neg_hi:[1,0,0]
	ds_write2_b64 v8, v[10:11], v[20:21] offset1:4
	v_xor_b32_e32 v10, 0x80000000, v15
	v_mov_b32_e32 v11, v14
	v_pk_mul_f32 v[10:11], v[26:27], v[10:11] op_sel:[1,0]
	s_nop 0
	v_pk_fma_f32 v[10:11], v[14:15], v[26:27], v[10:11] op_sel_hi:[1,0,1]
	s_nop 0
	v_pk_add_f32 v[10:11], v[16:17], v[10:11] neg_lo:[0,1] neg_hi:[0,1]
	ds_write2_b64 v47, v[14:15], v[10:11] offset0:3 offset1:7
	v_pk_add_f32 v[10:11], v[26:27], 0 neg_lo:[1,1] neg_hi:[1,1]
	s_nop 0
	v_pk_mov_b32 v[10:11], v[26:27], v[10:11] op_sel:[1,0]
	s_nop 0
	v_pk_mul_f32 v[10:11], v[12:13], v[10:11] op_sel:[1,0]
	s_nop 0
	v_pk_fma_f32 v[10:11], v[26:27], v[12:13], v[10:11] op_sel_hi:[1,0,1] neg_lo:[1,0,0] neg_hi:[1,0,0]
	ds_write2_b64 v50, v[12:13], v[10:11] offset0:3 offset1:7
.LBB192_6:
	s_or_b64 exec, exec, s[6:7]
	v_cmp_gt_u32_e64 s[6:7], 16, v0
	v_lshlrev_b32_e32 v9, 7, v0
	s_waitcnt lgkmcnt(0)
	s_barrier
	s_and_saveexec_b64 s[8:9], s[6:7]
	s_cbranch_execz .LBB192_8
; %bb.7:
	v_add_u32_e32 v47, 0x1000, v9
	ds_read2_b64 v[10:13], v47 offset1:8
	v_add_u32_e32 v50, 0x800, v9
	ds_read2_b64 v[14:17], v50 offset0:7 offset1:15
	s_mov_b64 s[10:11], 0x3f800000
	v_add_u32_e32 v51, 0x1800, v9
	s_waitcnt lgkmcnt(1)
	v_xor_b32_e32 v18, 0x80000000, v13
	v_mov_b32_e32 v19, v12
	s_waitcnt lgkmcnt(0)
	v_pk_mul_f32 v[18:19], v[14:15], v[18:19] op_sel:[1,0]
	ds_read_b64 v[38:39], v9
	v_pk_fma_f32 v[18:19], v[12:13], v[14:15], v[18:19] op_sel_hi:[1,0,1]
	s_waitcnt lgkmcnt(0)
	v_xor_b32_e32 v42, 0x80000000, v39
	v_pk_add_f32 v[26:27], v[18:19], s[10:11] neg_lo:[1,0] neg_hi:[1,0]
	v_mov_b32_e32 v43, v38
	v_mul_f32_e32 v22, v27, v27
	v_fmac_f32_e32 v22, v26, v26
	v_div_scale_f32 v18, s[10:11], v22, v22, 1.0
	v_rcp_f32_e32 v23, v18
	v_fma_f32 v29, v26, 0, -v27
	v_fmac_f32_e32 v26, 0, v27
	v_mov_b32_e32 v27, v29
	v_fma_f32 v19, -v18, v23, 1.0
	v_fmac_f32_e32 v23, v19, v23
	v_div_scale_f32 v19, vcc, 1.0, v22, 1.0
	v_mul_f32_e32 v24, v19, v23
	v_fma_f32 v20, -v18, v24, v19
	v_fmac_f32_e32 v24, v20, v23
	v_fma_f32 v25, -v18, v24, v19
	v_add_u32_e32 v18, 0x2040, v9
	ds_read2_b64 v[18:21], v18 offset1:255
	v_div_fmas_f32 v23, v25, v23, v24
	v_div_fixup_f32 v28, v23, v22, 1.0
	v_pk_mul_f32 v[48:49], v[26:27], v[28:29] op_sel_hi:[1,0]
	s_waitcnt lgkmcnt(0)
	v_pk_mul_f32 v[22:23], v[18:19], v[14:15] op_sel:[1,1] op_sel_hi:[1,0] neg_lo:[0,1]
	s_nop 0
	v_pk_fma_f32 v[22:23], v[14:15], v[18:19], v[22:23] op_sel_hi:[1,0,1]
	s_nop 0
	v_pk_add_f32 v[30:31], v[20:21], v[22:23] neg_lo:[0,1] neg_hi:[0,1]
	v_pk_mul_f32 v[22:23], v[12:13], v[20:21] op_sel:[1,1] op_sel_hi:[1,0] neg_lo:[0,1]
	v_xor_b32_e32 v32, 0x80000000, v31
	v_pk_fma_f32 v[20:21], v[20:21], v[12:13], v[22:23] op_sel_hi:[1,0,1]
	v_mov_b32_e32 v33, v30
	v_pk_add_f32 v[34:35], v[18:19], v[20:21] neg_lo:[0,1] neg_hi:[0,1]
	ds_read2_b64 v[18:21], v51 offset0:7 offset1:15
	ds_read2_b64 v[22:25], v9 offset1:8
	ds_read_b64 v[40:41], v9 offset:10360
	v_pk_mul_f32 v[26:27], v[48:49], v[32:33] op_sel:[1,0]
	v_xor_b32_e32 v36, 0x80000000, v35
	v_mov_b32_e32 v37, v34
	s_waitcnt lgkmcnt(1)
	v_mul_f32_e64 v46, v25, -v15
	v_fmac_f32_e32 v46, v14, v24
	v_mul_f32_e32 v14, v25, v14
	v_fmac_f32_e32 v14, v15, v24
	v_add_u32_e32 v15, 0x1840, v9
	v_pk_fma_f32 v[30:31], v[30:31], v[48:49], v[26:27] op_sel_hi:[1,0,1]
	ds_read2_b64 v[26:29], v15 offset0:7 offset1:248
	v_pk_mul_f32 v[32:33], v[48:49], v[36:37] op_sel:[1,0]
	v_xor_b32_e32 v44, 0x80000000, v21
	v_pk_fma_f32 v[32:33], v[34:35], v[48:49], v[32:33] op_sel_hi:[1,0,1]
	v_mov_b32_e32 v45, v20
	v_pk_mul_f32 v[34:35], v[32:33], v[42:43] op_sel:[1,0]
	v_add_u32_e32 v15, 0x2000, v9
	v_pk_fma_f32 v[34:35], v[38:39], v[32:33], v[34:35] op_sel_hi:[1,0,1]
	s_waitcnt lgkmcnt(0)
	v_pk_add_f32 v[28:29], v[28:29], v[34:35] neg_lo:[0,1] neg_hi:[0,1]
	ds_write2_b64 v15, v[28:29], v[32:33] offset1:8
	v_pk_mul_f32 v[28:29], v[30:31], v[44:45] op_sel:[1,0]
	v_add_u32_e32 v15, 0x2800, v9
	v_pk_fma_f32 v[20:21], v[20:21], v[30:31], v[28:29] op_sel_hi:[1,0,1]
	s_nop 0
	v_pk_add_f32 v[20:21], v[40:41], v[20:21] neg_lo:[0,1] neg_hi:[0,1]
	ds_write2_b64 v15, v[30:31], v[20:21] offset0:7 offset1:15
	v_pk_add_f32 v[20:21], v[48:49], 0 neg_lo:[1,1] neg_hi:[1,1]
	v_mul_f32_e32 v30, v13, v18
	v_pk_mov_b32 v[28:29], v[48:49], v[20:21] op_sel:[1,0]
	v_pk_mov_b32 v[20:21], v[20:21], v[48:49] op_sel:[1,0]
	v_fmac_f32_e32 v30, v19, v12
	v_pk_mul_f32 v[20:21], v[24:25], v[20:21] op_sel:[1,0]
	v_pk_mul_f32 v[14:15], v[28:29], v[14:15] op_sel_hi:[1,0]
	v_pk_fma_f32 v[20:21], v[48:49], v[24:25], v[20:21] op_sel_hi:[1,0,1]
	v_mul_f32_e64 v24, v13, -v19
	v_fmac_f32_e32 v24, v18, v12
	v_pk_mul_f32 v[28:29], v[28:29], v[30:31] op_sel_hi:[1,0]
	v_xor_b32_e32 v12, 0x80000000, v49
	v_pk_fma_f32 v[24:25], v[48:49], v[24:25], v[28:29] op_sel_hi:[1,0,1] neg_lo:[1,0,0] neg_hi:[1,0,0]
	v_mov_b32_e32 v13, v48
	v_pk_mul_f32 v[28:29], v[24:25], v[22:23] op_sel:[1,1] op_sel_hi:[1,0] neg_lo:[0,1]
	v_pk_mul_f32 v[12:13], v[18:19], v[12:13] op_sel:[1,0]
	v_pk_fma_f32 v[28:29], v[22:23], v[24:25], v[28:29] op_sel_hi:[1,0,1]
	v_pk_fma_f32 v[12:13], v[48:49], v[18:19], v[12:13] op_sel_hi:[1,0,1]
	v_pk_add_f32 v[18:19], v[22:23], 0 neg_lo:[1,1] neg_hi:[1,1]
	v_pk_add_f32 v[10:11], v[10:11], v[28:29] neg_lo:[0,1] neg_hi:[0,1]
	ds_write2_b64 v47, v[10:11], v[24:25] offset1:8
	v_pk_mov_b32 v[10:11], v[22:23], v[18:19] op_sel:[1,0]
	v_pk_fma_f32 v[14:15], v[48:49], v[46:47], v[14:15] op_sel_hi:[1,0,1] neg_lo:[1,0,0] neg_hi:[1,0,0]
	v_pk_mul_f32 v[10:11], v[20:21], v[10:11] op_sel:[1,0]
	s_nop 0
	v_pk_fma_f32 v[10:11], v[22:23], v[20:21], v[10:11] op_sel_hi:[1,0,1] neg_lo:[1,0,0] neg_hi:[1,0,0]
	ds_write2_b64 v9, v[10:11], v[20:21] offset1:8
	v_xor_b32_e32 v10, 0x80000000, v15
	v_mov_b32_e32 v11, v14
	v_pk_mul_f32 v[10:11], v[26:27], v[10:11] op_sel:[1,0]
	s_nop 0
	v_pk_fma_f32 v[10:11], v[14:15], v[26:27], v[10:11] op_sel_hi:[1,0,1]
	s_nop 0
	v_pk_add_f32 v[10:11], v[16:17], v[10:11] neg_lo:[0,1] neg_hi:[0,1]
	ds_write2_b64 v50, v[14:15], v[10:11] offset0:7 offset1:15
	v_pk_add_f32 v[10:11], v[26:27], 0 neg_lo:[1,1] neg_hi:[1,1]
	s_nop 0
	v_pk_mov_b32 v[10:11], v[26:27], v[10:11] op_sel:[1,0]
	s_nop 0
	v_pk_mul_f32 v[10:11], v[12:13], v[10:11] op_sel:[1,0]
	s_nop 0
	v_pk_fma_f32 v[10:11], v[26:27], v[12:13], v[10:11] op_sel_hi:[1,0,1] neg_lo:[1,0,0] neg_hi:[1,0,0]
	ds_write2_b64 v51, v[12:13], v[10:11] offset0:7 offset1:15
.LBB192_8:
	s_or_b64 exec, exec, s[8:9]
	v_cmp_gt_u32_e64 s[8:9], 8, v0
	v_lshlrev_b32_e32 v10, 8, v0
	s_waitcnt lgkmcnt(0)
	s_barrier
	s_and_saveexec_b64 s[10:11], s[8:9]
	s_cbranch_execz .LBB192_10
; %bb.9:
	v_add_u32_e32 v11, 0x1000, v10
	ds_read2_b64 v[12:15], v11 offset1:16
	v_add_u32_e32 v49, 0x800, v10
	ds_read2_b64 v[16:19], v49 offset0:15 offset1:31
	s_mov_b64 s[12:13], 0x3f800000
	v_add_u32_e32 v52, 0x1800, v10
	s_waitcnt lgkmcnt(1)
	v_xor_b32_e32 v20, 0x80000000, v15
	v_mov_b32_e32 v21, v14
	s_waitcnt lgkmcnt(0)
	v_pk_mul_f32 v[20:21], v[16:17], v[20:21] op_sel:[1,0]
	ds_read_b64 v[40:41], v10
	v_pk_fma_f32 v[20:21], v[14:15], v[16:17], v[20:21] op_sel_hi:[1,0,1]
	s_waitcnt lgkmcnt(0)
	v_xor_b32_e32 v44, 0x80000000, v41
	v_pk_add_f32 v[28:29], v[20:21], s[12:13] neg_lo:[1,0] neg_hi:[1,0]
	v_mov_b32_e32 v45, v40
	v_mul_f32_e32 v24, v29, v29
	v_fmac_f32_e32 v24, v28, v28
	v_div_scale_f32 v20, s[12:13], v24, v24, 1.0
	v_rcp_f32_e32 v25, v20
	v_fma_f32 v31, v28, 0, -v29
	v_fmac_f32_e32 v28, 0, v29
	v_mov_b32_e32 v29, v31
	v_fma_f32 v21, -v20, v25, 1.0
	v_fmac_f32_e32 v25, v21, v25
	v_div_scale_f32 v21, vcc, 1.0, v24, 1.0
	v_mul_f32_e32 v26, v21, v25
	v_fma_f32 v22, -v20, v26, v21
	v_fmac_f32_e32 v26, v22, v25
	v_fma_f32 v27, -v20, v26, v21
	v_add_u32_e32 v20, 0x2080, v10
	ds_read2_b64 v[20:23], v20 offset1:255
	v_div_fmas_f32 v25, v27, v25, v26
	v_div_fixup_f32 v30, v25, v24, 1.0
	v_pk_mul_f32 v[50:51], v[28:29], v[30:31] op_sel_hi:[1,0]
	s_waitcnt lgkmcnt(0)
	v_pk_mul_f32 v[24:25], v[20:21], v[16:17] op_sel:[1,1] op_sel_hi:[1,0] neg_lo:[0,1]
	s_nop 0
	v_pk_fma_f32 v[24:25], v[16:17], v[20:21], v[24:25] op_sel_hi:[1,0,1]
	s_nop 0
	v_pk_add_f32 v[32:33], v[22:23], v[24:25] neg_lo:[0,1] neg_hi:[0,1]
	v_pk_mul_f32 v[24:25], v[14:15], v[22:23] op_sel:[1,1] op_sel_hi:[1,0] neg_lo:[0,1]
	v_xor_b32_e32 v34, 0x80000000, v33
	v_pk_fma_f32 v[22:23], v[22:23], v[14:15], v[24:25] op_sel_hi:[1,0,1]
	v_mov_b32_e32 v35, v32
	v_pk_add_f32 v[36:37], v[20:21], v[22:23] neg_lo:[0,1] neg_hi:[0,1]
	ds_read2_b64 v[20:23], v52 offset0:15 offset1:31
	ds_read2_b64 v[24:27], v10 offset1:16
	ds_read_b64 v[42:43], v10 offset:10488
	v_pk_mul_f32 v[28:29], v[50:51], v[34:35] op_sel:[1,0]
	v_xor_b32_e32 v38, 0x80000000, v37
	v_mov_b32_e32 v39, v36
	s_waitcnt lgkmcnt(1)
	v_mul_f32_e64 v48, v27, -v17
	v_fmac_f32_e32 v48, v16, v26
	v_mul_f32_e32 v16, v27, v16
	v_fmac_f32_e32 v16, v17, v26
	v_add_u32_e32 v17, 0x1880, v10
	v_pk_fma_f32 v[32:33], v[32:33], v[50:51], v[28:29] op_sel_hi:[1,0,1]
	ds_read2_b64 v[28:31], v17 offset0:15 offset1:240
	v_pk_mul_f32 v[34:35], v[50:51], v[38:39] op_sel:[1,0]
	v_xor_b32_e32 v46, 0x80000000, v23
	v_pk_fma_f32 v[34:35], v[36:37], v[50:51], v[34:35] op_sel_hi:[1,0,1]
	v_mov_b32_e32 v47, v22
	v_pk_mul_f32 v[36:37], v[34:35], v[44:45] op_sel:[1,0]
	v_add_u32_e32 v17, 0x2000, v10
	v_pk_fma_f32 v[36:37], v[40:41], v[34:35], v[36:37] op_sel_hi:[1,0,1]
	s_waitcnt lgkmcnt(0)
	v_pk_add_f32 v[30:31], v[30:31], v[36:37] neg_lo:[0,1] neg_hi:[0,1]
	ds_write2_b64 v17, v[30:31], v[34:35] offset1:16
	v_pk_mul_f32 v[30:31], v[32:33], v[46:47] op_sel:[1,0]
	v_add_u32_e32 v17, 0x2800, v10
	v_pk_fma_f32 v[22:23], v[22:23], v[32:33], v[30:31] op_sel_hi:[1,0,1]
	s_nop 0
	v_pk_add_f32 v[22:23], v[42:43], v[22:23] neg_lo:[0,1] neg_hi:[0,1]
	ds_write2_b64 v17, v[32:33], v[22:23] offset0:15 offset1:31
	v_pk_add_f32 v[22:23], v[50:51], 0 neg_lo:[1,1] neg_hi:[1,1]
	v_mul_f32_e32 v32, v15, v20
	v_pk_mov_b32 v[30:31], v[50:51], v[22:23] op_sel:[1,0]
	v_pk_mov_b32 v[22:23], v[22:23], v[50:51] op_sel:[1,0]
	v_fmac_f32_e32 v32, v21, v14
	v_pk_mul_f32 v[22:23], v[26:27], v[22:23] op_sel:[1,0]
	v_pk_mul_f32 v[16:17], v[30:31], v[16:17] op_sel_hi:[1,0]
	v_pk_fma_f32 v[22:23], v[50:51], v[26:27], v[22:23] op_sel_hi:[1,0,1]
	v_mul_f32_e64 v26, v15, -v21
	v_fmac_f32_e32 v26, v20, v14
	v_pk_mul_f32 v[30:31], v[30:31], v[32:33] op_sel_hi:[1,0]
	v_xor_b32_e32 v14, 0x80000000, v51
	v_pk_fma_f32 v[26:27], v[50:51], v[26:27], v[30:31] op_sel_hi:[1,0,1] neg_lo:[1,0,0] neg_hi:[1,0,0]
	v_mov_b32_e32 v15, v50
	v_pk_mul_f32 v[30:31], v[26:27], v[24:25] op_sel:[1,1] op_sel_hi:[1,0] neg_lo:[0,1]
	v_pk_mul_f32 v[14:15], v[20:21], v[14:15] op_sel:[1,0]
	v_pk_fma_f32 v[30:31], v[24:25], v[26:27], v[30:31] op_sel_hi:[1,0,1]
	v_pk_fma_f32 v[14:15], v[50:51], v[20:21], v[14:15] op_sel_hi:[1,0,1]
	v_pk_add_f32 v[20:21], v[24:25], 0 neg_lo:[1,1] neg_hi:[1,1]
	v_pk_add_f32 v[12:13], v[12:13], v[30:31] neg_lo:[0,1] neg_hi:[0,1]
	ds_write2_b64 v11, v[12:13], v[26:27] offset1:16
	v_pk_mov_b32 v[12:13], v[24:25], v[20:21] op_sel:[1,0]
	v_pk_fma_f32 v[16:17], v[50:51], v[48:49], v[16:17] op_sel_hi:[1,0,1] neg_lo:[1,0,0] neg_hi:[1,0,0]
	v_pk_mul_f32 v[12:13], v[22:23], v[12:13] op_sel:[1,0]
	s_nop 0
	v_pk_fma_f32 v[12:13], v[24:25], v[22:23], v[12:13] op_sel_hi:[1,0,1] neg_lo:[1,0,0] neg_hi:[1,0,0]
	ds_write2_b64 v10, v[12:13], v[22:23] offset1:16
	v_xor_b32_e32 v12, 0x80000000, v17
	v_mov_b32_e32 v13, v16
	v_pk_mul_f32 v[12:13], v[28:29], v[12:13] op_sel:[1,0]
	s_nop 0
	v_pk_fma_f32 v[12:13], v[16:17], v[28:29], v[12:13] op_sel_hi:[1,0,1]
	s_nop 0
	v_pk_add_f32 v[12:13], v[18:19], v[12:13] neg_lo:[0,1] neg_hi:[0,1]
	ds_write2_b64 v49, v[16:17], v[12:13] offset0:15 offset1:31
	v_pk_add_f32 v[12:13], v[28:29], 0 neg_lo:[1,1] neg_hi:[1,1]
	s_nop 0
	v_pk_mov_b32 v[12:13], v[28:29], v[12:13] op_sel:[1,0]
	s_nop 0
	v_pk_mul_f32 v[12:13], v[14:15], v[12:13] op_sel:[1,0]
	s_nop 0
	v_pk_fma_f32 v[12:13], v[28:29], v[14:15], v[12:13] op_sel_hi:[1,0,1] neg_lo:[1,0,0] neg_hi:[1,0,0]
	ds_write2_b64 v52, v[14:15], v[12:13] offset0:15 offset1:31
.LBB192_10:
	s_or_b64 exec, exec, s[10:11]
	v_cmp_gt_u32_e64 s[10:11], 4, v0
	v_lshlrev_b32_e32 v11, 9, v0
	s_waitcnt lgkmcnt(0)
	s_barrier
	s_and_saveexec_b64 s[12:13], s[10:11]
	s_cbranch_execz .LBB192_12
; %bb.11:
	v_add_u32_e32 v49, 0x1000, v11
	ds_read2_b64 v[12:15], v49 offset1:32
	v_add_u32_e32 v52, 0x800, v11
	ds_read2_b64 v[16:19], v52 offset0:31 offset1:63
	s_mov_b64 s[14:15], 0x3f800000
	v_add_u32_e32 v53, 0x1800, v11
	s_waitcnt lgkmcnt(1)
	v_xor_b32_e32 v20, 0x80000000, v15
	v_mov_b32_e32 v21, v14
	s_waitcnt lgkmcnt(0)
	v_pk_mul_f32 v[20:21], v[16:17], v[20:21] op_sel:[1,0]
	ds_read_b64 v[40:41], v11
	v_pk_fma_f32 v[20:21], v[14:15], v[16:17], v[20:21] op_sel_hi:[1,0,1]
	s_waitcnt lgkmcnt(0)
	v_xor_b32_e32 v44, 0x80000000, v41
	v_pk_add_f32 v[28:29], v[20:21], s[14:15] neg_lo:[1,0] neg_hi:[1,0]
	v_mov_b32_e32 v45, v40
	v_mul_f32_e32 v24, v29, v29
	v_fmac_f32_e32 v24, v28, v28
	v_div_scale_f32 v20, s[14:15], v24, v24, 1.0
	v_rcp_f32_e32 v25, v20
	v_fma_f32 v31, v28, 0, -v29
	v_fmac_f32_e32 v28, 0, v29
	v_mov_b32_e32 v29, v31
	v_fma_f32 v21, -v20, v25, 1.0
	v_fmac_f32_e32 v25, v21, v25
	v_div_scale_f32 v21, vcc, 1.0, v24, 1.0
	v_mul_f32_e32 v26, v21, v25
	v_fma_f32 v22, -v20, v26, v21
	v_fmac_f32_e32 v26, v22, v25
	v_fma_f32 v27, -v20, v26, v21
	v_add_u32_e32 v20, 0x2100, v11
	ds_read2_b64 v[20:23], v20 offset1:255
	v_div_fmas_f32 v25, v27, v25, v26
	v_div_fixup_f32 v30, v25, v24, 1.0
	v_pk_mul_f32 v[50:51], v[28:29], v[30:31] op_sel_hi:[1,0]
	s_waitcnt lgkmcnt(0)
	v_pk_mul_f32 v[24:25], v[20:21], v[16:17] op_sel:[1,1] op_sel_hi:[1,0] neg_lo:[0,1]
	s_nop 0
	v_pk_fma_f32 v[24:25], v[16:17], v[20:21], v[24:25] op_sel_hi:[1,0,1]
	s_nop 0
	v_pk_add_f32 v[32:33], v[22:23], v[24:25] neg_lo:[0,1] neg_hi:[0,1]
	v_pk_mul_f32 v[24:25], v[14:15], v[22:23] op_sel:[1,1] op_sel_hi:[1,0] neg_lo:[0,1]
	v_xor_b32_e32 v34, 0x80000000, v33
	v_pk_fma_f32 v[22:23], v[22:23], v[14:15], v[24:25] op_sel_hi:[1,0,1]
	v_mov_b32_e32 v35, v32
	v_pk_add_f32 v[36:37], v[20:21], v[22:23] neg_lo:[0,1] neg_hi:[0,1]
	ds_read2_b64 v[20:23], v53 offset0:31 offset1:63
	ds_read2_b64 v[24:27], v11 offset1:32
	ds_read_b64 v[42:43], v11 offset:10744
	v_pk_mul_f32 v[28:29], v[50:51], v[34:35] op_sel:[1,0]
	v_xor_b32_e32 v38, 0x80000000, v37
	v_mov_b32_e32 v39, v36
	s_waitcnt lgkmcnt(1)
	v_mul_f32_e64 v48, v27, -v17
	v_fmac_f32_e32 v48, v16, v26
	v_mul_f32_e32 v16, v27, v16
	v_fmac_f32_e32 v16, v17, v26
	v_add_u32_e32 v17, 0x1900, v11
	v_pk_fma_f32 v[32:33], v[32:33], v[50:51], v[28:29] op_sel_hi:[1,0,1]
	ds_read2_b64 v[28:31], v17 offset0:31 offset1:224
	v_pk_mul_f32 v[34:35], v[50:51], v[38:39] op_sel:[1,0]
	v_xor_b32_e32 v46, 0x80000000, v23
	v_pk_fma_f32 v[34:35], v[36:37], v[50:51], v[34:35] op_sel_hi:[1,0,1]
	v_mov_b32_e32 v47, v22
	v_pk_mul_f32 v[36:37], v[34:35], v[44:45] op_sel:[1,0]
	v_add_u32_e32 v17, 0x2000, v11
	v_pk_fma_f32 v[36:37], v[40:41], v[34:35], v[36:37] op_sel_hi:[1,0,1]
	s_waitcnt lgkmcnt(0)
	v_pk_add_f32 v[30:31], v[30:31], v[36:37] neg_lo:[0,1] neg_hi:[0,1]
	ds_write2_b64 v17, v[30:31], v[34:35] offset1:32
	v_pk_mul_f32 v[30:31], v[32:33], v[46:47] op_sel:[1,0]
	v_add_u32_e32 v17, 0x2800, v11
	v_pk_fma_f32 v[22:23], v[22:23], v[32:33], v[30:31] op_sel_hi:[1,0,1]
	s_nop 0
	v_pk_add_f32 v[22:23], v[42:43], v[22:23] neg_lo:[0,1] neg_hi:[0,1]
	ds_write2_b64 v17, v[32:33], v[22:23] offset0:31 offset1:63
	v_pk_add_f32 v[22:23], v[50:51], 0 neg_lo:[1,1] neg_hi:[1,1]
	v_mul_f32_e32 v32, v15, v20
	v_pk_mov_b32 v[30:31], v[50:51], v[22:23] op_sel:[1,0]
	v_pk_mov_b32 v[22:23], v[22:23], v[50:51] op_sel:[1,0]
	v_fmac_f32_e32 v32, v21, v14
	v_pk_mul_f32 v[22:23], v[26:27], v[22:23] op_sel:[1,0]
	v_pk_mul_f32 v[16:17], v[30:31], v[16:17] op_sel_hi:[1,0]
	v_pk_fma_f32 v[22:23], v[50:51], v[26:27], v[22:23] op_sel_hi:[1,0,1]
	v_mul_f32_e64 v26, v15, -v21
	v_fmac_f32_e32 v26, v20, v14
	v_pk_mul_f32 v[30:31], v[30:31], v[32:33] op_sel_hi:[1,0]
	v_xor_b32_e32 v14, 0x80000000, v51
	v_pk_fma_f32 v[26:27], v[50:51], v[26:27], v[30:31] op_sel_hi:[1,0,1] neg_lo:[1,0,0] neg_hi:[1,0,0]
	v_mov_b32_e32 v15, v50
	v_pk_mul_f32 v[30:31], v[26:27], v[24:25] op_sel:[1,1] op_sel_hi:[1,0] neg_lo:[0,1]
	v_pk_mul_f32 v[14:15], v[20:21], v[14:15] op_sel:[1,0]
	v_pk_fma_f32 v[30:31], v[24:25], v[26:27], v[30:31] op_sel_hi:[1,0,1]
	v_pk_fma_f32 v[14:15], v[50:51], v[20:21], v[14:15] op_sel_hi:[1,0,1]
	v_pk_add_f32 v[20:21], v[24:25], 0 neg_lo:[1,1] neg_hi:[1,1]
	v_pk_add_f32 v[12:13], v[12:13], v[30:31] neg_lo:[0,1] neg_hi:[0,1]
	ds_write2_b64 v49, v[12:13], v[26:27] offset1:32
	v_pk_mov_b32 v[12:13], v[24:25], v[20:21] op_sel:[1,0]
	v_pk_fma_f32 v[16:17], v[50:51], v[48:49], v[16:17] op_sel_hi:[1,0,1] neg_lo:[1,0,0] neg_hi:[1,0,0]
	v_pk_mul_f32 v[12:13], v[22:23], v[12:13] op_sel:[1,0]
	s_nop 0
	v_pk_fma_f32 v[12:13], v[24:25], v[22:23], v[12:13] op_sel_hi:[1,0,1] neg_lo:[1,0,0] neg_hi:[1,0,0]
	ds_write2_b64 v11, v[12:13], v[22:23] offset1:32
	v_xor_b32_e32 v12, 0x80000000, v17
	v_mov_b32_e32 v13, v16
	v_pk_mul_f32 v[12:13], v[28:29], v[12:13] op_sel:[1,0]
	s_nop 0
	v_pk_fma_f32 v[12:13], v[16:17], v[28:29], v[12:13] op_sel_hi:[1,0,1]
	s_nop 0
	v_pk_add_f32 v[12:13], v[18:19], v[12:13] neg_lo:[0,1] neg_hi:[0,1]
	ds_write2_b64 v52, v[16:17], v[12:13] offset0:31 offset1:63
	v_pk_add_f32 v[12:13], v[28:29], 0 neg_lo:[1,1] neg_hi:[1,1]
	s_nop 0
	v_pk_mov_b32 v[12:13], v[28:29], v[12:13] op_sel:[1,0]
	s_nop 0
	v_pk_mul_f32 v[12:13], v[14:15], v[12:13] op_sel:[1,0]
	s_nop 0
	v_pk_fma_f32 v[12:13], v[28:29], v[14:15], v[12:13] op_sel_hi:[1,0,1] neg_lo:[1,0,0] neg_hi:[1,0,0]
	ds_write2_b64 v53, v[14:15], v[12:13] offset0:31 offset1:63
.LBB192_12:
	s_or_b64 exec, exec, s[12:13]
	v_cmp_gt_u32_e64 s[12:13], 2, v0
	v_lshlrev_b32_e32 v12, 10, v0
	s_waitcnt lgkmcnt(0)
	s_barrier
	s_and_saveexec_b64 s[14:15], s[12:13]
	s_cbranch_execz .LBB192_14
; %bb.13:
	ds_read2st64_b64 v[14:17], v12 offset0:8 offset1:9
	v_add_u32_e32 v13, 0x1f8, v12
	ds_read2st64_b64 v[18:21], v13 offset0:4 offset1:5
	ds_read_b64 v[34:35], v12 offset:11256
	s_mov_b64 s[16:17], 0x3f800000
	ds_read2st64_b64 v[22:25], v13 offset0:12 offset1:13
	s_waitcnt lgkmcnt(3)
	v_xor_b32_e32 v26, 0x80000000, v17
	v_mov_b32_e32 v27, v16
	s_waitcnt lgkmcnt(2)
	v_pk_mul_f32 v[26:27], v[18:19], v[26:27] op_sel:[1,0]
	s_waitcnt lgkmcnt(0)
	v_xor_b32_e32 v48, 0x80000000, v25
	v_pk_fma_f32 v[26:27], v[16:17], v[18:19], v[26:27] op_sel_hi:[1,0,1]
	v_mov_b32_e32 v49, v24
	v_pk_add_f32 v[30:31], v[26:27], s[16:17] neg_lo:[1,0] neg_hi:[1,0]
	s_nop 0
	v_mul_f32_e32 v32, v31, v31
	v_fmac_f32_e32 v32, v30, v30
	v_div_scale_f32 v26, s[16:17], v32, v32, 1.0
	v_rcp_f32_e32 v33, v26
	s_nop 0
	v_fma_f32 v27, -v26, v33, 1.0
	v_fmac_f32_e32 v33, v27, v33
	v_div_scale_f32 v27, vcc, 1.0, v32, 1.0
	v_mul_f32_e32 v36, v27, v33
	v_fma_f32 v28, -v26, v36, v27
	v_fmac_f32_e32 v36, v28, v33
	v_fma_f32 v37, -v26, v36, v27
	v_add_u32_e32 v26, 0x2200, v12
	ds_read2_b64 v[26:29], v26 offset1:255
	v_div_fmas_f32 v33, v37, v33, v36
	v_div_fixup_f32 v32, v33, v32, 1.0
	v_fma_f32 v33, v30, 0, -v31
	v_fmac_f32_e32 v30, 0, v31
	s_waitcnt lgkmcnt(0)
	v_pk_mul_f32 v[36:37], v[26:27], v[18:19] op_sel:[1,1] op_sel_hi:[1,0] neg_lo:[0,1]
	v_pk_mul_f32 v[40:41], v[16:17], v[28:29] op_sel:[1,1] op_sel_hi:[1,0] neg_lo:[0,1]
	v_pk_fma_f32 v[36:37], v[18:19], v[26:27], v[36:37] op_sel_hi:[1,0,1]
	v_mov_b32_e32 v31, v33
	v_pk_add_f32 v[36:37], v[28:29], v[36:37] neg_lo:[0,1] neg_hi:[0,1]
	v_pk_fma_f32 v[28:29], v[28:29], v[16:17], v[40:41] op_sel_hi:[1,0,1]
	ds_read_b64 v[40:41], v12
	v_pk_add_f32 v[42:43], v[26:27], v[28:29] neg_lo:[0,1] neg_hi:[0,1]
	ds_read2st64_b64 v[26:29], v12 offset1:1
	v_xor_b32_e32 v38, 0x80000000, v37
	v_mov_b32_e32 v39, v36
	v_pk_mul_f32 v[52:53], v[30:31], v[32:33] op_sel_hi:[1,0]
	v_xor_b32_e32 v44, 0x80000000, v43
	s_waitcnt lgkmcnt(0)
	v_mul_f32_e64 v50, v29, -v19
	v_fmac_f32_e32 v50, v18, v28
	v_mul_f32_e32 v18, v29, v18
	v_fmac_f32_e32 v18, v19, v28
	v_pk_mul_f32 v[30:31], v[52:53], v[38:39] op_sel:[1,0]
	v_add_u32_e32 v19, 0x1a00, v12
	v_mov_b32_e32 v45, v42
	v_pk_fma_f32 v[36:37], v[36:37], v[52:53], v[30:31] op_sel_hi:[1,0,1]
	ds_read2_b64 v[30:33], v19 offset0:63 offset1:192
	v_pk_mul_f32 v[38:39], v[52:53], v[44:45] op_sel:[1,0]
	v_xor_b32_e32 v46, 0x80000000, v41
	v_mov_b32_e32 v47, v40
	v_pk_fma_f32 v[38:39], v[42:43], v[52:53], v[38:39] op_sel_hi:[1,0,1]
	s_nop 0
	v_pk_mul_f32 v[42:43], v[38:39], v[46:47] op_sel:[1,0]
	s_nop 0
	v_pk_fma_f32 v[40:41], v[40:41], v[38:39], v[42:43] op_sel_hi:[1,0,1]
	s_waitcnt lgkmcnt(0)
	v_pk_add_f32 v[32:33], v[32:33], v[40:41] neg_lo:[0,1] neg_hi:[0,1]
	ds_write2st64_b64 v12, v[32:33], v[38:39] offset0:16 offset1:17
	v_pk_mul_f32 v[32:33], v[36:37], v[48:49] op_sel:[1,0]
	s_nop 0
	v_pk_fma_f32 v[24:25], v[24:25], v[36:37], v[32:33] op_sel_hi:[1,0,1]
	s_nop 0
	v_pk_add_f32 v[24:25], v[34:35], v[24:25] neg_lo:[0,1] neg_hi:[0,1]
	ds_write2st64_b64 v13, v[36:37], v[24:25] offset0:20 offset1:21
	v_pk_add_f32 v[24:25], v[52:53], 0 neg_lo:[1,1] neg_hi:[1,1]
	v_mul_f32_e32 v34, v17, v22
	v_pk_mov_b32 v[32:33], v[52:53], v[24:25] op_sel:[1,0]
	v_pk_mov_b32 v[24:25], v[24:25], v[52:53] op_sel:[1,0]
	v_fmac_f32_e32 v34, v23, v16
	v_pk_mul_f32 v[24:25], v[28:29], v[24:25] op_sel:[1,0]
	v_pk_mul_f32 v[18:19], v[32:33], v[18:19] op_sel_hi:[1,0]
	v_pk_fma_f32 v[24:25], v[52:53], v[28:29], v[24:25] op_sel_hi:[1,0,1]
	v_mul_f32_e64 v28, v17, -v23
	v_fmac_f32_e32 v28, v22, v16
	v_pk_mul_f32 v[32:33], v[32:33], v[34:35] op_sel_hi:[1,0]
	v_xor_b32_e32 v16, 0x80000000, v53
	v_pk_fma_f32 v[28:29], v[52:53], v[28:29], v[32:33] op_sel_hi:[1,0,1] neg_lo:[1,0,0] neg_hi:[1,0,0]
	v_mov_b32_e32 v17, v52
	v_pk_mul_f32 v[32:33], v[28:29], v[26:27] op_sel:[1,1] op_sel_hi:[1,0] neg_lo:[0,1]
	v_pk_mul_f32 v[16:17], v[22:23], v[16:17] op_sel:[1,0]
	v_pk_fma_f32 v[32:33], v[26:27], v[28:29], v[32:33] op_sel_hi:[1,0,1]
	v_pk_fma_f32 v[16:17], v[52:53], v[22:23], v[16:17] op_sel_hi:[1,0,1]
	v_pk_add_f32 v[22:23], v[26:27], 0 neg_lo:[1,1] neg_hi:[1,1]
	v_pk_add_f32 v[14:15], v[14:15], v[32:33] neg_lo:[0,1] neg_hi:[0,1]
	ds_write2st64_b64 v12, v[14:15], v[28:29] offset0:8 offset1:9
	v_pk_mov_b32 v[14:15], v[26:27], v[22:23] op_sel:[1,0]
	v_pk_fma_f32 v[18:19], v[52:53], v[50:51], v[18:19] op_sel_hi:[1,0,1] neg_lo:[1,0,0] neg_hi:[1,0,0]
	v_pk_mul_f32 v[14:15], v[24:25], v[14:15] op_sel:[1,0]
	s_nop 0
	v_pk_fma_f32 v[14:15], v[26:27], v[24:25], v[14:15] op_sel_hi:[1,0,1] neg_lo:[1,0,0] neg_hi:[1,0,0]
	ds_write2st64_b64 v12, v[14:15], v[24:25] offset1:1
	v_xor_b32_e32 v14, 0x80000000, v19
	v_mov_b32_e32 v15, v18
	v_pk_mul_f32 v[14:15], v[30:31], v[14:15] op_sel:[1,0]
	s_nop 0
	v_pk_fma_f32 v[14:15], v[18:19], v[30:31], v[14:15] op_sel_hi:[1,0,1]
	s_nop 0
	v_pk_add_f32 v[14:15], v[20:21], v[14:15] neg_lo:[0,1] neg_hi:[0,1]
	ds_write2st64_b64 v13, v[18:19], v[14:15] offset0:4 offset1:5
	v_pk_add_f32 v[14:15], v[30:31], 0 neg_lo:[1,1] neg_hi:[1,1]
	s_nop 0
	v_pk_mov_b32 v[14:15], v[30:31], v[14:15] op_sel:[1,0]
	s_nop 0
	v_pk_mul_f32 v[14:15], v[16:17], v[14:15] op_sel:[1,0]
	s_nop 0
	v_pk_fma_f32 v[14:15], v[30:31], v[16:17], v[14:15] op_sel_hi:[1,0,1] neg_lo:[1,0,0] neg_hi:[1,0,0]
	ds_write2st64_b64 v13, v[16:17], v[14:15] offset0:12 offset1:13
.LBB192_14:
	s_or_b64 exec, exec, s[14:15]
	s_mov_b32 s17, 0
	v_cmp_eq_u32_e32 vcc, 0, v0
	s_waitcnt lgkmcnt(0)
	s_barrier
	s_and_saveexec_b64 s[14:15], vcc
	s_cbranch_execz .LBB192_16
; %bb.15:
	v_mov_b32_e32 v13, 0
	s_movk_i32 s16, 0x1f8
	ds_read2st64_b64 v[14:17], v13 offset0:8 offset1:10
	v_add_u32_e64 v30, s16, 0
	ds_read2st64_b64 v[18:21], v30 offset0:5 offset1:7
	s_mov_b32 s16, 1.0
	v_mov_b32_e32 v50, 0x1ff8
	s_waitcnt lgkmcnt(1)
	v_xor_b32_e32 v22, 0x80000000, v17
	v_mov_b32_e32 v23, v16
	s_waitcnt lgkmcnt(0)
	v_pk_mul_f32 v[22:23], v[18:19], v[22:23] op_sel:[1,0]
	s_nop 0
	v_pk_fma_f32 v[22:23], v[16:17], v[18:19], v[22:23] op_sel_hi:[1,0,1]
	s_nop 0
	v_pk_add_f32 v[32:33], v[22:23], s[16:17] neg_lo:[1,0] neg_hi:[1,0]
	s_nop 0
	v_mul_f32_e32 v26, v33, v33
	v_fmac_f32_e32 v26, v32, v32
	v_div_scale_f32 v22, s[16:17], v26, v26, 1.0
	v_rcp_f32_e32 v27, v22
	s_movk_i32 s16, 0x2400
	v_add_u32_e64 v47, s16, 0
	v_fma_f32 v35, v32, 0, -v33
	v_fma_f32 v23, -v22, v27, 1.0
	v_fmac_f32_e32 v27, v23, v27
	v_div_scale_f32 v23, vcc, 1.0, v26, 1.0
	v_mul_f32_e32 v28, v23, v27
	v_fma_f32 v24, -v22, v28, v23
	v_fmac_f32_e32 v28, v24, v27
	v_fma_f32 v29, -v22, v28, v23
	ds_read2_b64 v[22:25], v47 offset1:255
	v_div_fmas_f32 v27, v29, v27, v28
	v_div_fixup_f32 v34, v27, v26, 1.0
	v_fmac_f32_e32 v32, 0, v33
	v_mov_b32_e32 v33, v35
	s_waitcnt lgkmcnt(0)
	v_pk_mul_f32 v[26:27], v[22:23], v[18:19] op_sel:[1,1] op_sel_hi:[1,0] neg_lo:[0,1]
	v_pk_mul_f32 v[48:49], v[32:33], v[34:35] op_sel_hi:[1,0]
	v_pk_fma_f32 v[26:27], v[18:19], v[22:23], v[26:27] op_sel_hi:[1,0,1]
	s_movk_i32 s16, 0x1400
	v_pk_add_f32 v[36:37], v[24:25], v[26:27] neg_lo:[0,1] neg_hi:[0,1]
	v_pk_mul_f32 v[26:27], v[16:17], v[24:25] op_sel:[1,1] op_sel_hi:[1,0] neg_lo:[0,1]
	v_xor_b32_e32 v38, 0x80000000, v37
	v_pk_fma_f32 v[28:29], v[24:25], v[16:17], v[26:27] op_sel_hi:[1,0,1]
	v_mov_b32_e32 v39, v36
	ds_read2st64_b64 v[24:27], v13 offset1:2
	v_pk_add_f32 v[22:23], v[22:23], v[28:29] neg_lo:[0,1] neg_hi:[0,1]
	v_pk_mul_f32 v[32:33], v[48:49], v[38:39] op_sel:[1,0]
	v_xor_b32_e32 v40, 0x80000000, v23
	v_mov_b32_e32 v41, v22
	ds_read2st64_b64 v[28:31], v30 offset0:13 offset1:15
	v_pk_fma_f32 v[36:37], v[36:37], v[48:49], v[32:33] op_sel_hi:[1,0,1]
	v_pk_mul_f32 v[32:33], v[48:49], v[40:41] op_sel:[1,0]
	s_waitcnt lgkmcnt(1)
	v_xor_b32_e32 v42, 0x80000000, v25
	v_pk_fma_f32 v[22:23], v[22:23], v[48:49], v[32:33] op_sel_hi:[1,0,1]
	ds_read2_b64 v[32:35], v50 offset1:1
	ds_read_b64 v[40:41], v13 offset:12280
	v_mov_b32_e32 v43, v24
	v_pk_mul_f32 v[38:39], v[22:23], v[42:43] op_sel:[1,0]
	s_waitcnt lgkmcnt(2)
	v_xor_b32_e32 v44, 0x80000000, v31
	v_mov_b32_e32 v45, v30
	ds_write2_b64 v47, v[22:23], v[36:37] offset1:255
	v_pk_fma_f32 v[22:23], v[24:25], v[22:23], v[38:39] op_sel_hi:[1,0,1]
	v_mul_f32_e64 v46, v27, -v19
	s_waitcnt lgkmcnt(2)
	v_pk_add_f32 v[22:23], v[34:35], v[22:23] neg_lo:[0,1] neg_hi:[0,1]
	v_pk_mul_f32 v[34:35], v[36:37], v[44:45] op_sel:[1,0]
	v_fmac_f32_e32 v46, v18, v26
	v_pk_fma_f32 v[30:31], v[30:31], v[36:37], v[34:35] op_sel_hi:[1,0,1]
	v_mul_f32_e32 v18, v27, v18
	s_waitcnt lgkmcnt(1)
	v_pk_add_f32 v[30:31], v[40:41], v[30:31] neg_lo:[0,1] neg_hi:[0,1]
	ds_write_b64 v13, v[30:31] offset:12280
	v_xor_b32_e32 v30, 0x80000000, v49
	v_mov_b32_e32 v31, v48
	v_pk_mul_f32 v[36:37], v[26:27], v[30:31] op_sel:[1,0]
	v_mul_f32_e32 v38, v17, v28
	v_fmac_f32_e32 v18, v19, v26
	v_xor_b32_e32 v35, 0x80000000, v48
	v_mov_b32_e32 v34, v49
	v_pk_fma_f32 v[26:27], v[48:49], v[26:27], v[36:37] op_sel_hi:[1,0,1]
	v_mul_f32_e64 v36, v17, -v29
	v_fmac_f32_e32 v38, v29, v16
	v_fmac_f32_e32 v36, v28, v16
	v_pk_mul_f32 v[16:17], v[34:35], v[38:39] op_sel_hi:[1,0]
	v_pk_mul_f32 v[30:31], v[28:29], v[30:31] op_sel:[1,0]
	v_pk_fma_f32 v[16:17], v[48:49], v[36:37], v[16:17] op_sel_hi:[1,0,1] neg_lo:[1,0,0] neg_hi:[1,0,0]
	v_pk_mul_f32 v[18:19], v[34:35], v[18:19] op_sel_hi:[1,0]
	v_pk_fma_f32 v[28:29], v[48:49], v[28:29], v[30:31] op_sel_hi:[1,0,1]
	v_add_u32_e64 v30, s16, 0
	v_pk_mul_f32 v[34:35], v[16:17], v[24:25] op_sel:[1,1] op_sel_hi:[1,0] neg_lo:[0,1]
	ds_write2_b64 v30, v[16:17], v[28:29] offset1:255
	v_xor_b32_e32 v31, 0x80000000, v24
	v_pk_fma_f32 v[16:17], v[24:25], v[16:17], v[34:35] op_sel_hi:[1,0,1]
	v_mov_b32_e32 v30, v25
	v_pk_add_f32 v[14:15], v[14:15], v[16:17] neg_lo:[0,1] neg_hi:[0,1]
	v_pk_mul_f32 v[16:17], v[26:27], v[30:31] op_sel:[1,0]
	v_pk_fma_f32 v[18:19], v[48:49], v[46:47], v[18:19] op_sel_hi:[1,0,1] neg_lo:[1,0,0] neg_hi:[1,0,0]
	v_pk_fma_f32 v[16:17], v[24:25], v[26:27], v[16:17] op_sel_hi:[1,0,1] neg_lo:[1,0,0] neg_hi:[1,0,0]
	ds_write2st64_b64 v13, v[16:17], v[26:27] offset1:2
	v_xor_b32_e32 v16, 0x80000000, v19
	v_mov_b32_e32 v17, v18
	v_pk_mul_f32 v[16:17], v[32:33], v[16:17] op_sel:[1,0]
	ds_write_b64 v13, v[18:19] offset:3064
	v_pk_fma_f32 v[16:17], v[18:19], v[32:33], v[16:17] op_sel_hi:[1,0,1]
	v_mov_b32_e32 v13, 0xff8
	v_pk_add_f32 v[16:17], v[20:21], v[16:17] neg_lo:[0,1] neg_hi:[0,1]
	ds_write2_b64 v13, v[16:17], v[14:15] offset1:1
	v_xor_b32_e32 v15, 0x80000000, v32
	v_mov_b32_e32 v14, v33
	v_pk_mul_f32 v[14:15], v[28:29], v[14:15] op_sel:[1,0]
	s_nop 0
	v_pk_fma_f32 v[14:15], v[32:33], v[28:29], v[14:15] op_sel_hi:[1,0,1] neg_lo:[1,0,0] neg_hi:[1,0,0]
	ds_write2_b64 v50, v[14:15], v[22:23] offset1:1
.LBB192_16:
	s_or_b64 exec, exec, s[14:15]
	s_waitcnt lgkmcnt(0)
	s_barrier
	s_and_saveexec_b64 s[14:15], s[12:13]
	s_cbranch_execz .LBB192_18
; %bb.17:
	v_max_u32_e32 v13, 1, v9
	v_add_u32_e32 v14, 0x1200, v12
	ds_read2_b64 v[14:17], v14 offset1:255
	v_lshlrev_b32_e32 v13, 3, v13
	ds_read_b64 v[26:27], v13 offset:10232
	v_min_u32_e32 v22, 0x7f, v9
	v_add_u32_e32 v18, 0x2200, v12
	ds_read2_b64 v[18:21], v18 offset1:255
	v_lshlrev_b32_e32 v32, 3, v22
	v_add_u32_e32 v22, 0x200, v12
	ds_read2_b64 v[22:25], v22 offset1:255
	ds_read_b64 v[30:31], v32 offset:9216
	s_waitcnt lgkmcnt(4)
	v_xor_b32_e32 v28, 0x80000000, v17
	v_mov_b32_e32 v29, v16
	s_waitcnt lgkmcnt(3)
	v_pk_mul_f32 v[28:29], v[26:27], v[28:29] op_sel:[1,0]
	s_nop 0
	v_pk_fma_f32 v[16:17], v[16:17], v[26:27], v[28:29] op_sel_hi:[1,0,1]
	s_waitcnt lgkmcnt(2)
	v_pk_add_f32 v[16:17], v[20:21], v[16:17] neg_lo:[0,1] neg_hi:[0,1]
	s_waitcnt lgkmcnt(1)
	v_xor_b32_e32 v20, 0x80000000, v25
	v_mov_b32_e32 v21, v24
	s_waitcnt lgkmcnt(0)
	v_pk_mul_f32 v[20:21], v[30:31], v[20:21] op_sel:[1,0]
	s_nop 0
	v_pk_fma_f32 v[20:21], v[24:25], v[30:31], v[20:21] op_sel_hi:[1,0,1]
	s_nop 0
	v_pk_add_f32 v[16:17], v[16:17], v[20:21] neg_lo:[0,1] neg_hi:[0,1]
	ds_write_b64 v12, v[16:17] offset:10744
	ds_read_b64 v[16:17], v13 offset:10232
	v_xor_b32_e32 v20, 0x80000000, v15
	v_mov_b32_e32 v21, v14
	s_waitcnt lgkmcnt(0)
	v_pk_mul_f32 v[20:21], v[16:17], v[20:21] op_sel:[1,0]
	s_nop 0
	v_pk_fma_f32 v[14:15], v[14:15], v[16:17], v[20:21] op_sel_hi:[1,0,1]
	s_nop 0
	v_pk_add_f32 v[14:15], v[18:19], v[14:15] neg_lo:[0,1] neg_hi:[0,1]
	ds_write_b64 v12, v[14:15] offset:8704
	ds_read_b64 v[16:17], v32 offset:9216
	v_xor_b32_e32 v18, 0x80000000, v23
	v_mov_b32_e32 v19, v22
	s_waitcnt lgkmcnt(0)
	v_pk_mul_f32 v[18:19], v[16:17], v[18:19] op_sel:[1,0]
	s_nop 0
	v_pk_fma_f32 v[16:17], v[22:23], v[16:17], v[18:19] op_sel_hi:[1,0,1]
	s_nop 0
	v_pk_add_f32 v[14:15], v[14:15], v[16:17] neg_lo:[0,1] neg_hi:[0,1]
	ds_write_b64 v12, v[14:15] offset:8704
.LBB192_18:
	s_or_b64 exec, exec, s[14:15]
	s_waitcnt lgkmcnt(0)
	s_barrier
	s_and_saveexec_b64 s[12:13], s[10:11]
	s_cbranch_execz .LBB192_20
; %bb.19:
	v_max_u32_e32 v16, 1, v8
	v_add_u32_e32 v12, 0x1100, v11
	ds_read2_b64 v[12:15], v12 offset1:255
	v_lshlrev_b32_e32 v30, 3, v16
	ds_read_b64 v[24:25], v30 offset:10232
	v_min_u32_e32 v20, 0xbf, v8
	v_add_u32_e32 v16, 0x2100, v11
	ds_read2_b64 v[16:19], v16 offset1:255
	v_lshlrev_b32_e32 v31, 3, v20
	v_add_u32_e32 v20, 0x100, v11
	ds_read2_b64 v[20:23], v20 offset1:255
	ds_read_b64 v[28:29], v31 offset:8704
	s_waitcnt lgkmcnt(4)
	v_xor_b32_e32 v26, 0x80000000, v15
	v_mov_b32_e32 v27, v14
	s_waitcnt lgkmcnt(3)
	v_pk_mul_f32 v[26:27], v[24:25], v[26:27] op_sel:[1,0]
	s_nop 0
	v_pk_fma_f32 v[14:15], v[14:15], v[24:25], v[26:27] op_sel_hi:[1,0,1]
	s_waitcnt lgkmcnt(2)
	v_pk_add_f32 v[14:15], v[18:19], v[14:15] neg_lo:[0,1] neg_hi:[0,1]
	s_waitcnt lgkmcnt(1)
	v_xor_b32_e32 v18, 0x80000000, v23
	v_mov_b32_e32 v19, v22
	s_waitcnt lgkmcnt(0)
	v_pk_mul_f32 v[18:19], v[28:29], v[18:19] op_sel:[1,0]
	s_nop 0
	v_pk_fma_f32 v[18:19], v[22:23], v[28:29], v[18:19] op_sel_hi:[1,0,1]
	s_nop 0
	v_pk_add_f32 v[14:15], v[14:15], v[18:19] neg_lo:[0,1] neg_hi:[0,1]
	ds_write_b64 v11, v[14:15] offset:10488
	ds_read_b64 v[14:15], v30 offset:10232
	v_xor_b32_e32 v18, 0x80000000, v13
	v_mov_b32_e32 v19, v12
	s_waitcnt lgkmcnt(0)
	v_pk_mul_f32 v[18:19], v[14:15], v[18:19] op_sel:[1,0]
	s_nop 0
	v_pk_fma_f32 v[12:13], v[12:13], v[14:15], v[18:19] op_sel_hi:[1,0,1]
	s_nop 0
	v_pk_add_f32 v[12:13], v[16:17], v[12:13] neg_lo:[0,1] neg_hi:[0,1]
	ds_write_b64 v11, v[12:13] offset:8448
	ds_read_b64 v[14:15], v31 offset:8704
	v_xor_b32_e32 v16, 0x80000000, v21
	v_mov_b32_e32 v17, v20
	s_waitcnt lgkmcnt(0)
	v_pk_mul_f32 v[16:17], v[14:15], v[16:17] op_sel:[1,0]
	s_nop 0
	v_pk_fma_f32 v[14:15], v[20:21], v[14:15], v[16:17] op_sel_hi:[1,0,1]
	s_nop 0
	v_pk_add_f32 v[12:13], v[12:13], v[14:15] neg_lo:[0,1] neg_hi:[0,1]
	ds_write_b64 v11, v[12:13] offset:8448
.LBB192_20:
	s_or_b64 exec, exec, s[12:13]
	s_waitcnt lgkmcnt(0)
	s_barrier
	s_and_saveexec_b64 s[10:11], s[8:9]
	s_cbranch_execz .LBB192_22
; %bb.21:
	v_max_u32_e32 v11, 1, v7
	v_add_u32_e32 v12, 0x1080, v10
	ds_read2_b64 v[12:15], v12 offset1:255
	v_lshlrev_b32_e32 v11, 3, v11
	ds_read_b64 v[24:25], v11 offset:10232
	v_min_u32_e32 v20, 0xdf, v7
	v_add_u32_e32 v16, 0x2080, v10
	ds_read2_b64 v[16:19], v16 offset1:255
	v_lshlrev_b32_e32 v30, 3, v20
	v_add_u32_e32 v20, 0x80, v10
	ds_read2_b64 v[20:23], v20 offset1:255
	ds_read_b64 v[28:29], v30 offset:8448
	s_waitcnt lgkmcnt(4)
	v_xor_b32_e32 v26, 0x80000000, v15
	v_mov_b32_e32 v27, v14
	s_waitcnt lgkmcnt(3)
	v_pk_mul_f32 v[26:27], v[24:25], v[26:27] op_sel:[1,0]
	s_nop 0
	v_pk_fma_f32 v[14:15], v[14:15], v[24:25], v[26:27] op_sel_hi:[1,0,1]
	s_waitcnt lgkmcnt(2)
	v_pk_add_f32 v[14:15], v[18:19], v[14:15] neg_lo:[0,1] neg_hi:[0,1]
	s_waitcnt lgkmcnt(1)
	v_xor_b32_e32 v18, 0x80000000, v23
	v_mov_b32_e32 v19, v22
	s_waitcnt lgkmcnt(0)
	v_pk_mul_f32 v[18:19], v[28:29], v[18:19] op_sel:[1,0]
	s_nop 0
	v_pk_fma_f32 v[18:19], v[22:23], v[28:29], v[18:19] op_sel_hi:[1,0,1]
	s_nop 0
	v_pk_add_f32 v[14:15], v[14:15], v[18:19] neg_lo:[0,1] neg_hi:[0,1]
	ds_write_b64 v10, v[14:15] offset:10360
	ds_read_b64 v[14:15], v11 offset:10232
	v_xor_b32_e32 v18, 0x80000000, v13
	v_mov_b32_e32 v19, v12
	s_waitcnt lgkmcnt(0)
	v_pk_mul_f32 v[18:19], v[14:15], v[18:19] op_sel:[1,0]
	s_nop 0
	v_pk_fma_f32 v[12:13], v[12:13], v[14:15], v[18:19] op_sel_hi:[1,0,1]
	s_nop 0
	v_pk_add_f32 v[12:13], v[16:17], v[12:13] neg_lo:[0,1] neg_hi:[0,1]
	ds_write_b64 v10, v[12:13] offset:8320
	ds_read_b64 v[14:15], v30 offset:8448
	v_xor_b32_e32 v16, 0x80000000, v21
	v_mov_b32_e32 v17, v20
	s_waitcnt lgkmcnt(0)
	v_pk_mul_f32 v[16:17], v[14:15], v[16:17] op_sel:[1,0]
	s_nop 0
	v_pk_fma_f32 v[14:15], v[20:21], v[14:15], v[16:17] op_sel_hi:[1,0,1]
	s_nop 0
	v_pk_add_f32 v[12:13], v[12:13], v[14:15] neg_lo:[0,1] neg_hi:[0,1]
	ds_write_b64 v10, v[12:13] offset:8320
.LBB192_22:
	s_or_b64 exec, exec, s[10:11]
	v_lshlrev_b32_e32 v10, 4, v0
	s_waitcnt lgkmcnt(0)
	s_barrier
	s_and_saveexec_b64 s[8:9], s[6:7]
	s_cbranch_execz .LBB192_24
; %bb.23:
	v_max_u32_e32 v11, 1, v10
	v_add_u32_e32 v12, 0x1040, v9
	ds_read2_b64 v[12:15], v12 offset1:255
	v_lshlrev_b32_e32 v11, 3, v11
	ds_read_b64 v[24:25], v11 offset:10232
	v_min_u32_e32 v20, 0xef, v10
	v_add_u32_e32 v16, 0x2040, v9
	ds_read2_b64 v[16:19], v16 offset1:255
	v_lshlrev_b32_e32 v30, 3, v20
	v_add_u32_e32 v20, 64, v9
	ds_read2_b64 v[20:23], v20 offset1:255
	ds_read_b64 v[28:29], v30 offset:8320
	s_waitcnt lgkmcnt(4)
	v_xor_b32_e32 v26, 0x80000000, v15
	v_mov_b32_e32 v27, v14
	s_waitcnt lgkmcnt(3)
	v_pk_mul_f32 v[26:27], v[24:25], v[26:27] op_sel:[1,0]
	s_nop 0
	v_pk_fma_f32 v[14:15], v[14:15], v[24:25], v[26:27] op_sel_hi:[1,0,1]
	s_waitcnt lgkmcnt(2)
	v_pk_add_f32 v[14:15], v[18:19], v[14:15] neg_lo:[0,1] neg_hi:[0,1]
	s_waitcnt lgkmcnt(1)
	v_xor_b32_e32 v18, 0x80000000, v23
	v_mov_b32_e32 v19, v22
	s_waitcnt lgkmcnt(0)
	v_pk_mul_f32 v[18:19], v[28:29], v[18:19] op_sel:[1,0]
	s_nop 0
	v_pk_fma_f32 v[18:19], v[22:23], v[28:29], v[18:19] op_sel_hi:[1,0,1]
	s_nop 0
	v_pk_add_f32 v[14:15], v[14:15], v[18:19] neg_lo:[0,1] neg_hi:[0,1]
	ds_write_b64 v9, v[14:15] offset:10296
	ds_read_b64 v[14:15], v11 offset:10232
	v_xor_b32_e32 v18, 0x80000000, v13
	v_mov_b32_e32 v19, v12
	s_waitcnt lgkmcnt(0)
	v_pk_mul_f32 v[18:19], v[14:15], v[18:19] op_sel:[1,0]
	s_nop 0
	v_pk_fma_f32 v[12:13], v[12:13], v[14:15], v[18:19] op_sel_hi:[1,0,1]
	s_nop 0
	v_pk_add_f32 v[12:13], v[16:17], v[12:13] neg_lo:[0,1] neg_hi:[0,1]
	ds_write_b64 v9, v[12:13] offset:8256
	ds_read_b64 v[14:15], v30 offset:8320
	v_xor_b32_e32 v16, 0x80000000, v21
	v_mov_b32_e32 v17, v20
	s_waitcnt lgkmcnt(0)
	v_pk_mul_f32 v[16:17], v[14:15], v[16:17] op_sel:[1,0]
	s_nop 0
	v_pk_fma_f32 v[14:15], v[20:21], v[14:15], v[16:17] op_sel_hi:[1,0,1]
	s_nop 0
	v_pk_add_f32 v[12:13], v[12:13], v[14:15] neg_lo:[0,1] neg_hi:[0,1]
	ds_write_b64 v9, v[12:13] offset:8256
.LBB192_24:
	s_or_b64 exec, exec, s[8:9]
	s_waitcnt lgkmcnt(0)
	s_barrier
	s_and_saveexec_b64 s[6:7], s[4:5]
	s_cbranch_execz .LBB192_26
; %bb.25:
	v_max_u32_e32 v9, 1, v6
	v_add_u32_e32 v11, 0x1020, v8
	ds_read2_b64 v[12:15], v11 offset1:255
	v_lshlrev_b32_e32 v9, 3, v9
	ds_read_b64 v[24:25], v9 offset:10232
	v_add_u32_e32 v11, 0x2020, v8
	v_min_u32_e32 v6, 0xf7, v6
	ds_read2_b64 v[16:19], v11 offset1:255
	v_add_u32_e32 v11, 32, v8
	v_lshlrev_b32_e32 v6, 3, v6
	ds_read2_b64 v[20:23], v11 offset1:255
	ds_read_b64 v[28:29], v6 offset:8256
	s_waitcnt lgkmcnt(4)
	v_xor_b32_e32 v26, 0x80000000, v15
	v_mov_b32_e32 v27, v14
	s_waitcnt lgkmcnt(3)
	v_pk_mul_f32 v[26:27], v[24:25], v[26:27] op_sel:[1,0]
	s_nop 0
	v_pk_fma_f32 v[14:15], v[14:15], v[24:25], v[26:27] op_sel_hi:[1,0,1]
	s_waitcnt lgkmcnt(2)
	v_pk_add_f32 v[14:15], v[18:19], v[14:15] neg_lo:[0,1] neg_hi:[0,1]
	s_waitcnt lgkmcnt(1)
	v_xor_b32_e32 v18, 0x80000000, v23
	v_mov_b32_e32 v19, v22
	s_waitcnt lgkmcnt(0)
	v_pk_mul_f32 v[18:19], v[28:29], v[18:19] op_sel:[1,0]
	s_nop 0
	v_pk_fma_f32 v[18:19], v[22:23], v[28:29], v[18:19] op_sel_hi:[1,0,1]
	s_nop 0
	v_pk_add_f32 v[14:15], v[14:15], v[18:19] neg_lo:[0,1] neg_hi:[0,1]
	ds_write_b64 v8, v[14:15] offset:10264
	ds_read_b64 v[14:15], v9 offset:10232
	v_xor_b32_e32 v18, 0x80000000, v13
	v_mov_b32_e32 v19, v12
	s_waitcnt lgkmcnt(0)
	v_pk_mul_f32 v[18:19], v[14:15], v[18:19] op_sel:[1,0]
	s_nop 0
	v_pk_fma_f32 v[12:13], v[12:13], v[14:15], v[18:19] op_sel_hi:[1,0,1]
	s_nop 0
	v_pk_add_f32 v[12:13], v[16:17], v[12:13] neg_lo:[0,1] neg_hi:[0,1]
	ds_write_b64 v8, v[12:13] offset:8224
	ds_read_b64 v[14:15], v6 offset:8256
	v_xor_b32_e32 v16, 0x80000000, v21
	v_mov_b32_e32 v17, v20
	s_waitcnt lgkmcnt(0)
	v_pk_mul_f32 v[16:17], v[14:15], v[16:17] op_sel:[1,0]
	s_nop 0
	v_pk_fma_f32 v[14:15], v[20:21], v[14:15], v[16:17] op_sel_hi:[1,0,1]
	s_nop 0
	v_pk_add_f32 v[12:13], v[12:13], v[14:15] neg_lo:[0,1] neg_hi:[0,1]
	ds_write_b64 v8, v[12:13] offset:8224
.LBB192_26:
	s_or_b64 exec, exec, s[6:7]
	s_waitcnt lgkmcnt(0)
	s_barrier
	s_and_saveexec_b64 s[4:5], s[2:3]
	s_cbranch_execz .LBB192_28
; %bb.27:
	v_lshlrev_b32_e32 v6, 2, v0
	v_max_u32_e32 v8, 1, v6
	v_add_u32_e32 v9, 0x1010, v7
	ds_read2_b64 v[12:15], v9 offset1:255
	v_lshlrev_b32_e32 v11, 3, v8
	ds_read_b64 v[8:9], v11 offset:10232
	v_min_u32_e32 v6, 0xfb, v6
	v_add_u32_e32 v16, 0x2010, v7
	v_add_u32_e32 v20, 16, v7
	ds_read2_b64 v[16:19], v16 offset1:255
	v_lshlrev_b32_e32 v6, 3, v6
	ds_read2_b64 v[20:23], v20 offset1:255
	ds_read_b64 v[26:27], v6 offset:8224
	s_waitcnt lgkmcnt(4)
	v_xor_b32_e32 v24, 0x80000000, v15
	v_mov_b32_e32 v25, v14
	s_waitcnt lgkmcnt(3)
	v_pk_mul_f32 v[24:25], v[8:9], v[24:25] op_sel:[1,0]
	s_nop 0
	v_pk_fma_f32 v[8:9], v[14:15], v[8:9], v[24:25] op_sel_hi:[1,0,1]
	s_waitcnt lgkmcnt(1)
	v_xor_b32_e32 v14, 0x80000000, v23
	v_mov_b32_e32 v15, v22
	s_waitcnt lgkmcnt(0)
	v_pk_mul_f32 v[14:15], v[26:27], v[14:15] op_sel:[1,0]
	v_pk_add_f32 v[8:9], v[18:19], v[8:9] neg_lo:[0,1] neg_hi:[0,1]
	v_pk_fma_f32 v[14:15], v[22:23], v[26:27], v[14:15] op_sel_hi:[1,0,1]
	s_nop 0
	v_pk_add_f32 v[8:9], v[8:9], v[14:15] neg_lo:[0,1] neg_hi:[0,1]
	ds_write_b64 v7, v[8:9] offset:10248
	ds_read_b64 v[8:9], v11 offset:10232
	v_xor_b32_e32 v14, 0x80000000, v13
	v_mov_b32_e32 v15, v12
	s_waitcnt lgkmcnt(0)
	v_pk_mul_f32 v[14:15], v[8:9], v[14:15] op_sel:[1,0]
	s_nop 0
	v_pk_fma_f32 v[8:9], v[12:13], v[8:9], v[14:15] op_sel_hi:[1,0,1]
	v_xor_b32_e32 v14, 0x80000000, v21
	v_pk_add_f32 v[8:9], v[16:17], v[8:9] neg_lo:[0,1] neg_hi:[0,1]
	ds_write_b64 v7, v[8:9] offset:8208
	ds_read_b64 v[12:13], v6 offset:8224
	v_mov_b32_e32 v15, v20
	s_waitcnt lgkmcnt(0)
	v_pk_mul_f32 v[14:15], v[12:13], v[14:15] op_sel:[1,0]
	s_nop 0
	v_pk_fma_f32 v[12:13], v[20:21], v[12:13], v[14:15] op_sel_hi:[1,0,1]
	s_nop 0
	v_pk_add_f32 v[8:9], v[8:9], v[12:13] neg_lo:[0,1] neg_hi:[0,1]
	ds_write_b64 v7, v[8:9] offset:8208
.LBB192_28:
	s_or_b64 exec, exec, s[4:5]
	s_waitcnt lgkmcnt(0)
	s_barrier
	s_and_saveexec_b64 s[2:3], s[0:1]
	s_cbranch_execz .LBB192_30
; %bb.29:
	v_lshlrev_b32_e32 v0, 1, v0
	v_max_u32_e32 v11, 1, v0
	v_add_u32_e32 v6, 0x1008, v10
	ds_read2_b64 v[6:9], v6 offset1:255
	v_lshlrev_b32_e32 v11, 3, v11
	ds_read_b64 v[20:21], v11 offset:10232
	v_add_u32_e32 v12, 0x2008, v10
	v_min_u32_e32 v0, 0xfd, v0
	ds_read2_b64 v[12:15], v12 offset1:255
	v_add_u32_e32 v16, 8, v10
	v_lshlrev_b32_e32 v0, 3, v0
	ds_read2_b64 v[16:19], v16 offset1:255
	ds_read_b64 v[24:25], v0 offset:8208
	s_waitcnt lgkmcnt(4)
	v_xor_b32_e32 v22, 0x80000000, v9
	v_mov_b32_e32 v23, v8
	s_waitcnt lgkmcnt(3)
	v_pk_mul_f32 v[22:23], v[20:21], v[22:23] op_sel:[1,0]
	s_nop 0
	v_pk_fma_f32 v[8:9], v[8:9], v[20:21], v[22:23] op_sel_hi:[1,0,1]
	s_waitcnt lgkmcnt(2)
	v_pk_add_f32 v[8:9], v[14:15], v[8:9] neg_lo:[0,1] neg_hi:[0,1]
	s_waitcnt lgkmcnt(1)
	v_xor_b32_e32 v14, 0x80000000, v19
	v_mov_b32_e32 v15, v18
	s_waitcnt lgkmcnt(0)
	v_pk_mul_f32 v[14:15], v[24:25], v[14:15] op_sel:[1,0]
	s_nop 0
	v_pk_fma_f32 v[14:15], v[18:19], v[24:25], v[14:15] op_sel_hi:[1,0,1]
	s_nop 0
	v_pk_add_f32 v[8:9], v[8:9], v[14:15] neg_lo:[0,1] neg_hi:[0,1]
	ds_write_b64 v10, v[8:9] offset:10240
	ds_read_b64 v[8:9], v11 offset:10232
	v_xor_b32_e32 v14, 0x80000000, v7
	v_mov_b32_e32 v15, v6
	s_waitcnt lgkmcnt(0)
	v_pk_mul_f32 v[14:15], v[8:9], v[14:15] op_sel:[1,0]
	s_nop 0
	v_pk_fma_f32 v[6:7], v[6:7], v[8:9], v[14:15] op_sel_hi:[1,0,1]
	s_nop 0
	v_pk_add_f32 v[6:7], v[12:13], v[6:7] neg_lo:[0,1] neg_hi:[0,1]
	ds_write_b64 v10, v[6:7] offset:8200
	ds_read_b64 v[8:9], v0 offset:8208
	v_xor_b32_e32 v12, 0x80000000, v17
	v_mov_b32_e32 v13, v16
	s_waitcnt lgkmcnt(0)
	v_pk_mul_f32 v[12:13], v[8:9], v[12:13] op_sel:[1,0]
	s_nop 0
	v_pk_fma_f32 v[8:9], v[16:17], v[8:9], v[12:13] op_sel_hi:[1,0,1]
	s_nop 0
	v_pk_add_f32 v[6:7], v[6:7], v[8:9] neg_lo:[0,1] neg_hi:[0,1]
	ds_write_b64 v10, v[6:7] offset:8200
.LBB192_30:
	s_or_b64 exec, exec, s[2:3]
	s_waitcnt lgkmcnt(0)
	s_barrier
	ds_read2st64_b64 v[6:9], v1 offset1:4
	s_waitcnt lgkmcnt(0)
	global_store_dwordx2 v[2:3], v[6:7], off
	global_store_dwordx2 v[4:5], v[8:9], off
	s_endpgm
	.section	.rodata,"a",@progbits
	.p2align	6, 0x0
	.amdhsa_kernel _ZN9rocsparseL34gtsv_solve_spike_grid_level_kernelILj256E21rocsparse_complex_numIfEEEviiiPT0_PKS3_S6_
		.amdhsa_group_segment_fixed_size 12288
		.amdhsa_private_segment_fixed_size 0
		.amdhsa_kernarg_size 40
		.amdhsa_user_sgpr_count 2
		.amdhsa_user_sgpr_dispatch_ptr 0
		.amdhsa_user_sgpr_queue_ptr 0
		.amdhsa_user_sgpr_kernarg_segment_ptr 1
		.amdhsa_user_sgpr_dispatch_id 0
		.amdhsa_user_sgpr_kernarg_preload_length 0
		.amdhsa_user_sgpr_kernarg_preload_offset 0
		.amdhsa_user_sgpr_private_segment_size 0
		.amdhsa_uses_dynamic_stack 0
		.amdhsa_enable_private_segment 0
		.amdhsa_system_sgpr_workgroup_id_x 1
		.amdhsa_system_sgpr_workgroup_id_y 1
		.amdhsa_system_sgpr_workgroup_id_z 0
		.amdhsa_system_sgpr_workgroup_info 0
		.amdhsa_system_vgpr_workitem_id 0
		.amdhsa_next_free_vgpr 54
		.amdhsa_next_free_sgpr 18
		.amdhsa_accum_offset 56
		.amdhsa_reserve_vcc 1
		.amdhsa_float_round_mode_32 0
		.amdhsa_float_round_mode_16_64 0
		.amdhsa_float_denorm_mode_32 3
		.amdhsa_float_denorm_mode_16_64 3
		.amdhsa_dx10_clamp 1
		.amdhsa_ieee_mode 1
		.amdhsa_fp16_overflow 0
		.amdhsa_tg_split 0
		.amdhsa_exception_fp_ieee_invalid_op 0
		.amdhsa_exception_fp_denorm_src 0
		.amdhsa_exception_fp_ieee_div_zero 0
		.amdhsa_exception_fp_ieee_overflow 0
		.amdhsa_exception_fp_ieee_underflow 0
		.amdhsa_exception_fp_ieee_inexact 0
		.amdhsa_exception_int_div_zero 0
	.end_amdhsa_kernel
	.section	.text._ZN9rocsparseL34gtsv_solve_spike_grid_level_kernelILj256E21rocsparse_complex_numIfEEEviiiPT0_PKS3_S6_,"axG",@progbits,_ZN9rocsparseL34gtsv_solve_spike_grid_level_kernelILj256E21rocsparse_complex_numIfEEEviiiPT0_PKS3_S6_,comdat
.Lfunc_end192:
	.size	_ZN9rocsparseL34gtsv_solve_spike_grid_level_kernelILj256E21rocsparse_complex_numIfEEEviiiPT0_PKS3_S6_, .Lfunc_end192-_ZN9rocsparseL34gtsv_solve_spike_grid_level_kernelILj256E21rocsparse_complex_numIfEEEviiiPT0_PKS3_S6_
                                        ; -- End function
	.set _ZN9rocsparseL34gtsv_solve_spike_grid_level_kernelILj256E21rocsparse_complex_numIfEEEviiiPT0_PKS3_S6_.num_vgpr, 54
	.set _ZN9rocsparseL34gtsv_solve_spike_grid_level_kernelILj256E21rocsparse_complex_numIfEEEviiiPT0_PKS3_S6_.num_agpr, 0
	.set _ZN9rocsparseL34gtsv_solve_spike_grid_level_kernelILj256E21rocsparse_complex_numIfEEEviiiPT0_PKS3_S6_.numbered_sgpr, 18
	.set _ZN9rocsparseL34gtsv_solve_spike_grid_level_kernelILj256E21rocsparse_complex_numIfEEEviiiPT0_PKS3_S6_.num_named_barrier, 0
	.set _ZN9rocsparseL34gtsv_solve_spike_grid_level_kernelILj256E21rocsparse_complex_numIfEEEviiiPT0_PKS3_S6_.private_seg_size, 0
	.set _ZN9rocsparseL34gtsv_solve_spike_grid_level_kernelILj256E21rocsparse_complex_numIfEEEviiiPT0_PKS3_S6_.uses_vcc, 1
	.set _ZN9rocsparseL34gtsv_solve_spike_grid_level_kernelILj256E21rocsparse_complex_numIfEEEviiiPT0_PKS3_S6_.uses_flat_scratch, 0
	.set _ZN9rocsparseL34gtsv_solve_spike_grid_level_kernelILj256E21rocsparse_complex_numIfEEEviiiPT0_PKS3_S6_.has_dyn_sized_stack, 0
	.set _ZN9rocsparseL34gtsv_solve_spike_grid_level_kernelILj256E21rocsparse_complex_numIfEEEviiiPT0_PKS3_S6_.has_recursion, 0
	.set _ZN9rocsparseL34gtsv_solve_spike_grid_level_kernelILj256E21rocsparse_complex_numIfEEEviiiPT0_PKS3_S6_.has_indirect_call, 0
	.section	.AMDGPU.csdata,"",@progbits
; Kernel info:
; codeLenInByte = 9268
; TotalNumSgprs: 24
; NumVgprs: 54
; NumAgprs: 0
; TotalNumVgprs: 54
; ScratchSize: 0
; MemoryBound: 0
; FloatMode: 240
; IeeeMode: 1
; LDSByteSize: 12288 bytes/workgroup (compile time only)
; SGPRBlocks: 2
; VGPRBlocks: 6
; NumSGPRsForWavesPerEU: 24
; NumVGPRsForWavesPerEU: 54
; AccumOffset: 56
; Occupancy: 8
; WaveLimiterHint : 1
; COMPUTE_PGM_RSRC2:SCRATCH_EN: 0
; COMPUTE_PGM_RSRC2:USER_SGPR: 2
; COMPUTE_PGM_RSRC2:TRAP_HANDLER: 0
; COMPUTE_PGM_RSRC2:TGID_X_EN: 1
; COMPUTE_PGM_RSRC2:TGID_Y_EN: 1
; COMPUTE_PGM_RSRC2:TGID_Z_EN: 0
; COMPUTE_PGM_RSRC2:TIDIG_COMP_CNT: 0
; COMPUTE_PGM_RSRC3_GFX90A:ACCUM_OFFSET: 13
; COMPUTE_PGM_RSRC3_GFX90A:TG_SPLIT: 0
	.section	.text._ZN9rocsparseL34gtsv_solve_spike_grid_level_kernelILj512E21rocsparse_complex_numIfEEEviiiPT0_PKS3_S6_,"axG",@progbits,_ZN9rocsparseL34gtsv_solve_spike_grid_level_kernelILj512E21rocsparse_complex_numIfEEEviiiPT0_PKS3_S6_,comdat
	.globl	_ZN9rocsparseL34gtsv_solve_spike_grid_level_kernelILj512E21rocsparse_complex_numIfEEEviiiPT0_PKS3_S6_ ; -- Begin function _ZN9rocsparseL34gtsv_solve_spike_grid_level_kernelILj512E21rocsparse_complex_numIfEEEviiiPT0_PKS3_S6_
	.p2align	8
	.type	_ZN9rocsparseL34gtsv_solve_spike_grid_level_kernelILj512E21rocsparse_complex_numIfEEEviiiPT0_PKS3_S6_,@function
_ZN9rocsparseL34gtsv_solve_spike_grid_level_kernelILj512E21rocsparse_complex_numIfEEEviiiPT0_PKS3_S6_: ; @_ZN9rocsparseL34gtsv_solve_spike_grid_level_kernelILj512E21rocsparse_complex_numIfEEEviiiPT0_PKS3_S6_
; %bb.0:
	s_load_dwordx4 s[4:7], s[0:1], 0x10
	s_load_dwordx2 s[8:9], s[0:1], 0x20
	v_lshlrev_b32_e32 v6, 3, v0
	v_mov_b32_e32 v7, 0
	v_lshl_or_b32 v4, s3, 10, v0
	s_waitcnt lgkmcnt(0)
	v_lshl_add_u64 v[2:3], s[6:7], 0, v[6:7]
	v_add_co_u32_e32 v2, vcc, 0x1000, v2
	v_mov_b32_e32 v5, v7
	s_nop 0
	v_addc_co_u32_e32 v3, vcc, 0, v3, vcc
	global_load_dwordx2 v[8:9], v[2:3], off
	v_lshl_add_u64 v[2:3], s[8:9], 0, v[6:7]
	v_add_co_u32_e32 v10, vcc, 0x1000, v2
	s_movk_i32 s0, 0x100
	s_nop 0
	v_addc_co_u32_e32 v11, vcc, 0, v3, vcc
	v_lshl_add_u64 v[2:3], v[4:5], 3, s[4:5]
	v_or_b32_e32 v4, 0x200, v4
	v_lshl_add_u64 v[4:5], v[4:5], 3, s[4:5]
	global_load_dwordx2 v[12:13], v[2:3], off
	global_load_dwordx2 v[14:15], v[4:5], off
	global_load_dwordx2 v[16:17], v6, s[6:7]
	global_load_dwordx2 v[18:19], v6, s[8:9]
	global_load_dwordx2 v[20:21], v[10:11], off
	s_mov_b32 s5, 0
	v_or_b32_e32 v1, 0x4000, v6
	v_cmp_gt_u32_e64 s[0:1], s0, v0
	s_waitcnt vmcnt(3)
	ds_write2st64_b64 v6, v[12:13], v[14:15] offset0:32 offset1:40
	s_waitcnt vmcnt(2)
	ds_write2st64_b64 v6, v[16:17], v[8:9] offset0:16 offset1:24
	s_waitcnt vmcnt(0)
	ds_write2st64_b64 v6, v[18:19], v[20:21] offset1:8
	s_waitcnt lgkmcnt(0)
	s_barrier
	s_and_saveexec_b64 s[2:3], s[0:1]
	s_cbranch_execz .LBB193_2
; %bb.1:
	v_or_b32_e32 v7, 0x2000, v6
	v_add_u32_e32 v7, v7, v6
	ds_read2_b64 v[8:11], v7 offset1:1
	v_add_u32_e32 v47, v6, v6
	ds_read_b128 v[12:15], v47 offset:4096
	ds_read_b64 v[36:37], v7 offset:4104
	s_mov_b32 s4, 1.0
	v_add_u32_e32 v49, v1, v6
	s_waitcnt lgkmcnt(2)
	v_xor_b32_e32 v20, 0x80000000, v11
	v_mov_b32_e32 v21, v10
	s_waitcnt lgkmcnt(1)
	v_pk_mul_f32 v[20:21], v[12:13], v[20:21] op_sel:[1,0]
	ds_read_b128 v[16:19], v47
	v_pk_fma_f32 v[12:13], v[10:11], v[12:13], v[20:21] op_sel_hi:[1,0,1]
	v_add_u32_e32 v28, 0x1000, v49
	v_pk_add_f32 v[12:13], v[12:13], s[4:5] neg_lo:[1,0] neg_hi:[1,0]
	s_nop 0
	v_mul_f32_e32 v20, v13, v13
	v_fmac_f32_e32 v20, v12, v12
	v_div_scale_f32 v21, s[4:5], v20, v20, 1.0
	v_rcp_f32_e32 v22, v21
	v_fma_f32 v39, v12, 0, -v13
	v_fmac_f32_e32 v12, 0, v13
	v_add_u32_e32 v13, 0x1000, v7
	v_fma_f32 v23, -v21, v22, 1.0
	v_fmac_f32_e32 v22, v23, v22
	v_div_scale_f32 v23, vcc, 1.0, v20, 1.0
	v_mul_f32_e32 v24, v23, v22
	v_fma_f32 v25, -v21, v24, v23
	v_fmac_f32_e32 v24, v25, v22
	v_fma_f32 v21, -v21, v24, v23
	v_div_fmas_f32 v21, v21, v22, v24
	v_div_fixup_f32 v38, v21, v20, 1.0
	ds_read_b128 v[20:23], v49
	ds_read2st64_b64 v[24:27], v47 offset1:8
	ds_read2_b64 v[28:31], v28 offset1:1
	s_waitcnt lgkmcnt(2)
	v_mov_b32_e32 v32, v23
	s_waitcnt lgkmcnt(1)
	v_pk_mul_f32 v[32:33], v[32:33], v[26:27] op_sel:[0,1] op_sel_hi:[0,0] neg_lo:[0,1]
	v_pk_fma_f32 v[32:33], v[26:27], v[22:23], v[32:33] op_sel_hi:[1,0,1]
	s_waitcnt lgkmcnt(0)
	v_pk_mul_f32 v[44:45], v[10:11], v[28:29] op_sel:[1,1] op_sel_hi:[1,0] neg_lo:[0,1]
	v_pk_add_f32 v[40:41], v[28:29], v[32:33] neg_lo:[0,1] neg_hi:[0,1]
	ds_read2_b64 v[32:35], v13 offset1:1
	v_pk_fma_f32 v[28:29], v[28:29], v[10:11], v[44:45] op_sel_hi:[1,0,1]
	v_mov_b32_e32 v13, v39
	v_xor_b32_e32 v42, 0x80000000, v41
	v_mov_b32_e32 v43, v40
	v_pk_add_f32 v[22:23], v[22:23], v[28:29] neg_lo:[0,1] neg_hi:[0,1]
	v_pk_mul_f32 v[38:39], v[12:13], v[38:39] op_sel_hi:[1,0]
	v_xor_b32_e32 v28, 0x80000000, v23
	v_mov_b32_e32 v29, v22
	v_mul_f32_e64 v46, v19, -v27
	v_mul_f32_e32 v48, v19, v26
	v_pk_mul_f32 v[12:13], v[38:39], v[42:43] op_sel:[1,0]
	v_fmac_f32_e32 v46, v26, v18
	v_fmac_f32_e32 v48, v27, v18
	v_pk_fma_f32 v[26:27], v[40:41], v[38:39], v[12:13] op_sel_hi:[1,0,1]
	v_pk_mul_f32 v[12:13], v[38:39], v[28:29] op_sel:[1,0]
	s_waitcnt lgkmcnt(0)
	v_xor_b32_e32 v44, 0x80000000, v35
	v_pk_fma_f32 v[22:23], v[22:23], v[38:39], v[12:13] op_sel_hi:[1,0,1]
	v_mov_b32_e32 v45, v34
	v_pk_mul_f32 v[12:13], v[22:23], v[16:17] op_sel:[1,1] op_sel_hi:[1,0] neg_lo:[0,1]
	s_nop 0
	v_pk_fma_f32 v[12:13], v[16:17], v[22:23], v[12:13] op_sel_hi:[1,0,1]
	v_pk_add_f32 v[16:17], v[38:39], 0 neg_lo:[1,1] neg_hi:[1,1]
	v_pk_add_f32 v[20:21], v[20:21], v[12:13] neg_lo:[0,1] neg_hi:[0,1]
	ds_write_b128 v49, v[20:23]
	v_pk_mov_b32 v[20:21], v[38:39], v[16:17] op_sel:[1,0]
	v_mov_b32_e32 v22, v19
	v_pk_mov_b32 v[16:17], v[16:17], v[38:39] op_sel:[1,0]
	v_pk_mul_f32 v[12:13], v[26:27], v[44:45] op_sel:[1,0]
	v_pk_mul_f32 v[16:17], v[22:23], v[16:17] op_sel_hi:[0,1]
	v_mul_f32_e32 v22, v11, v32
	v_pk_fma_f32 v[18:19], v[38:39], v[18:19], v[16:17] op_sel_hi:[1,0,1]
	v_mul_f32_e64 v16, v11, -v33
	v_fmac_f32_e32 v22, v33, v10
	v_pk_fma_f32 v[12:13], v[34:35], v[26:27], v[12:13] op_sel_hi:[1,0,1]
	v_fmac_f32_e32 v16, v32, v10
	v_pk_mul_f32 v[10:11], v[20:21], v[22:23] op_sel_hi:[1,0]
	v_pk_add_f32 v[28:29], v[30:31], v[12:13] neg_lo:[0,1] neg_hi:[0,1]
	v_pk_fma_f32 v[10:11], v[38:39], v[16:17], v[10:11] op_sel_hi:[1,0,1] neg_lo:[1,0,0] neg_hi:[1,0,0]
	ds_write_b128 v49, v[26:29] offset:4096
	v_xor_b32_e32 v26, 0x80000000, v39
	v_mov_b32_e32 v27, v38
	v_pk_mul_f32 v[22:23], v[10:11], v[24:25] op_sel:[1,1] op_sel_hi:[1,0] neg_lo:[0,1]
	v_pk_mul_f32 v[16:17], v[32:33], v[26:27] op_sel:[1,0]
	v_pk_fma_f32 v[22:23], v[24:25], v[10:11], v[22:23] op_sel_hi:[1,0,1]
	v_pk_mul_f32 v[12:13], v[20:21], v[48:49] op_sel_hi:[1,0]
	v_pk_fma_f32 v[20:21], v[38:39], v[32:33], v[16:17] op_sel_hi:[1,0,1]
	v_pk_add_f32 v[16:17], v[24:25], 0 neg_lo:[1,1] neg_hi:[1,1]
	v_pk_add_f32 v[8:9], v[8:9], v[22:23] neg_lo:[0,1] neg_hi:[0,1]
	ds_write_b128 v7, v[8:11]
	v_pk_mov_b32 v[8:9], v[24:25], v[16:17] op_sel:[1,0]
	v_pk_fma_f32 v[12:13], v[38:39], v[46:47], v[12:13] op_sel_hi:[1,0,1] neg_lo:[1,0,0] neg_hi:[1,0,0]
	v_pk_mul_f32 v[8:9], v[18:19], v[8:9] op_sel:[1,0]
	s_nop 0
	v_pk_fma_f32 v[16:17], v[24:25], v[18:19], v[8:9] op_sel_hi:[1,0,1] neg_lo:[1,0,0] neg_hi:[1,0,0]
	v_xor_b32_e32 v8, 0x80000000, v13
	v_mov_b32_e32 v9, v12
	v_pk_mul_f32 v[8:9], v[36:37], v[8:9] op_sel:[1,0]
	ds_write_b128 v47, v[16:19]
	v_pk_fma_f32 v[8:9], v[12:13], v[36:37], v[8:9] op_sel_hi:[1,0,1]
	s_nop 0
	v_pk_add_f32 v[14:15], v[14:15], v[8:9] neg_lo:[0,1] neg_hi:[0,1]
	v_pk_add_f32 v[8:9], v[36:37], 0 neg_lo:[1,1] neg_hi:[1,1]
	ds_write_b128 v47, v[12:15] offset:4096
	v_pk_mov_b32 v[8:9], v[36:37], v[8:9] op_sel:[1,0]
	s_nop 0
	v_pk_mul_f32 v[8:9], v[20:21], v[8:9] op_sel:[1,0]
	s_nop 0
	v_pk_fma_f32 v[22:23], v[36:37], v[20:21], v[8:9] op_sel_hi:[1,0,1] neg_lo:[1,0,0] neg_hi:[1,0,0]
	ds_write_b128 v7, v[20:23] offset:4096
.LBB193_2:
	s_or_b64 exec, exec, s[2:3]
	s_movk_i32 s2, 0x80
	v_cmp_gt_u32_e64 s[2:3], s2, v0
	v_lshlrev_b32_e32 v7, 5, v0
	s_waitcnt lgkmcnt(0)
	s_barrier
	s_and_saveexec_b64 s[4:5], s[2:3]
	s_cbranch_execz .LBB193_4
; %bb.3:
	v_add_u32_e32 v49, 0x2000, v7
	ds_read2_b64 v[8:11], v49 offset1:2
	v_add_u32_e32 v50, 0x1000, v7
	ds_read2_b64 v[12:15], v50 offset0:1 offset1:3
	s_mov_b64 s[6:7], 0x3f800000
	v_add_u32_e32 v51, 0x4000, v7
	s_waitcnt lgkmcnt(1)
	v_xor_b32_e32 v16, 0x80000000, v11
	v_mov_b32_e32 v17, v10
	s_waitcnt lgkmcnt(0)
	v_pk_mul_f32 v[16:17], v[12:13], v[16:17] op_sel:[1,0]
	v_add_u32_e32 v52, 0x5000, v7
	v_pk_fma_f32 v[16:17], v[10:11], v[12:13], v[16:17] op_sel_hi:[1,0,1]
	ds_read_b64 v[40:41], v7
	v_pk_add_f32 v[28:29], v[16:17], s[6:7] neg_lo:[1,0] neg_hi:[1,0]
	v_add_u32_e32 v53, 0x3000, v7
	v_mul_f32_e32 v16, v29, v29
	v_fmac_f32_e32 v16, v28, v28
	v_div_scale_f32 v17, s[6:7], v16, v16, 1.0
	v_rcp_f32_e32 v18, v17
	v_fma_f32 v31, v28, 0, -v29
	v_fmac_f32_e32 v28, 0, v29
	v_mov_b32_e32 v29, v31
	v_fma_f32 v19, -v17, v18, 1.0
	v_fmac_f32_e32 v18, v19, v18
	v_div_scale_f32 v19, vcc, 1.0, v16, 1.0
	v_mul_f32_e32 v20, v19, v18
	v_fma_f32 v21, -v17, v20, v19
	v_fmac_f32_e32 v20, v21, v18
	v_fma_f32 v17, -v17, v20, v19
	v_div_fmas_f32 v17, v17, v18, v20
	v_div_fixup_f32 v30, v17, v16, 1.0
	ds_read2_b64 v[16:19], v51 offset1:2
	ds_read2_b64 v[20:23], v52 offset0:1 offset1:3
	v_pk_mul_f32 v[28:29], v[28:29], v[30:31] op_sel_hi:[1,0]
	s_waitcnt lgkmcnt(2)
	v_xor_b32_e32 v44, 0x80000000, v41
	v_mov_b32_e32 v45, v40
	s_waitcnt lgkmcnt(1)
	v_pk_mul_f32 v[24:25], v[18:19], v[12:13] op_sel:[1,1] op_sel_hi:[1,0] neg_lo:[0,1]
	s_nop 0
	v_pk_fma_f32 v[24:25], v[12:13], v[18:19], v[24:25] op_sel_hi:[1,0,1]
	s_waitcnt lgkmcnt(0)
	v_pk_add_f32 v[32:33], v[20:21], v[24:25] neg_lo:[0,1] neg_hi:[0,1]
	v_pk_mul_f32 v[24:25], v[10:11], v[20:21] op_sel:[1,1] op_sel_hi:[1,0] neg_lo:[0,1]
	v_xor_b32_e32 v34, 0x80000000, v33
	v_pk_fma_f32 v[20:21], v[20:21], v[10:11], v[24:25] op_sel_hi:[1,0,1]
	v_mov_b32_e32 v35, v32
	v_pk_add_f32 v[36:37], v[18:19], v[20:21] neg_lo:[0,1] neg_hi:[0,1]
	v_pk_mul_f32 v[30:31], v[28:29], v[34:35] op_sel:[1,0]
	v_xor_b32_e32 v38, 0x80000000, v37
	v_mov_b32_e32 v39, v36
	v_pk_fma_f32 v[30:31], v[32:33], v[28:29], v[30:31] op_sel_hi:[1,0,1]
	v_pk_mul_f32 v[32:33], v[28:29], v[38:39] op_sel:[1,0]
	ds_read2_b64 v[18:21], v53 offset0:1 offset1:3
	ds_read2_b64 v[24:27], v7 offset1:2
	ds_read_b64 v[42:43], v7 offset:12312
	v_pk_fma_f32 v[32:33], v[36:37], v[28:29], v[32:33] op_sel_hi:[1,0,1]
	s_waitcnt lgkmcnt(2)
	v_xor_b32_e32 v46, 0x80000000, v21
	v_pk_mul_f32 v[34:35], v[32:33], v[44:45] op_sel:[1,0]
	v_mov_b32_e32 v47, v20
	v_pk_fma_f32 v[34:35], v[40:41], v[32:33], v[34:35] op_sel_hi:[1,0,1]
	s_waitcnt lgkmcnt(1)
	v_mul_f32_e64 v48, v27, -v13
	v_pk_add_f32 v[16:17], v[16:17], v[34:35] neg_lo:[0,1] neg_hi:[0,1]
	ds_write2_b64 v51, v[16:17], v[32:33] offset1:2
	v_pk_mul_f32 v[16:17], v[30:31], v[46:47] op_sel:[1,0]
	v_fmac_f32_e32 v48, v12, v26
	v_pk_fma_f32 v[16:17], v[20:21], v[30:31], v[16:17] op_sel_hi:[1,0,1]
	v_mul_f32_e32 v12, v27, v12
	v_pk_add_f32 v[16:17], v[22:23], v[16:17] neg_lo:[0,1] neg_hi:[0,1]
	ds_write2_b64 v52, v[30:31], v[16:17] offset0:1 offset1:3
	v_pk_add_f32 v[16:17], v[28:29], 0 neg_lo:[1,1] neg_hi:[1,1]
	v_fmac_f32_e32 v12, v13, v26
	v_pk_mov_b32 v[20:21], v[28:29], v[16:17] op_sel:[1,0]
	v_pk_mov_b32 v[16:17], v[16:17], v[28:29] op_sel:[1,0]
	v_mul_f32_e64 v22, v11, -v19
	v_pk_mul_f32 v[16:17], v[26:27], v[16:17] op_sel:[1,0]
	v_pk_mul_f32 v[12:13], v[20:21], v[12:13] op_sel_hi:[1,0]
	v_pk_fma_f32 v[16:17], v[28:29], v[26:27], v[16:17] op_sel_hi:[1,0,1]
	v_mul_f32_e32 v26, v11, v18
	v_fmac_f32_e32 v26, v19, v10
	v_fmac_f32_e32 v22, v18, v10
	v_pk_mul_f32 v[20:21], v[20:21], v[26:27] op_sel_hi:[1,0]
	v_xor_b32_e32 v10, 0x80000000, v29
	v_pk_fma_f32 v[20:21], v[28:29], v[22:23], v[20:21] op_sel_hi:[1,0,1] neg_lo:[1,0,0] neg_hi:[1,0,0]
	v_mov_b32_e32 v11, v28
	v_pk_mul_f32 v[22:23], v[20:21], v[24:25] op_sel:[1,1] op_sel_hi:[1,0] neg_lo:[0,1]
	v_pk_mul_f32 v[10:11], v[18:19], v[10:11] op_sel:[1,0]
	v_pk_fma_f32 v[22:23], v[24:25], v[20:21], v[22:23] op_sel_hi:[1,0,1]
	v_pk_fma_f32 v[10:11], v[28:29], v[18:19], v[10:11] op_sel_hi:[1,0,1]
	v_pk_add_f32 v[18:19], v[24:25], 0 neg_lo:[1,1] neg_hi:[1,1]
	v_pk_add_f32 v[8:9], v[8:9], v[22:23] neg_lo:[0,1] neg_hi:[0,1]
	ds_write2_b64 v49, v[8:9], v[20:21] offset1:2
	v_pk_mov_b32 v[8:9], v[24:25], v[18:19] op_sel:[1,0]
	v_pk_fma_f32 v[12:13], v[28:29], v[48:49], v[12:13] op_sel_hi:[1,0,1] neg_lo:[1,0,0] neg_hi:[1,0,0]
	v_pk_mul_f32 v[8:9], v[16:17], v[8:9] op_sel:[1,0]
	s_nop 0
	v_pk_fma_f32 v[8:9], v[24:25], v[16:17], v[8:9] op_sel_hi:[1,0,1] neg_lo:[1,0,0] neg_hi:[1,0,0]
	ds_write2_b64 v7, v[8:9], v[16:17] offset1:2
	v_xor_b32_e32 v8, 0x80000000, v13
	v_mov_b32_e32 v9, v12
	s_waitcnt lgkmcnt(4)
	v_pk_mul_f32 v[8:9], v[42:43], v[8:9] op_sel:[1,0]
	s_nop 0
	v_pk_fma_f32 v[8:9], v[12:13], v[42:43], v[8:9] op_sel_hi:[1,0,1]
	s_nop 0
	v_pk_add_f32 v[8:9], v[14:15], v[8:9] neg_lo:[0,1] neg_hi:[0,1]
	ds_write2_b64 v50, v[12:13], v[8:9] offset0:1 offset1:3
	v_pk_add_f32 v[8:9], v[42:43], 0 neg_lo:[1,1] neg_hi:[1,1]
	s_nop 0
	v_pk_mov_b32 v[8:9], v[42:43], v[8:9] op_sel:[1,0]
	s_nop 0
	v_pk_mul_f32 v[8:9], v[10:11], v[8:9] op_sel:[1,0]
	s_nop 0
	v_pk_fma_f32 v[8:9], v[42:43], v[10:11], v[8:9] op_sel_hi:[1,0,1] neg_lo:[1,0,0] neg_hi:[1,0,0]
	ds_write2_b64 v53, v[10:11], v[8:9] offset0:1 offset1:3
.LBB193_4:
	s_or_b64 exec, exec, s[4:5]
	v_cmp_gt_u32_e64 s[4:5], 64, v0
	v_lshlrev_b32_e32 v8, 6, v0
	s_waitcnt lgkmcnt(0)
	s_barrier
	s_and_saveexec_b64 s[6:7], s[4:5]
	s_cbranch_execz .LBB193_6
; %bb.5:
	v_add_u32_e32 v9, 0x2000, v8
	ds_read2_b64 v[10:13], v9 offset1:4
	v_add_u32_e32 v51, 0x1000, v8
	ds_read2_b64 v[14:17], v51 offset0:3 offset1:7
	s_mov_b64 s[8:9], 0x3f800000
	v_add_u32_e32 v52, 0x4000, v8
	s_waitcnt lgkmcnt(1)
	v_xor_b32_e32 v18, 0x80000000, v13
	v_mov_b32_e32 v19, v12
	s_waitcnt lgkmcnt(0)
	v_pk_mul_f32 v[18:19], v[14:15], v[18:19] op_sel:[1,0]
	v_add_u32_e32 v53, 0x5000, v8
	v_pk_fma_f32 v[18:19], v[12:13], v[14:15], v[18:19] op_sel_hi:[1,0,1]
	ds_read_b64 v[42:43], v8
	v_pk_add_f32 v[30:31], v[18:19], s[8:9] neg_lo:[1,0] neg_hi:[1,0]
	v_add_u32_e32 v54, 0x3000, v8
	v_mul_f32_e32 v18, v31, v31
	v_fmac_f32_e32 v18, v30, v30
	v_div_scale_f32 v19, s[8:9], v18, v18, 1.0
	v_rcp_f32_e32 v20, v19
	v_fma_f32 v33, v30, 0, -v31
	v_fmac_f32_e32 v30, 0, v31
	v_mov_b32_e32 v31, v33
	v_fma_f32 v21, -v19, v20, 1.0
	v_fmac_f32_e32 v20, v21, v20
	v_div_scale_f32 v21, vcc, 1.0, v18, 1.0
	v_mul_f32_e32 v22, v21, v20
	v_fma_f32 v23, -v19, v22, v21
	v_fmac_f32_e32 v22, v23, v20
	v_fma_f32 v19, -v19, v22, v21
	v_div_fmas_f32 v19, v19, v20, v22
	v_div_fixup_f32 v32, v19, v18, 1.0
	ds_read2_b64 v[18:21], v52 offset1:4
	ds_read2_b64 v[22:25], v53 offset0:3 offset1:7
	v_pk_mul_f32 v[30:31], v[30:31], v[32:33] op_sel_hi:[1,0]
	s_waitcnt lgkmcnt(2)
	v_xor_b32_e32 v46, 0x80000000, v43
	v_mov_b32_e32 v47, v42
	s_waitcnt lgkmcnt(1)
	v_pk_mul_f32 v[26:27], v[20:21], v[14:15] op_sel:[1,1] op_sel_hi:[1,0] neg_lo:[0,1]
	s_nop 0
	v_pk_fma_f32 v[26:27], v[14:15], v[20:21], v[26:27] op_sel_hi:[1,0,1]
	s_waitcnt lgkmcnt(0)
	v_pk_add_f32 v[34:35], v[22:23], v[26:27] neg_lo:[0,1] neg_hi:[0,1]
	v_pk_mul_f32 v[26:27], v[12:13], v[22:23] op_sel:[1,1] op_sel_hi:[1,0] neg_lo:[0,1]
	v_xor_b32_e32 v36, 0x80000000, v35
	v_pk_fma_f32 v[22:23], v[22:23], v[12:13], v[26:27] op_sel_hi:[1,0,1]
	v_mov_b32_e32 v37, v34
	v_pk_add_f32 v[38:39], v[20:21], v[22:23] neg_lo:[0,1] neg_hi:[0,1]
	v_pk_mul_f32 v[32:33], v[30:31], v[36:37] op_sel:[1,0]
	v_xor_b32_e32 v40, 0x80000000, v39
	v_mov_b32_e32 v41, v38
	v_pk_fma_f32 v[32:33], v[34:35], v[30:31], v[32:33] op_sel_hi:[1,0,1]
	v_pk_mul_f32 v[34:35], v[30:31], v[40:41] op_sel:[1,0]
	ds_read2_b64 v[20:23], v54 offset0:3 offset1:7
	ds_read2_b64 v[26:29], v8 offset1:4
	ds_read_b64 v[44:45], v8 offset:12344
	v_pk_fma_f32 v[34:35], v[38:39], v[30:31], v[34:35] op_sel_hi:[1,0,1]
	s_waitcnt lgkmcnt(2)
	v_xor_b32_e32 v48, 0x80000000, v23
	v_pk_mul_f32 v[36:37], v[34:35], v[46:47] op_sel:[1,0]
	v_mov_b32_e32 v49, v22
	v_pk_fma_f32 v[36:37], v[42:43], v[34:35], v[36:37] op_sel_hi:[1,0,1]
	s_waitcnt lgkmcnt(1)
	v_mul_f32_e64 v50, v29, -v15
	v_pk_add_f32 v[18:19], v[18:19], v[36:37] neg_lo:[0,1] neg_hi:[0,1]
	ds_write2_b64 v52, v[18:19], v[34:35] offset1:4
	v_pk_mul_f32 v[18:19], v[32:33], v[48:49] op_sel:[1,0]
	v_fmac_f32_e32 v50, v14, v28
	v_pk_fma_f32 v[18:19], v[22:23], v[32:33], v[18:19] op_sel_hi:[1,0,1]
	v_mul_f32_e32 v14, v29, v14
	v_pk_add_f32 v[18:19], v[24:25], v[18:19] neg_lo:[0,1] neg_hi:[0,1]
	ds_write2_b64 v53, v[32:33], v[18:19] offset0:3 offset1:7
	v_pk_add_f32 v[18:19], v[30:31], 0 neg_lo:[1,1] neg_hi:[1,1]
	v_fmac_f32_e32 v14, v15, v28
	v_pk_mov_b32 v[22:23], v[30:31], v[18:19] op_sel:[1,0]
	v_pk_mov_b32 v[18:19], v[18:19], v[30:31] op_sel:[1,0]
	v_mul_f32_e64 v24, v13, -v21
	v_pk_mul_f32 v[18:19], v[28:29], v[18:19] op_sel:[1,0]
	v_pk_mul_f32 v[14:15], v[22:23], v[14:15] op_sel_hi:[1,0]
	v_pk_fma_f32 v[18:19], v[30:31], v[28:29], v[18:19] op_sel_hi:[1,0,1]
	v_mul_f32_e32 v28, v13, v20
	v_fmac_f32_e32 v28, v21, v12
	v_fmac_f32_e32 v24, v20, v12
	v_pk_mul_f32 v[22:23], v[22:23], v[28:29] op_sel_hi:[1,0]
	v_xor_b32_e32 v12, 0x80000000, v31
	v_pk_fma_f32 v[22:23], v[30:31], v[24:25], v[22:23] op_sel_hi:[1,0,1] neg_lo:[1,0,0] neg_hi:[1,0,0]
	v_mov_b32_e32 v13, v30
	v_pk_mul_f32 v[24:25], v[22:23], v[26:27] op_sel:[1,1] op_sel_hi:[1,0] neg_lo:[0,1]
	v_pk_mul_f32 v[12:13], v[20:21], v[12:13] op_sel:[1,0]
	v_pk_fma_f32 v[24:25], v[26:27], v[22:23], v[24:25] op_sel_hi:[1,0,1]
	v_pk_fma_f32 v[12:13], v[30:31], v[20:21], v[12:13] op_sel_hi:[1,0,1]
	v_pk_add_f32 v[20:21], v[26:27], 0 neg_lo:[1,1] neg_hi:[1,1]
	v_pk_add_f32 v[10:11], v[10:11], v[24:25] neg_lo:[0,1] neg_hi:[0,1]
	ds_write2_b64 v9, v[10:11], v[22:23] offset1:4
	v_pk_mov_b32 v[10:11], v[26:27], v[20:21] op_sel:[1,0]
	v_pk_fma_f32 v[14:15], v[30:31], v[50:51], v[14:15] op_sel_hi:[1,0,1] neg_lo:[1,0,0] neg_hi:[1,0,0]
	v_pk_mul_f32 v[10:11], v[18:19], v[10:11] op_sel:[1,0]
	s_nop 0
	v_pk_fma_f32 v[10:11], v[26:27], v[18:19], v[10:11] op_sel_hi:[1,0,1] neg_lo:[1,0,0] neg_hi:[1,0,0]
	ds_write2_b64 v8, v[10:11], v[18:19] offset1:4
	v_xor_b32_e32 v10, 0x80000000, v15
	v_mov_b32_e32 v11, v14
	s_waitcnt lgkmcnt(4)
	v_pk_mul_f32 v[10:11], v[44:45], v[10:11] op_sel:[1,0]
	s_nop 0
	v_pk_fma_f32 v[10:11], v[14:15], v[44:45], v[10:11] op_sel_hi:[1,0,1]
	s_nop 0
	v_pk_add_f32 v[10:11], v[16:17], v[10:11] neg_lo:[0,1] neg_hi:[0,1]
	ds_write2_b64 v51, v[14:15], v[10:11] offset0:3 offset1:7
	v_pk_add_f32 v[10:11], v[44:45], 0 neg_lo:[1,1] neg_hi:[1,1]
	s_nop 0
	v_pk_mov_b32 v[10:11], v[44:45], v[10:11] op_sel:[1,0]
	s_nop 0
	v_pk_mul_f32 v[10:11], v[12:13], v[10:11] op_sel:[1,0]
	s_nop 0
	v_pk_fma_f32 v[10:11], v[44:45], v[12:13], v[10:11] op_sel_hi:[1,0,1] neg_lo:[1,0,0] neg_hi:[1,0,0]
	ds_write2_b64 v54, v[12:13], v[10:11] offset0:3 offset1:7
.LBB193_6:
	s_or_b64 exec, exec, s[6:7]
	v_cmp_gt_u32_e64 s[6:7], 32, v0
	v_lshlrev_b32_e32 v9, 7, v0
	s_waitcnt lgkmcnt(0)
	s_barrier
	s_and_saveexec_b64 s[8:9], s[6:7]
	s_cbranch_execz .LBB193_8
; %bb.7:
	v_add_u32_e32 v51, 0x2000, v9
	ds_read2_b64 v[10:13], v51 offset1:8
	v_add_u32_e32 v52, 0x1000, v9
	ds_read2_b64 v[14:17], v52 offset0:7 offset1:15
	s_mov_b64 s[10:11], 0x3f800000
	v_add_u32_e32 v53, 0x4000, v9
	s_waitcnt lgkmcnt(1)
	v_xor_b32_e32 v18, 0x80000000, v13
	v_mov_b32_e32 v19, v12
	s_waitcnt lgkmcnt(0)
	v_pk_mul_f32 v[18:19], v[14:15], v[18:19] op_sel:[1,0]
	v_add_u32_e32 v54, 0x5000, v9
	v_pk_fma_f32 v[18:19], v[12:13], v[14:15], v[18:19] op_sel_hi:[1,0,1]
	ds_read_b64 v[42:43], v9
	v_pk_add_f32 v[30:31], v[18:19], s[10:11] neg_lo:[1,0] neg_hi:[1,0]
	v_add_u32_e32 v55, 0x3000, v9
	v_mul_f32_e32 v18, v31, v31
	v_fmac_f32_e32 v18, v30, v30
	v_div_scale_f32 v19, s[10:11], v18, v18, 1.0
	v_rcp_f32_e32 v20, v19
	v_fma_f32 v33, v30, 0, -v31
	v_fmac_f32_e32 v30, 0, v31
	v_mov_b32_e32 v31, v33
	v_fma_f32 v21, -v19, v20, 1.0
	v_fmac_f32_e32 v20, v21, v20
	v_div_scale_f32 v21, vcc, 1.0, v18, 1.0
	v_mul_f32_e32 v22, v21, v20
	v_fma_f32 v23, -v19, v22, v21
	v_fmac_f32_e32 v22, v23, v20
	v_fma_f32 v19, -v19, v22, v21
	v_div_fmas_f32 v19, v19, v20, v22
	v_div_fixup_f32 v32, v19, v18, 1.0
	ds_read2_b64 v[18:21], v53 offset1:8
	ds_read2_b64 v[22:25], v54 offset0:7 offset1:15
	v_pk_mul_f32 v[30:31], v[30:31], v[32:33] op_sel_hi:[1,0]
	s_waitcnt lgkmcnt(2)
	v_xor_b32_e32 v46, 0x80000000, v43
	v_mov_b32_e32 v47, v42
	s_waitcnt lgkmcnt(1)
	v_pk_mul_f32 v[26:27], v[20:21], v[14:15] op_sel:[1,1] op_sel_hi:[1,0] neg_lo:[0,1]
	s_nop 0
	v_pk_fma_f32 v[26:27], v[14:15], v[20:21], v[26:27] op_sel_hi:[1,0,1]
	s_waitcnt lgkmcnt(0)
	v_pk_add_f32 v[34:35], v[22:23], v[26:27] neg_lo:[0,1] neg_hi:[0,1]
	v_pk_mul_f32 v[26:27], v[12:13], v[22:23] op_sel:[1,1] op_sel_hi:[1,0] neg_lo:[0,1]
	v_xor_b32_e32 v36, 0x80000000, v35
	v_pk_fma_f32 v[22:23], v[22:23], v[12:13], v[26:27] op_sel_hi:[1,0,1]
	v_mov_b32_e32 v37, v34
	v_pk_add_f32 v[38:39], v[20:21], v[22:23] neg_lo:[0,1] neg_hi:[0,1]
	v_pk_mul_f32 v[32:33], v[30:31], v[36:37] op_sel:[1,0]
	v_xor_b32_e32 v40, 0x80000000, v39
	v_mov_b32_e32 v41, v38
	v_pk_fma_f32 v[32:33], v[34:35], v[30:31], v[32:33] op_sel_hi:[1,0,1]
	v_pk_mul_f32 v[34:35], v[30:31], v[40:41] op_sel:[1,0]
	ds_read2_b64 v[20:23], v55 offset0:7 offset1:15
	ds_read2_b64 v[26:29], v9 offset1:8
	ds_read_b64 v[44:45], v9 offset:12408
	v_pk_fma_f32 v[34:35], v[38:39], v[30:31], v[34:35] op_sel_hi:[1,0,1]
	s_waitcnt lgkmcnt(2)
	v_xor_b32_e32 v48, 0x80000000, v23
	v_pk_mul_f32 v[36:37], v[34:35], v[46:47] op_sel:[1,0]
	v_mov_b32_e32 v49, v22
	v_pk_fma_f32 v[36:37], v[42:43], v[34:35], v[36:37] op_sel_hi:[1,0,1]
	s_waitcnt lgkmcnt(1)
	v_mul_f32_e64 v50, v29, -v15
	v_pk_add_f32 v[18:19], v[18:19], v[36:37] neg_lo:[0,1] neg_hi:[0,1]
	ds_write2_b64 v53, v[18:19], v[34:35] offset1:8
	v_pk_mul_f32 v[18:19], v[32:33], v[48:49] op_sel:[1,0]
	v_fmac_f32_e32 v50, v14, v28
	v_pk_fma_f32 v[18:19], v[22:23], v[32:33], v[18:19] op_sel_hi:[1,0,1]
	v_mul_f32_e32 v14, v29, v14
	v_pk_add_f32 v[18:19], v[24:25], v[18:19] neg_lo:[0,1] neg_hi:[0,1]
	ds_write2_b64 v54, v[32:33], v[18:19] offset0:7 offset1:15
	v_pk_add_f32 v[18:19], v[30:31], 0 neg_lo:[1,1] neg_hi:[1,1]
	v_fmac_f32_e32 v14, v15, v28
	v_pk_mov_b32 v[22:23], v[30:31], v[18:19] op_sel:[1,0]
	v_pk_mov_b32 v[18:19], v[18:19], v[30:31] op_sel:[1,0]
	v_mul_f32_e64 v24, v13, -v21
	v_pk_mul_f32 v[18:19], v[28:29], v[18:19] op_sel:[1,0]
	v_pk_mul_f32 v[14:15], v[22:23], v[14:15] op_sel_hi:[1,0]
	v_pk_fma_f32 v[18:19], v[30:31], v[28:29], v[18:19] op_sel_hi:[1,0,1]
	v_mul_f32_e32 v28, v13, v20
	v_fmac_f32_e32 v28, v21, v12
	v_fmac_f32_e32 v24, v20, v12
	v_pk_mul_f32 v[22:23], v[22:23], v[28:29] op_sel_hi:[1,0]
	v_xor_b32_e32 v12, 0x80000000, v31
	v_pk_fma_f32 v[22:23], v[30:31], v[24:25], v[22:23] op_sel_hi:[1,0,1] neg_lo:[1,0,0] neg_hi:[1,0,0]
	v_mov_b32_e32 v13, v30
	v_pk_mul_f32 v[24:25], v[22:23], v[26:27] op_sel:[1,1] op_sel_hi:[1,0] neg_lo:[0,1]
	v_pk_mul_f32 v[12:13], v[20:21], v[12:13] op_sel:[1,0]
	v_pk_fma_f32 v[24:25], v[26:27], v[22:23], v[24:25] op_sel_hi:[1,0,1]
	v_pk_fma_f32 v[12:13], v[30:31], v[20:21], v[12:13] op_sel_hi:[1,0,1]
	v_pk_add_f32 v[20:21], v[26:27], 0 neg_lo:[1,1] neg_hi:[1,1]
	v_pk_add_f32 v[10:11], v[10:11], v[24:25] neg_lo:[0,1] neg_hi:[0,1]
	ds_write2_b64 v51, v[10:11], v[22:23] offset1:8
	v_pk_mov_b32 v[10:11], v[26:27], v[20:21] op_sel:[1,0]
	v_pk_fma_f32 v[14:15], v[30:31], v[50:51], v[14:15] op_sel_hi:[1,0,1] neg_lo:[1,0,0] neg_hi:[1,0,0]
	v_pk_mul_f32 v[10:11], v[18:19], v[10:11] op_sel:[1,0]
	s_nop 0
	v_pk_fma_f32 v[10:11], v[26:27], v[18:19], v[10:11] op_sel_hi:[1,0,1] neg_lo:[1,0,0] neg_hi:[1,0,0]
	ds_write2_b64 v9, v[10:11], v[18:19] offset1:8
	v_xor_b32_e32 v10, 0x80000000, v15
	v_mov_b32_e32 v11, v14
	s_waitcnt lgkmcnt(4)
	v_pk_mul_f32 v[10:11], v[44:45], v[10:11] op_sel:[1,0]
	s_nop 0
	v_pk_fma_f32 v[10:11], v[14:15], v[44:45], v[10:11] op_sel_hi:[1,0,1]
	s_nop 0
	v_pk_add_f32 v[10:11], v[16:17], v[10:11] neg_lo:[0,1] neg_hi:[0,1]
	ds_write2_b64 v52, v[14:15], v[10:11] offset0:7 offset1:15
	v_pk_add_f32 v[10:11], v[44:45], 0 neg_lo:[1,1] neg_hi:[1,1]
	s_nop 0
	v_pk_mov_b32 v[10:11], v[44:45], v[10:11] op_sel:[1,0]
	s_nop 0
	v_pk_mul_f32 v[10:11], v[12:13], v[10:11] op_sel:[1,0]
	s_nop 0
	v_pk_fma_f32 v[10:11], v[44:45], v[12:13], v[10:11] op_sel_hi:[1,0,1] neg_lo:[1,0,0] neg_hi:[1,0,0]
	ds_write2_b64 v55, v[12:13], v[10:11] offset0:7 offset1:15
.LBB193_8:
	s_or_b64 exec, exec, s[8:9]
	v_cmp_gt_u32_e64 s[8:9], 16, v0
	v_lshlrev_b32_e32 v10, 8, v0
	s_waitcnt lgkmcnt(0)
	s_barrier
	s_and_saveexec_b64 s[10:11], s[8:9]
	s_cbranch_execz .LBB193_10
; %bb.9:
	v_add_u32_e32 v11, 0x2000, v10
	ds_read2_b64 v[12:15], v11 offset1:16
	v_add_u32_e32 v53, 0x1000, v10
	ds_read2_b64 v[16:19], v53 offset0:15 offset1:31
	s_mov_b64 s[12:13], 0x3f800000
	v_add_u32_e32 v54, 0x4000, v10
	s_waitcnt lgkmcnt(1)
	v_xor_b32_e32 v20, 0x80000000, v15
	v_mov_b32_e32 v21, v14
	s_waitcnt lgkmcnt(0)
	v_pk_mul_f32 v[20:21], v[16:17], v[20:21] op_sel:[1,0]
	v_add_u32_e32 v55, 0x5000, v10
	v_pk_fma_f32 v[20:21], v[14:15], v[16:17], v[20:21] op_sel_hi:[1,0,1]
	ds_read_b64 v[44:45], v10
	v_pk_add_f32 v[32:33], v[20:21], s[12:13] neg_lo:[1,0] neg_hi:[1,0]
	v_add_u32_e32 v56, 0x3000, v10
	v_mul_f32_e32 v20, v33, v33
	v_fmac_f32_e32 v20, v32, v32
	v_div_scale_f32 v21, s[12:13], v20, v20, 1.0
	v_rcp_f32_e32 v22, v21
	v_fma_f32 v35, v32, 0, -v33
	v_fmac_f32_e32 v32, 0, v33
	v_mov_b32_e32 v33, v35
	v_fma_f32 v23, -v21, v22, 1.0
	v_fmac_f32_e32 v22, v23, v22
	v_div_scale_f32 v23, vcc, 1.0, v20, 1.0
	v_mul_f32_e32 v24, v23, v22
	v_fma_f32 v25, -v21, v24, v23
	v_fmac_f32_e32 v24, v25, v22
	v_fma_f32 v21, -v21, v24, v23
	v_div_fmas_f32 v21, v21, v22, v24
	v_div_fixup_f32 v34, v21, v20, 1.0
	ds_read2_b64 v[20:23], v54 offset1:16
	ds_read2_b64 v[24:27], v55 offset0:15 offset1:31
	v_pk_mul_f32 v[32:33], v[32:33], v[34:35] op_sel_hi:[1,0]
	s_waitcnt lgkmcnt(2)
	v_xor_b32_e32 v48, 0x80000000, v45
	v_mov_b32_e32 v49, v44
	s_waitcnt lgkmcnt(1)
	v_pk_mul_f32 v[28:29], v[22:23], v[16:17] op_sel:[1,1] op_sel_hi:[1,0] neg_lo:[0,1]
	s_nop 0
	v_pk_fma_f32 v[28:29], v[16:17], v[22:23], v[28:29] op_sel_hi:[1,0,1]
	s_waitcnt lgkmcnt(0)
	v_pk_add_f32 v[36:37], v[24:25], v[28:29] neg_lo:[0,1] neg_hi:[0,1]
	v_pk_mul_f32 v[28:29], v[14:15], v[24:25] op_sel:[1,1] op_sel_hi:[1,0] neg_lo:[0,1]
	v_xor_b32_e32 v38, 0x80000000, v37
	v_pk_fma_f32 v[24:25], v[24:25], v[14:15], v[28:29] op_sel_hi:[1,0,1]
	v_mov_b32_e32 v39, v36
	v_pk_add_f32 v[40:41], v[22:23], v[24:25] neg_lo:[0,1] neg_hi:[0,1]
	v_pk_mul_f32 v[34:35], v[32:33], v[38:39] op_sel:[1,0]
	v_xor_b32_e32 v42, 0x80000000, v41
	v_mov_b32_e32 v43, v40
	v_pk_fma_f32 v[34:35], v[36:37], v[32:33], v[34:35] op_sel_hi:[1,0,1]
	v_pk_mul_f32 v[36:37], v[32:33], v[42:43] op_sel:[1,0]
	ds_read2_b64 v[22:25], v56 offset0:15 offset1:31
	ds_read2_b64 v[28:31], v10 offset1:16
	ds_read_b64 v[46:47], v10 offset:12536
	v_pk_fma_f32 v[36:37], v[40:41], v[32:33], v[36:37] op_sel_hi:[1,0,1]
	s_waitcnt lgkmcnt(2)
	v_xor_b32_e32 v50, 0x80000000, v25
	v_pk_mul_f32 v[38:39], v[36:37], v[48:49] op_sel:[1,0]
	v_mov_b32_e32 v51, v24
	v_pk_fma_f32 v[38:39], v[44:45], v[36:37], v[38:39] op_sel_hi:[1,0,1]
	s_waitcnt lgkmcnt(1)
	v_mul_f32_e64 v52, v31, -v17
	v_pk_add_f32 v[20:21], v[20:21], v[38:39] neg_lo:[0,1] neg_hi:[0,1]
	ds_write2_b64 v54, v[20:21], v[36:37] offset1:16
	v_pk_mul_f32 v[20:21], v[34:35], v[50:51] op_sel:[1,0]
	v_fmac_f32_e32 v52, v16, v30
	v_pk_fma_f32 v[20:21], v[24:25], v[34:35], v[20:21] op_sel_hi:[1,0,1]
	v_mul_f32_e32 v16, v31, v16
	v_pk_add_f32 v[20:21], v[26:27], v[20:21] neg_lo:[0,1] neg_hi:[0,1]
	ds_write2_b64 v55, v[34:35], v[20:21] offset0:15 offset1:31
	v_pk_add_f32 v[20:21], v[32:33], 0 neg_lo:[1,1] neg_hi:[1,1]
	v_fmac_f32_e32 v16, v17, v30
	v_pk_mov_b32 v[24:25], v[32:33], v[20:21] op_sel:[1,0]
	v_pk_mov_b32 v[20:21], v[20:21], v[32:33] op_sel:[1,0]
	v_mul_f32_e64 v26, v15, -v23
	v_pk_mul_f32 v[20:21], v[30:31], v[20:21] op_sel:[1,0]
	v_pk_mul_f32 v[16:17], v[24:25], v[16:17] op_sel_hi:[1,0]
	v_pk_fma_f32 v[20:21], v[32:33], v[30:31], v[20:21] op_sel_hi:[1,0,1]
	v_mul_f32_e32 v30, v15, v22
	v_fmac_f32_e32 v30, v23, v14
	v_fmac_f32_e32 v26, v22, v14
	v_pk_mul_f32 v[24:25], v[24:25], v[30:31] op_sel_hi:[1,0]
	v_xor_b32_e32 v14, 0x80000000, v33
	v_pk_fma_f32 v[24:25], v[32:33], v[26:27], v[24:25] op_sel_hi:[1,0,1] neg_lo:[1,0,0] neg_hi:[1,0,0]
	v_mov_b32_e32 v15, v32
	v_pk_mul_f32 v[26:27], v[24:25], v[28:29] op_sel:[1,1] op_sel_hi:[1,0] neg_lo:[0,1]
	v_pk_mul_f32 v[14:15], v[22:23], v[14:15] op_sel:[1,0]
	v_pk_fma_f32 v[26:27], v[28:29], v[24:25], v[26:27] op_sel_hi:[1,0,1]
	v_pk_fma_f32 v[14:15], v[32:33], v[22:23], v[14:15] op_sel_hi:[1,0,1]
	v_pk_add_f32 v[22:23], v[28:29], 0 neg_lo:[1,1] neg_hi:[1,1]
	v_pk_add_f32 v[12:13], v[12:13], v[26:27] neg_lo:[0,1] neg_hi:[0,1]
	ds_write2_b64 v11, v[12:13], v[24:25] offset1:16
	v_pk_mov_b32 v[12:13], v[28:29], v[22:23] op_sel:[1,0]
	v_pk_fma_f32 v[16:17], v[32:33], v[52:53], v[16:17] op_sel_hi:[1,0,1] neg_lo:[1,0,0] neg_hi:[1,0,0]
	v_pk_mul_f32 v[12:13], v[20:21], v[12:13] op_sel:[1,0]
	s_nop 0
	v_pk_fma_f32 v[12:13], v[28:29], v[20:21], v[12:13] op_sel_hi:[1,0,1] neg_lo:[1,0,0] neg_hi:[1,0,0]
	ds_write2_b64 v10, v[12:13], v[20:21] offset1:16
	v_xor_b32_e32 v12, 0x80000000, v17
	v_mov_b32_e32 v13, v16
	s_waitcnt lgkmcnt(4)
	v_pk_mul_f32 v[12:13], v[46:47], v[12:13] op_sel:[1,0]
	s_nop 0
	v_pk_fma_f32 v[12:13], v[16:17], v[46:47], v[12:13] op_sel_hi:[1,0,1]
	s_nop 0
	v_pk_add_f32 v[12:13], v[18:19], v[12:13] neg_lo:[0,1] neg_hi:[0,1]
	ds_write2_b64 v53, v[16:17], v[12:13] offset0:15 offset1:31
	v_pk_add_f32 v[12:13], v[46:47], 0 neg_lo:[1,1] neg_hi:[1,1]
	s_nop 0
	v_pk_mov_b32 v[12:13], v[46:47], v[12:13] op_sel:[1,0]
	s_nop 0
	v_pk_mul_f32 v[12:13], v[14:15], v[12:13] op_sel:[1,0]
	s_nop 0
	v_pk_fma_f32 v[12:13], v[46:47], v[14:15], v[12:13] op_sel_hi:[1,0,1] neg_lo:[1,0,0] neg_hi:[1,0,0]
	ds_write2_b64 v56, v[14:15], v[12:13] offset0:15 offset1:31
.LBB193_10:
	s_or_b64 exec, exec, s[10:11]
	v_cmp_gt_u32_e64 s[10:11], 8, v0
	v_lshlrev_b32_e32 v11, 9, v0
	s_waitcnt lgkmcnt(0)
	s_barrier
	s_and_saveexec_b64 s[12:13], s[10:11]
	s_cbranch_execz .LBB193_12
; %bb.11:
	v_add_u32_e32 v53, 0x2000, v11
	ds_read2_b64 v[12:15], v53 offset1:32
	v_add_u32_e32 v54, 0x1000, v11
	ds_read2_b64 v[16:19], v54 offset0:31 offset1:63
	s_mov_b64 s[14:15], 0x3f800000
	v_add_u32_e32 v55, 0x4000, v11
	s_waitcnt lgkmcnt(1)
	v_xor_b32_e32 v20, 0x80000000, v15
	v_mov_b32_e32 v21, v14
	s_waitcnt lgkmcnt(0)
	v_pk_mul_f32 v[20:21], v[16:17], v[20:21] op_sel:[1,0]
	v_add_u32_e32 v56, 0x5000, v11
	v_pk_fma_f32 v[20:21], v[14:15], v[16:17], v[20:21] op_sel_hi:[1,0,1]
	ds_read_b64 v[44:45], v11
	v_pk_add_f32 v[32:33], v[20:21], s[14:15] neg_lo:[1,0] neg_hi:[1,0]
	v_add_u32_e32 v57, 0x3000, v11
	v_mul_f32_e32 v20, v33, v33
	v_fmac_f32_e32 v20, v32, v32
	v_div_scale_f32 v21, s[14:15], v20, v20, 1.0
	v_rcp_f32_e32 v22, v21
	v_fma_f32 v35, v32, 0, -v33
	v_fmac_f32_e32 v32, 0, v33
	v_mov_b32_e32 v33, v35
	v_fma_f32 v23, -v21, v22, 1.0
	v_fmac_f32_e32 v22, v23, v22
	v_div_scale_f32 v23, vcc, 1.0, v20, 1.0
	v_mul_f32_e32 v24, v23, v22
	v_fma_f32 v25, -v21, v24, v23
	v_fmac_f32_e32 v24, v25, v22
	v_fma_f32 v21, -v21, v24, v23
	v_div_fmas_f32 v21, v21, v22, v24
	v_div_fixup_f32 v34, v21, v20, 1.0
	ds_read2_b64 v[20:23], v55 offset1:32
	ds_read2_b64 v[24:27], v56 offset0:31 offset1:63
	v_pk_mul_f32 v[32:33], v[32:33], v[34:35] op_sel_hi:[1,0]
	s_waitcnt lgkmcnt(2)
	v_xor_b32_e32 v48, 0x80000000, v45
	v_mov_b32_e32 v49, v44
	s_waitcnt lgkmcnt(1)
	v_pk_mul_f32 v[28:29], v[22:23], v[16:17] op_sel:[1,1] op_sel_hi:[1,0] neg_lo:[0,1]
	s_nop 0
	v_pk_fma_f32 v[28:29], v[16:17], v[22:23], v[28:29] op_sel_hi:[1,0,1]
	s_waitcnt lgkmcnt(0)
	v_pk_add_f32 v[36:37], v[24:25], v[28:29] neg_lo:[0,1] neg_hi:[0,1]
	v_pk_mul_f32 v[28:29], v[14:15], v[24:25] op_sel:[1,1] op_sel_hi:[1,0] neg_lo:[0,1]
	v_xor_b32_e32 v38, 0x80000000, v37
	v_pk_fma_f32 v[24:25], v[24:25], v[14:15], v[28:29] op_sel_hi:[1,0,1]
	v_mov_b32_e32 v39, v36
	v_pk_add_f32 v[40:41], v[22:23], v[24:25] neg_lo:[0,1] neg_hi:[0,1]
	v_pk_mul_f32 v[34:35], v[32:33], v[38:39] op_sel:[1,0]
	v_xor_b32_e32 v42, 0x80000000, v41
	v_mov_b32_e32 v43, v40
	v_pk_fma_f32 v[34:35], v[36:37], v[32:33], v[34:35] op_sel_hi:[1,0,1]
	v_pk_mul_f32 v[36:37], v[32:33], v[42:43] op_sel:[1,0]
	ds_read2_b64 v[22:25], v57 offset0:31 offset1:63
	ds_read2_b64 v[28:31], v11 offset1:32
	ds_read_b64 v[46:47], v11 offset:12792
	v_pk_fma_f32 v[36:37], v[40:41], v[32:33], v[36:37] op_sel_hi:[1,0,1]
	s_waitcnt lgkmcnt(2)
	v_xor_b32_e32 v50, 0x80000000, v25
	v_pk_mul_f32 v[38:39], v[36:37], v[48:49] op_sel:[1,0]
	v_mov_b32_e32 v51, v24
	v_pk_fma_f32 v[38:39], v[44:45], v[36:37], v[38:39] op_sel_hi:[1,0,1]
	s_waitcnt lgkmcnt(1)
	v_mul_f32_e64 v52, v31, -v17
	v_pk_add_f32 v[20:21], v[20:21], v[38:39] neg_lo:[0,1] neg_hi:[0,1]
	ds_write2_b64 v55, v[20:21], v[36:37] offset1:32
	v_pk_mul_f32 v[20:21], v[34:35], v[50:51] op_sel:[1,0]
	v_fmac_f32_e32 v52, v16, v30
	v_pk_fma_f32 v[20:21], v[24:25], v[34:35], v[20:21] op_sel_hi:[1,0,1]
	v_mul_f32_e32 v16, v31, v16
	v_pk_add_f32 v[20:21], v[26:27], v[20:21] neg_lo:[0,1] neg_hi:[0,1]
	ds_write2_b64 v56, v[34:35], v[20:21] offset0:31 offset1:63
	v_pk_add_f32 v[20:21], v[32:33], 0 neg_lo:[1,1] neg_hi:[1,1]
	v_fmac_f32_e32 v16, v17, v30
	v_pk_mov_b32 v[24:25], v[32:33], v[20:21] op_sel:[1,0]
	v_pk_mov_b32 v[20:21], v[20:21], v[32:33] op_sel:[1,0]
	v_mul_f32_e64 v26, v15, -v23
	v_pk_mul_f32 v[20:21], v[30:31], v[20:21] op_sel:[1,0]
	v_pk_mul_f32 v[16:17], v[24:25], v[16:17] op_sel_hi:[1,0]
	v_pk_fma_f32 v[20:21], v[32:33], v[30:31], v[20:21] op_sel_hi:[1,0,1]
	v_mul_f32_e32 v30, v15, v22
	v_fmac_f32_e32 v30, v23, v14
	v_fmac_f32_e32 v26, v22, v14
	v_pk_mul_f32 v[24:25], v[24:25], v[30:31] op_sel_hi:[1,0]
	v_xor_b32_e32 v14, 0x80000000, v33
	v_pk_fma_f32 v[24:25], v[32:33], v[26:27], v[24:25] op_sel_hi:[1,0,1] neg_lo:[1,0,0] neg_hi:[1,0,0]
	v_mov_b32_e32 v15, v32
	v_pk_mul_f32 v[26:27], v[24:25], v[28:29] op_sel:[1,1] op_sel_hi:[1,0] neg_lo:[0,1]
	v_pk_mul_f32 v[14:15], v[22:23], v[14:15] op_sel:[1,0]
	v_pk_fma_f32 v[26:27], v[28:29], v[24:25], v[26:27] op_sel_hi:[1,0,1]
	v_pk_fma_f32 v[14:15], v[32:33], v[22:23], v[14:15] op_sel_hi:[1,0,1]
	v_pk_add_f32 v[22:23], v[28:29], 0 neg_lo:[1,1] neg_hi:[1,1]
	v_pk_add_f32 v[12:13], v[12:13], v[26:27] neg_lo:[0,1] neg_hi:[0,1]
	ds_write2_b64 v53, v[12:13], v[24:25] offset1:32
	v_pk_mov_b32 v[12:13], v[28:29], v[22:23] op_sel:[1,0]
	v_pk_fma_f32 v[16:17], v[32:33], v[52:53], v[16:17] op_sel_hi:[1,0,1] neg_lo:[1,0,0] neg_hi:[1,0,0]
	v_pk_mul_f32 v[12:13], v[20:21], v[12:13] op_sel:[1,0]
	s_nop 0
	v_pk_fma_f32 v[12:13], v[28:29], v[20:21], v[12:13] op_sel_hi:[1,0,1] neg_lo:[1,0,0] neg_hi:[1,0,0]
	ds_write2_b64 v11, v[12:13], v[20:21] offset1:32
	v_xor_b32_e32 v12, 0x80000000, v17
	v_mov_b32_e32 v13, v16
	s_waitcnt lgkmcnt(4)
	v_pk_mul_f32 v[12:13], v[46:47], v[12:13] op_sel:[1,0]
	s_nop 0
	v_pk_fma_f32 v[12:13], v[16:17], v[46:47], v[12:13] op_sel_hi:[1,0,1]
	s_nop 0
	v_pk_add_f32 v[12:13], v[18:19], v[12:13] neg_lo:[0,1] neg_hi:[0,1]
	ds_write2_b64 v54, v[16:17], v[12:13] offset0:31 offset1:63
	v_pk_add_f32 v[12:13], v[46:47], 0 neg_lo:[1,1] neg_hi:[1,1]
	s_nop 0
	v_pk_mov_b32 v[12:13], v[46:47], v[12:13] op_sel:[1,0]
	s_nop 0
	v_pk_mul_f32 v[12:13], v[14:15], v[12:13] op_sel:[1,0]
	s_nop 0
	v_pk_fma_f32 v[12:13], v[46:47], v[14:15], v[12:13] op_sel_hi:[1,0,1] neg_lo:[1,0,0] neg_hi:[1,0,0]
	ds_write2_b64 v57, v[14:15], v[12:13] offset0:31 offset1:63
.LBB193_12:
	s_or_b64 exec, exec, s[12:13]
	v_cmp_gt_u32_e64 s[12:13], 4, v0
	v_lshlrev_b32_e32 v12, 10, v0
	s_waitcnt lgkmcnt(0)
	s_barrier
	s_and_saveexec_b64 s[14:15], s[12:13]
	s_cbranch_execz .LBB193_14
; %bb.13:
	ds_read2st64_b64 v[14:17], v12 offset0:16 offset1:17
	v_add_u32_e32 v13, 0x1f8, v12
	ds_read2st64_b64 v[18:21], v13 offset0:8 offset1:9
	ds_read2st64_b64 v[22:25], v12 offset0:32 offset1:33
	s_mov_b64 s[16:17], 0x3f800000
	ds_read2st64_b64 v[26:29], v13 offset0:24 offset1:25
	s_waitcnt lgkmcnt(3)
	v_xor_b32_e32 v30, 0x80000000, v17
	v_mov_b32_e32 v31, v16
	s_waitcnt lgkmcnt(2)
	v_pk_mul_f32 v[30:31], v[18:19], v[30:31] op_sel:[1,0]
	ds_read_b64 v[46:47], v12
	v_pk_fma_f32 v[30:31], v[16:17], v[18:19], v[30:31] op_sel_hi:[1,0,1]
	s_nop 0
	v_pk_add_f32 v[38:39], v[30:31], s[16:17] neg_lo:[1,0] neg_hi:[1,0]
	s_nop 0
	v_mul_f32_e32 v30, v39, v39
	v_fmac_f32_e32 v30, v38, v38
	v_div_scale_f32 v31, s[16:17], v30, v30, 1.0
	v_rcp_f32_e32 v32, v31
	v_fma_f32 v41, v38, 0, -v39
	v_fmac_f32_e32 v38, 0, v39
	v_mov_b32_e32 v39, v41
	v_fma_f32 v33, -v31, v32, 1.0
	v_fmac_f32_e32 v32, v33, v32
	v_div_scale_f32 v33, vcc, 1.0, v30, 1.0
	v_mul_f32_e32 v34, v33, v32
	v_fma_f32 v35, -v31, v34, v33
	v_fmac_f32_e32 v34, v35, v32
	v_fma_f32 v31, -v31, v34, v33
	v_div_fmas_f32 v31, v31, v32, v34
	v_div_fixup_f32 v40, v31, v30, 1.0
	ds_read2st64_b64 v[30:33], v13 offset0:40 offset1:41
	s_waitcnt lgkmcnt(3)
	v_pk_mul_f32 v[34:35], v[24:25], v[18:19] op_sel:[1,1] op_sel_hi:[1,0] neg_lo:[0,1]
	v_pk_mul_f32 v[38:39], v[38:39], v[40:41] op_sel_hi:[1,0]
	v_pk_fma_f32 v[34:35], v[18:19], v[24:25], v[34:35] op_sel_hi:[1,0,1]
	s_waitcnt lgkmcnt(2)
	v_xor_b32_e32 v50, 0x80000000, v29
	s_waitcnt lgkmcnt(0)
	v_pk_add_f32 v[42:43], v[30:31], v[34:35] neg_lo:[0,1] neg_hi:[0,1]
	v_pk_mul_f32 v[34:35], v[16:17], v[30:31] op_sel:[1,1] op_sel_hi:[1,0] neg_lo:[0,1]
	v_xor_b32_e32 v44, 0x80000000, v43
	v_pk_fma_f32 v[30:31], v[30:31], v[16:17], v[34:35] op_sel_hi:[1,0,1]
	ds_read2st64_b64 v[34:37], v12 offset1:1
	v_pk_add_f32 v[24:25], v[24:25], v[30:31] neg_lo:[0,1] neg_hi:[0,1]
	v_xor_b32_e32 v48, 0x80000000, v47
	v_xor_b32_e32 v30, 0x80000000, v25
	v_mov_b32_e32 v31, v24
	v_pk_mul_f32 v[30:31], v[38:39], v[30:31] op_sel:[1,0]
	v_mov_b32_e32 v49, v46
	v_pk_fma_f32 v[24:25], v[24:25], v[38:39], v[30:31] op_sel_hi:[1,0,1]
	v_mov_b32_e32 v45, v42
	v_pk_mul_f32 v[30:31], v[24:25], v[48:49] op_sel:[1,0]
	v_pk_mul_f32 v[40:41], v[38:39], v[44:45] op_sel:[1,0]
	v_pk_fma_f32 v[30:31], v[46:47], v[24:25], v[30:31] op_sel_hi:[1,0,1]
	v_mov_b32_e32 v51, v28
	v_pk_fma_f32 v[40:41], v[42:43], v[38:39], v[40:41] op_sel_hi:[1,0,1]
	v_pk_add_f32 v[22:23], v[22:23], v[30:31] neg_lo:[0,1] neg_hi:[0,1]
	ds_write2st64_b64 v12, v[22:23], v[24:25] offset0:32 offset1:33
	v_pk_mul_f32 v[22:23], v[40:41], v[50:51] op_sel:[1,0]
	s_waitcnt lgkmcnt(1)
	v_mul_f32_e64 v52, v37, -v19
	v_pk_fma_f32 v[22:23], v[28:29], v[40:41], v[22:23] op_sel_hi:[1,0,1]
	v_fmac_f32_e32 v52, v18, v36
	v_pk_add_f32 v[22:23], v[32:33], v[22:23] neg_lo:[0,1] neg_hi:[0,1]
	v_mul_f32_e32 v18, v37, v18
	ds_write2st64_b64 v13, v[40:41], v[22:23] offset0:40 offset1:41
	v_pk_add_f32 v[22:23], v[38:39], 0 neg_lo:[1,1] neg_hi:[1,1]
	v_mul_f32_e32 v30, v17, v26
	v_fmac_f32_e32 v18, v19, v36
	v_pk_mov_b32 v[24:25], v[38:39], v[22:23] op_sel:[1,0]
	v_mul_f32_e64 v28, v17, -v27
	v_fmac_f32_e32 v30, v27, v16
	v_pk_mul_f32 v[18:19], v[24:25], v[18:19] op_sel_hi:[1,0]
	v_fmac_f32_e32 v28, v26, v16
	v_pk_mul_f32 v[24:25], v[24:25], v[30:31] op_sel_hi:[1,0]
	v_xor_b32_e32 v16, 0x80000000, v39
	v_pk_fma_f32 v[24:25], v[38:39], v[28:29], v[24:25] op_sel_hi:[1,0,1] neg_lo:[1,0,0] neg_hi:[1,0,0]
	v_mov_b32_e32 v17, v38
	v_pk_mul_f32 v[28:29], v[24:25], v[34:35] op_sel:[1,1] op_sel_hi:[1,0] neg_lo:[0,1]
	v_pk_mov_b32 v[22:23], v[22:23], v[38:39] op_sel:[1,0]
	v_pk_fma_f32 v[28:29], v[34:35], v[24:25], v[28:29] op_sel_hi:[1,0,1]
	v_pk_mul_f32 v[16:17], v[26:27], v[16:17] op_sel:[1,0]
	v_pk_add_f32 v[14:15], v[14:15], v[28:29] neg_lo:[0,1] neg_hi:[0,1]
	v_pk_mul_f32 v[22:23], v[36:37], v[22:23] op_sel:[1,0]
	v_pk_fma_f32 v[16:17], v[38:39], v[26:27], v[16:17] op_sel_hi:[1,0,1]
	v_pk_add_f32 v[26:27], v[34:35], 0 neg_lo:[1,1] neg_hi:[1,1]
	ds_write2st64_b64 v12, v[14:15], v[24:25] offset0:16 offset1:17
	ds_read_b64 v[24:25], v12 offset:13304
	v_pk_fma_f32 v[22:23], v[38:39], v[36:37], v[22:23] op_sel_hi:[1,0,1]
	v_pk_mov_b32 v[14:15], v[34:35], v[26:27] op_sel:[1,0]
	v_pk_fma_f32 v[18:19], v[38:39], v[52:53], v[18:19] op_sel_hi:[1,0,1] neg_lo:[1,0,0] neg_hi:[1,0,0]
	v_pk_mul_f32 v[14:15], v[22:23], v[14:15] op_sel:[1,0]
	s_nop 0
	v_pk_fma_f32 v[14:15], v[34:35], v[22:23], v[14:15] op_sel_hi:[1,0,1] neg_lo:[1,0,0] neg_hi:[1,0,0]
	ds_write2st64_b64 v12, v[14:15], v[22:23] offset1:1
	v_xor_b32_e32 v14, 0x80000000, v19
	v_mov_b32_e32 v15, v18
	s_waitcnt lgkmcnt(1)
	v_pk_mul_f32 v[14:15], v[24:25], v[14:15] op_sel:[1,0]
	s_nop 0
	v_pk_fma_f32 v[14:15], v[18:19], v[24:25], v[14:15] op_sel_hi:[1,0,1]
	s_nop 0
	v_pk_add_f32 v[14:15], v[20:21], v[14:15] neg_lo:[0,1] neg_hi:[0,1]
	ds_write2st64_b64 v13, v[18:19], v[14:15] offset0:8 offset1:9
	v_pk_add_f32 v[14:15], v[24:25], 0 neg_lo:[1,1] neg_hi:[1,1]
	s_nop 0
	v_pk_mov_b32 v[14:15], v[24:25], v[14:15] op_sel:[1,0]
	s_nop 0
	v_pk_mul_f32 v[14:15], v[16:17], v[14:15] op_sel:[1,0]
	s_nop 0
	v_pk_fma_f32 v[14:15], v[24:25], v[16:17], v[14:15] op_sel_hi:[1,0,1] neg_lo:[1,0,0] neg_hi:[1,0,0]
	ds_write2st64_b64 v13, v[16:17], v[14:15] offset0:24 offset1:25
.LBB193_14:
	s_or_b64 exec, exec, s[14:15]
	v_cmp_gt_u32_e64 s[14:15], 2, v0
	v_lshlrev_b32_e32 v13, 11, v0
	s_waitcnt lgkmcnt(0)
	s_barrier
	s_and_saveexec_b64 s[16:17], s[14:15]
	s_cbranch_execz .LBB193_16
; %bb.15:
	ds_read2st64_b64 v[14:17], v13 offset0:16 offset1:18
	v_add_u32_e32 v55, 0x1f8, v13
	ds_read2st64_b64 v[18:21], v55 offset0:9 offset1:11
	s_mov_b64 s[18:19], 0x3f800000
	ds_read_b64 v[46:47], v13
	s_waitcnt lgkmcnt(2)
	v_xor_b32_e32 v22, 0x80000000, v17
	v_mov_b32_e32 v23, v16
	s_waitcnt lgkmcnt(1)
	v_pk_mul_f32 v[22:23], v[18:19], v[22:23] op_sel:[1,0]
	s_waitcnt lgkmcnt(0)
	v_xor_b32_e32 v50, 0x80000000, v47
	v_pk_fma_f32 v[22:23], v[16:17], v[18:19], v[22:23] op_sel_hi:[1,0,1]
	v_mov_b32_e32 v51, v46
	v_pk_add_f32 v[34:35], v[22:23], s[18:19] neg_lo:[1,0] neg_hi:[1,0]
	s_nop 0
	v_mul_f32_e32 v26, v35, v35
	v_fmac_f32_e32 v26, v34, v34
	v_div_scale_f32 v22, s[18:19], v26, v26, 1.0
	v_rcp_f32_e32 v23, v22
	v_fma_f32 v37, v34, 0, -v35
	v_fmac_f32_e32 v34, 0, v35
	v_mov_b32_e32 v35, v37
	v_fma_f32 v24, -v22, v23, 1.0
	v_fmac_f32_e32 v23, v24, v23
	v_div_scale_f32 v24, vcc, 1.0, v26, 1.0
	v_mul_f32_e32 v25, v24, v23
	v_fma_f32 v27, -v22, v25, v24
	v_fmac_f32_e32 v25, v27, v23
	v_fma_f32 v22, -v22, v25, v24
	v_div_fmas_f32 v27, v22, v23, v25
	ds_read2st64_b64 v[22:25], v13 offset0:32 offset1:34
	v_div_fixup_f32 v36, v27, v26, 1.0
	ds_read2st64_b64 v[26:29], v55 offset0:41 offset1:43
	v_pk_mul_f32 v[34:35], v[34:35], v[36:37] op_sel_hi:[1,0]
	s_waitcnt lgkmcnt(1)
	v_pk_mul_f32 v[30:31], v[24:25], v[18:19] op_sel:[1,1] op_sel_hi:[1,0] neg_lo:[0,1]
	s_nop 0
	v_pk_fma_f32 v[30:31], v[18:19], v[24:25], v[30:31] op_sel_hi:[1,0,1]
	s_waitcnt lgkmcnt(0)
	v_pk_add_f32 v[38:39], v[26:27], v[30:31] neg_lo:[0,1] neg_hi:[0,1]
	v_pk_mul_f32 v[30:31], v[16:17], v[26:27] op_sel:[1,1] op_sel_hi:[1,0] neg_lo:[0,1]
	v_xor_b32_e32 v40, 0x80000000, v39
	v_pk_fma_f32 v[26:27], v[26:27], v[16:17], v[30:31] op_sel_hi:[1,0,1]
	v_mov_b32_e32 v41, v38
	v_pk_add_f32 v[42:43], v[24:25], v[26:27] neg_lo:[0,1] neg_hi:[0,1]
	v_pk_mul_f32 v[36:37], v[34:35], v[40:41] op_sel:[1,0]
	v_xor_b32_e32 v44, 0x80000000, v43
	v_mov_b32_e32 v45, v42
	v_pk_fma_f32 v[36:37], v[38:39], v[34:35], v[36:37] op_sel_hi:[1,0,1]
	v_pk_mul_f32 v[38:39], v[34:35], v[44:45] op_sel:[1,0]
	ds_read2st64_b64 v[24:27], v55 offset0:25 offset1:27
	ds_read2st64_b64 v[30:33], v13 offset1:2
	ds_read_b64 v[48:49], v13 offset:14328
	v_pk_fma_f32 v[38:39], v[42:43], v[34:35], v[38:39] op_sel_hi:[1,0,1]
	s_waitcnt lgkmcnt(2)
	v_xor_b32_e32 v52, 0x80000000, v27
	v_pk_mul_f32 v[40:41], v[38:39], v[50:51] op_sel:[1,0]
	v_mov_b32_e32 v53, v26
	v_pk_fma_f32 v[40:41], v[46:47], v[38:39], v[40:41] op_sel_hi:[1,0,1]
	s_waitcnt lgkmcnt(1)
	v_mul_f32_e64 v54, v33, -v19
	v_pk_add_f32 v[22:23], v[22:23], v[40:41] neg_lo:[0,1] neg_hi:[0,1]
	ds_write2st64_b64 v13, v[22:23], v[38:39] offset0:32 offset1:34
	v_pk_mul_f32 v[22:23], v[36:37], v[52:53] op_sel:[1,0]
	v_fmac_f32_e32 v54, v18, v32
	v_pk_fma_f32 v[22:23], v[26:27], v[36:37], v[22:23] op_sel_hi:[1,0,1]
	v_mul_f32_e32 v18, v33, v18
	v_pk_add_f32 v[22:23], v[28:29], v[22:23] neg_lo:[0,1] neg_hi:[0,1]
	ds_write2st64_b64 v55, v[36:37], v[22:23] offset0:41 offset1:43
	v_pk_add_f32 v[22:23], v[34:35], 0 neg_lo:[1,1] neg_hi:[1,1]
	v_fmac_f32_e32 v18, v19, v32
	v_pk_mov_b32 v[26:27], v[34:35], v[22:23] op_sel:[1,0]
	v_pk_mov_b32 v[22:23], v[22:23], v[34:35] op_sel:[1,0]
	v_mul_f32_e64 v28, v17, -v25
	v_pk_mul_f32 v[22:23], v[32:33], v[22:23] op_sel:[1,0]
	v_pk_mul_f32 v[18:19], v[26:27], v[18:19] op_sel_hi:[1,0]
	v_pk_fma_f32 v[22:23], v[34:35], v[32:33], v[22:23] op_sel_hi:[1,0,1]
	v_mul_f32_e32 v32, v17, v24
	v_fmac_f32_e32 v32, v25, v16
	v_fmac_f32_e32 v28, v24, v16
	v_pk_mul_f32 v[26:27], v[26:27], v[32:33] op_sel_hi:[1,0]
	v_xor_b32_e32 v16, 0x80000000, v35
	v_pk_fma_f32 v[26:27], v[34:35], v[28:29], v[26:27] op_sel_hi:[1,0,1] neg_lo:[1,0,0] neg_hi:[1,0,0]
	v_mov_b32_e32 v17, v34
	v_pk_mul_f32 v[28:29], v[26:27], v[30:31] op_sel:[1,1] op_sel_hi:[1,0] neg_lo:[0,1]
	v_pk_mul_f32 v[16:17], v[24:25], v[16:17] op_sel:[1,0]
	v_pk_fma_f32 v[28:29], v[30:31], v[26:27], v[28:29] op_sel_hi:[1,0,1]
	v_pk_fma_f32 v[16:17], v[34:35], v[24:25], v[16:17] op_sel_hi:[1,0,1]
	v_pk_add_f32 v[24:25], v[30:31], 0 neg_lo:[1,1] neg_hi:[1,1]
	v_pk_add_f32 v[14:15], v[14:15], v[28:29] neg_lo:[0,1] neg_hi:[0,1]
	ds_write2st64_b64 v13, v[14:15], v[26:27] offset0:16 offset1:18
	v_pk_mov_b32 v[14:15], v[30:31], v[24:25] op_sel:[1,0]
	v_pk_fma_f32 v[18:19], v[34:35], v[54:55], v[18:19] op_sel_hi:[1,0,1] neg_lo:[1,0,0] neg_hi:[1,0,0]
	v_pk_mul_f32 v[14:15], v[22:23], v[14:15] op_sel:[1,0]
	s_nop 0
	v_pk_fma_f32 v[14:15], v[30:31], v[22:23], v[14:15] op_sel_hi:[1,0,1] neg_lo:[1,0,0] neg_hi:[1,0,0]
	ds_write2st64_b64 v13, v[14:15], v[22:23] offset1:2
	v_xor_b32_e32 v14, 0x80000000, v19
	v_mov_b32_e32 v15, v18
	s_waitcnt lgkmcnt(4)
	v_pk_mul_f32 v[14:15], v[48:49], v[14:15] op_sel:[1,0]
	s_nop 0
	v_pk_fma_f32 v[14:15], v[18:19], v[48:49], v[14:15] op_sel_hi:[1,0,1]
	s_nop 0
	v_pk_add_f32 v[14:15], v[20:21], v[14:15] neg_lo:[0,1] neg_hi:[0,1]
	ds_write2st64_b64 v55, v[18:19], v[14:15] offset0:9 offset1:11
	v_pk_add_f32 v[14:15], v[48:49], 0 neg_lo:[1,1] neg_hi:[1,1]
	s_nop 0
	v_pk_mov_b32 v[14:15], v[48:49], v[14:15] op_sel:[1,0]
	s_nop 0
	v_pk_mul_f32 v[14:15], v[16:17], v[14:15] op_sel:[1,0]
	s_nop 0
	v_pk_fma_f32 v[14:15], v[48:49], v[16:17], v[14:15] op_sel_hi:[1,0,1] neg_lo:[1,0,0] neg_hi:[1,0,0]
	ds_write2st64_b64 v55, v[16:17], v[14:15] offset0:25 offset1:27
.LBB193_16:
	s_or_b64 exec, exec, s[16:17]
	s_mov_b32 s19, 0
	v_cmp_eq_u32_e32 vcc, 0, v0
	s_waitcnt lgkmcnt(0)
	s_barrier
	s_and_saveexec_b64 s[16:17], vcc
	s_cbranch_execz .LBB193_18
; %bb.17:
	v_mov_b32_e32 v53, 0
	s_movk_i32 s18, 0x1f8
	ds_read2st64_b64 v[14:17], v53 offset0:16 offset1:20
	v_add_u32_e64 v54, s18, 0
	ds_read2st64_b64 v[18:21], v54 offset0:11 offset1:15
	s_mov_b32 s18, 1.0
	ds_read_b64 v[34:35], v53 offset:18432
	s_waitcnt lgkmcnt(2)
	v_xor_b32_e32 v22, 0x80000000, v17
	v_mov_b32_e32 v23, v16
	s_waitcnt lgkmcnt(1)
	v_pk_mul_f32 v[22:23], v[18:19], v[22:23] op_sel:[1,0]
	v_mov_b32_e32 v55, 0x3ff8
	v_pk_fma_f32 v[22:23], v[16:17], v[18:19], v[22:23] op_sel_hi:[1,0,1]
	s_nop 0
	v_pk_add_f32 v[38:39], v[22:23], s[18:19] neg_lo:[1,0] neg_hi:[1,0]
	s_nop 0
	v_mul_f32_e32 v22, v39, v39
	v_fmac_f32_e32 v22, v38, v38
	v_div_scale_f32 v23, s[18:19], v22, v22, 1.0
	v_rcp_f32_e32 v24, v23
	v_fma_f32 v41, v38, 0, -v39
	v_fmac_f32_e32 v38, 0, v39
	v_mov_b32_e32 v39, v41
	v_fma_f32 v25, -v23, v24, 1.0
	v_fmac_f32_e32 v24, v25, v24
	v_div_scale_f32 v25, vcc, 1.0, v22, 1.0
	v_mul_f32_e32 v26, v25, v24
	v_fma_f32 v27, -v23, v26, v25
	v_fmac_f32_e32 v26, v27, v24
	v_fma_f32 v23, -v23, v26, v25
	v_div_fmas_f32 v23, v23, v24, v26
	v_div_fixup_f32 v40, v23, v22, 1.0
	ds_read2st64_b64 v[22:25], v54 offset0:43 offset1:47
	ds_read2_b64 v[26:29], v55 offset1:1
	s_waitcnt lgkmcnt(2)
	v_pk_mul_f32 v[30:31], v[34:35], v[18:19] op_sel:[1,1] op_sel_hi:[1,0] neg_lo:[0,1]
	v_pk_mul_f32 v[38:39], v[38:39], v[40:41] op_sel_hi:[1,0]
	v_pk_fma_f32 v[30:31], v[18:19], v[34:35], v[30:31] op_sel_hi:[1,0,1]
	s_waitcnt lgkmcnt(1)
	v_pk_add_f32 v[42:43], v[22:23], v[30:31] neg_lo:[0,1] neg_hi:[0,1]
	v_pk_mul_f32 v[30:31], v[16:17], v[22:23] op_sel:[1,1] op_sel_hi:[1,0] neg_lo:[0,1]
	v_xor_b32_e32 v44, 0x80000000, v43
	v_pk_fma_f32 v[22:23], v[22:23], v[16:17], v[30:31] op_sel_hi:[1,0,1]
	ds_read2st64_b64 v[30:33], v53 offset1:4
	v_mov_b32_e32 v45, v42
	v_pk_add_f32 v[22:23], v[34:35], v[22:23] neg_lo:[0,1] neg_hi:[0,1]
	ds_read2st64_b64 v[34:37], v54 offset0:27 offset1:31
	v_xor_b32_e32 v46, 0x80000000, v23
	v_mov_b32_e32 v47, v22
	v_pk_mul_f32 v[40:41], v[38:39], v[44:45] op_sel:[1,0]
	s_waitcnt lgkmcnt(1)
	v_xor_b32_e32 v48, 0x80000000, v31
	v_pk_fma_f32 v[40:41], v[42:43], v[38:39], v[40:41] op_sel_hi:[1,0,1]
	v_pk_mul_f32 v[42:43], v[38:39], v[46:47] op_sel:[1,0]
	v_mov_b32_e32 v49, v30
	v_pk_fma_f32 v[22:23], v[22:23], v[38:39], v[42:43] op_sel_hi:[1,0,1]
	s_waitcnt lgkmcnt(0)
	v_xor_b32_e32 v50, 0x80000000, v37
	v_pk_mul_f32 v[42:43], v[22:23], v[48:49] op_sel:[1,0]
	v_mov_b32_e32 v51, v36
	ds_write_b64 v53, v[22:23] offset:18432
	v_pk_fma_f32 v[22:23], v[30:31], v[22:23], v[42:43] op_sel_hi:[1,0,1]
	v_mul_f32_e64 v52, v33, -v19
	v_pk_add_f32 v[22:23], v[28:29], v[22:23] neg_lo:[0,1] neg_hi:[0,1]
	v_pk_mul_f32 v[28:29], v[40:41], v[50:51] op_sel:[1,0]
	v_fmac_f32_e32 v52, v18, v32
	v_pk_fma_f32 v[28:29], v[36:37], v[40:41], v[28:29] op_sel_hi:[1,0,1]
	v_mul_f32_e32 v18, v33, v18
	v_pk_add_f32 v[24:25], v[24:25], v[28:29] neg_lo:[0,1] neg_hi:[0,1]
	ds_write2st64_b64 v54, v[40:41], v[24:25] offset0:43 offset1:47
	v_xor_b32_e32 v24, 0x80000000, v39
	v_mov_b32_e32 v25, v38
	v_pk_mul_f32 v[36:37], v[32:33], v[24:25] op_sel:[1,0]
	v_mul_f32_e32 v40, v17, v34
	v_fmac_f32_e32 v18, v19, v32
	v_xor_b32_e32 v29, 0x80000000, v38
	v_mov_b32_e32 v28, v39
	v_pk_fma_f32 v[32:33], v[38:39], v[32:33], v[36:37] op_sel_hi:[1,0,1]
	v_mul_f32_e64 v36, v17, -v35
	v_fmac_f32_e32 v40, v35, v16
	v_fmac_f32_e32 v36, v34, v16
	v_pk_mul_f32 v[16:17], v[28:29], v[40:41] op_sel_hi:[1,0]
	v_pk_mul_f32 v[24:25], v[34:35], v[24:25] op_sel:[1,0]
	v_pk_fma_f32 v[16:17], v[38:39], v[36:37], v[16:17] op_sel_hi:[1,0,1] neg_lo:[1,0,0] neg_hi:[1,0,0]
	v_pk_fma_f32 v[24:25], v[38:39], v[34:35], v[24:25] op_sel_hi:[1,0,1]
	v_pk_mul_f32 v[34:35], v[16:17], v[30:31] op_sel:[1,1] op_sel_hi:[1,0] neg_lo:[0,1]
	v_pk_mul_f32 v[18:19], v[28:29], v[18:19] op_sel_hi:[1,0]
	ds_write_b64 v53, v[16:17] offset:10240
	v_xor_b32_e32 v29, 0x80000000, v30
	v_pk_fma_f32 v[16:17], v[30:31], v[16:17], v[34:35] op_sel_hi:[1,0,1]
	v_mov_b32_e32 v28, v31
	v_pk_add_f32 v[14:15], v[14:15], v[16:17] neg_lo:[0,1] neg_hi:[0,1]
	v_pk_mul_f32 v[16:17], v[32:33], v[28:29] op_sel:[1,0]
	v_pk_fma_f32 v[18:19], v[38:39], v[52:53], v[18:19] op_sel_hi:[1,0,1] neg_lo:[1,0,0] neg_hi:[1,0,0]
	v_pk_fma_f32 v[16:17], v[30:31], v[32:33], v[16:17] op_sel_hi:[1,0,1] neg_lo:[1,0,0] neg_hi:[1,0,0]
	ds_write2st64_b64 v53, v[16:17], v[32:33] offset1:4
	v_xor_b32_e32 v16, 0x80000000, v19
	v_mov_b32_e32 v17, v18
	v_pk_mul_f32 v[16:17], v[26:27], v[16:17] op_sel:[1,0]
	ds_write_b64 v53, v[18:19] offset:6136
	v_pk_fma_f32 v[16:17], v[18:19], v[26:27], v[16:17] op_sel_hi:[1,0,1]
	v_mov_b32_e32 v18, 0x1ff8
	v_pk_add_f32 v[16:17], v[20:21], v[16:17] neg_lo:[0,1] neg_hi:[0,1]
	ds_write2_b64 v18, v[16:17], v[14:15] offset1:1
	v_xor_b32_e32 v15, 0x80000000, v26
	v_mov_b32_e32 v14, v27
	v_pk_mul_f32 v[14:15], v[24:25], v[14:15] op_sel:[1,0]
	ds_write_b64 v53, v[24:25] offset:14328
	v_pk_fma_f32 v[14:15], v[26:27], v[24:25], v[14:15] op_sel_hi:[1,0,1] neg_lo:[1,0,0] neg_hi:[1,0,0]
	ds_write2_b64 v55, v[14:15], v[22:23] offset1:1
.LBB193_18:
	s_or_b64 exec, exec, s[16:17]
	s_waitcnt lgkmcnt(0)
	s_barrier
	s_and_saveexec_b64 s[16:17], s[14:15]
	s_cbranch_execz .LBB193_20
; %bb.19:
	ds_read_b64 v[14:15], v13 offset:13304
	v_max_u32_e32 v16, 1, v10
	v_min_u32_e32 v24, 0xff, v10
	v_lshlrev_b32_e32 v26, 3, v16
	ds_read_b64 v[16:17], v13 offset:21496
	ds_read_b64 v[18:19], v26 offset:20472
	ds_read_b64 v[20:21], v13 offset:5112
	v_lshlrev_b32_e32 v27, 3, v24
	ds_read_b64 v[24:25], v27 offset:18432
	s_waitcnt lgkmcnt(4)
	v_xor_b32_e32 v22, 0x80000000, v15
	v_mov_b32_e32 v23, v14
	s_waitcnt lgkmcnt(2)
	v_pk_mul_f32 v[22:23], v[18:19], v[22:23] op_sel:[1,0]
	s_nop 0
	v_pk_fma_f32 v[14:15], v[14:15], v[18:19], v[22:23] op_sel_hi:[1,0,1]
	s_nop 0
	v_pk_add_f32 v[14:15], v[16:17], v[14:15] neg_lo:[0,1] neg_hi:[0,1]
	s_waitcnt lgkmcnt(1)
	v_xor_b32_e32 v16, 0x80000000, v21
	v_mov_b32_e32 v17, v20
	s_waitcnt lgkmcnt(0)
	v_pk_mul_f32 v[16:17], v[24:25], v[16:17] op_sel:[1,0]
	s_nop 0
	v_pk_fma_f32 v[16:17], v[20:21], v[24:25], v[16:17] op_sel_hi:[1,0,1]
	s_nop 0
	v_pk_add_f32 v[14:15], v[14:15], v[16:17] neg_lo:[0,1] neg_hi:[0,1]
	ds_read_b64 v[16:17], v13 offset:9216
	ds_write_b64 v13, v[14:15] offset:21496
	ds_read_b64 v[14:15], v26 offset:20472
	ds_read_b64 v[18:19], v13 offset:17408
	ds_read_b64 v[20:21], v13 offset:1024
	s_waitcnt lgkmcnt(4)
	v_xor_b32_e32 v22, 0x80000000, v17
	v_mov_b32_e32 v23, v16
	s_waitcnt lgkmcnt(2)
	v_pk_mul_f32 v[22:23], v[14:15], v[22:23] op_sel:[1,0]
	s_nop 0
	v_pk_fma_f32 v[14:15], v[16:17], v[14:15], v[22:23] op_sel_hi:[1,0,1]
	s_waitcnt lgkmcnt(1)
	v_pk_add_f32 v[14:15], v[18:19], v[14:15] neg_lo:[0,1] neg_hi:[0,1]
	ds_write_b64 v13, v[14:15] offset:17408
	ds_read_b64 v[16:17], v27 offset:18432
	s_waitcnt lgkmcnt(2)
	v_xor_b32_e32 v18, 0x80000000, v21
	v_mov_b32_e32 v19, v20
	s_waitcnt lgkmcnt(0)
	v_pk_mul_f32 v[18:19], v[16:17], v[18:19] op_sel:[1,0]
	s_nop 0
	v_pk_fma_f32 v[16:17], v[20:21], v[16:17], v[18:19] op_sel_hi:[1,0,1]
	s_nop 0
	v_pk_add_f32 v[14:15], v[14:15], v[16:17] neg_lo:[0,1] neg_hi:[0,1]
	ds_write_b64 v13, v[14:15] offset:17408
.LBB193_20:
	s_or_b64 exec, exec, s[16:17]
	s_waitcnt lgkmcnt(0)
	s_barrier
	s_and_saveexec_b64 s[14:15], s[12:13]
	s_cbranch_execz .LBB193_22
; %bb.21:
	ds_read_b64 v[14:15], v12 offset:12792
	v_max_u32_e32 v13, 1, v9
	v_min_u32_e32 v24, 0x17f, v9
	v_lshlrev_b32_e32 v13, 3, v13
	ds_read_b64 v[16:17], v12 offset:20984
	ds_read_b64 v[18:19], v13 offset:20472
	ds_read_b64 v[20:21], v12 offset:4600
	v_lshlrev_b32_e32 v26, 3, v24
	ds_read_b64 v[24:25], v26 offset:17408
	s_waitcnt lgkmcnt(4)
	v_xor_b32_e32 v22, 0x80000000, v15
	v_mov_b32_e32 v23, v14
	s_waitcnt lgkmcnt(2)
	v_pk_mul_f32 v[22:23], v[18:19], v[22:23] op_sel:[1,0]
	s_nop 0
	v_pk_fma_f32 v[14:15], v[14:15], v[18:19], v[22:23] op_sel_hi:[1,0,1]
	s_nop 0
	v_pk_add_f32 v[14:15], v[16:17], v[14:15] neg_lo:[0,1] neg_hi:[0,1]
	s_waitcnt lgkmcnt(1)
	v_xor_b32_e32 v16, 0x80000000, v21
	v_mov_b32_e32 v17, v20
	s_waitcnt lgkmcnt(0)
	v_pk_mul_f32 v[16:17], v[24:25], v[16:17] op_sel:[1,0]
	s_nop 0
	v_pk_fma_f32 v[16:17], v[20:21], v[24:25], v[16:17] op_sel_hi:[1,0,1]
	s_nop 0
	v_pk_add_f32 v[14:15], v[14:15], v[16:17] neg_lo:[0,1] neg_hi:[0,1]
	ds_read_b64 v[16:17], v12 offset:8704
	ds_write_b64 v12, v[14:15] offset:20984
	ds_read_b64 v[14:15], v13 offset:20472
	ds_read_b64 v[18:19], v12 offset:16896
	ds_read_b64 v[20:21], v12 offset:512
	s_waitcnt lgkmcnt(4)
	v_xor_b32_e32 v22, 0x80000000, v17
	v_mov_b32_e32 v23, v16
	s_waitcnt lgkmcnt(2)
	v_pk_mul_f32 v[22:23], v[14:15], v[22:23] op_sel:[1,0]
	s_nop 0
	v_pk_fma_f32 v[14:15], v[16:17], v[14:15], v[22:23] op_sel_hi:[1,0,1]
	s_waitcnt lgkmcnt(1)
	v_pk_add_f32 v[14:15], v[18:19], v[14:15] neg_lo:[0,1] neg_hi:[0,1]
	ds_write_b64 v12, v[14:15] offset:16896
	ds_read_b64 v[16:17], v26 offset:17408
	s_waitcnt lgkmcnt(2)
	v_xor_b32_e32 v18, 0x80000000, v21
	v_mov_b32_e32 v19, v20
	s_waitcnt lgkmcnt(0)
	v_pk_mul_f32 v[18:19], v[16:17], v[18:19] op_sel:[1,0]
	s_nop 0
	v_pk_fma_f32 v[16:17], v[20:21], v[16:17], v[18:19] op_sel_hi:[1,0,1]
	s_nop 0
	v_pk_add_f32 v[14:15], v[14:15], v[16:17] neg_lo:[0,1] neg_hi:[0,1]
	ds_write_b64 v12, v[14:15] offset:16896
.LBB193_22:
	;; [unrolled: 60-line block ×4, first 2 shown]
	s_or_b64 exec, exec, s[10:11]
	v_lshlrev_b32_e32 v10, 4, v0
	s_waitcnt lgkmcnt(0)
	s_barrier
	s_and_saveexec_b64 s[8:9], s[6:7]
	s_cbranch_execz .LBB193_28
; %bb.27:
	ds_read_b64 v[12:13], v9 offset:12344
	v_max_u32_e32 v11, 1, v10
	v_min_u32_e32 v22, 0x1ef, v10
	v_lshlrev_b32_e32 v11, 3, v11
	ds_read_b64 v[14:15], v9 offset:20536
	ds_read_b64 v[16:17], v11 offset:20472
	;; [unrolled: 1-line block ×3, first 2 shown]
	v_lshlrev_b32_e32 v24, 3, v22
	ds_read_b64 v[22:23], v24 offset:16512
	s_waitcnt lgkmcnt(4)
	v_xor_b32_e32 v20, 0x80000000, v13
	v_mov_b32_e32 v21, v12
	s_waitcnt lgkmcnt(2)
	v_pk_mul_f32 v[20:21], v[16:17], v[20:21] op_sel:[1,0]
	s_nop 0
	v_pk_fma_f32 v[12:13], v[12:13], v[16:17], v[20:21] op_sel_hi:[1,0,1]
	s_nop 0
	v_pk_add_f32 v[12:13], v[14:15], v[12:13] neg_lo:[0,1] neg_hi:[0,1]
	s_waitcnt lgkmcnt(1)
	v_xor_b32_e32 v14, 0x80000000, v19
	v_mov_b32_e32 v15, v18
	s_waitcnt lgkmcnt(0)
	v_pk_mul_f32 v[14:15], v[22:23], v[14:15] op_sel:[1,0]
	s_nop 0
	v_pk_fma_f32 v[14:15], v[18:19], v[22:23], v[14:15] op_sel_hi:[1,0,1]
	s_nop 0
	v_pk_add_f32 v[12:13], v[12:13], v[14:15] neg_lo:[0,1] neg_hi:[0,1]
	ds_read_b64 v[14:15], v9 offset:8256
	ds_write_b64 v9, v[12:13] offset:20536
	ds_read_b64 v[12:13], v11 offset:20472
	ds_read_b64 v[16:17], v9 offset:16448
	;; [unrolled: 1-line block ×3, first 2 shown]
	s_waitcnt lgkmcnt(4)
	v_xor_b32_e32 v20, 0x80000000, v15
	v_mov_b32_e32 v21, v14
	s_waitcnt lgkmcnt(2)
	v_pk_mul_f32 v[20:21], v[12:13], v[20:21] op_sel:[1,0]
	s_nop 0
	v_pk_fma_f32 v[12:13], v[14:15], v[12:13], v[20:21] op_sel_hi:[1,0,1]
	s_waitcnt lgkmcnt(1)
	v_pk_add_f32 v[12:13], v[16:17], v[12:13] neg_lo:[0,1] neg_hi:[0,1]
	ds_write_b64 v9, v[12:13] offset:16448
	ds_read_b64 v[14:15], v24 offset:16512
	s_waitcnt lgkmcnt(2)
	v_xor_b32_e32 v16, 0x80000000, v19
	v_mov_b32_e32 v17, v18
	s_waitcnt lgkmcnt(0)
	v_pk_mul_f32 v[16:17], v[14:15], v[16:17] op_sel:[1,0]
	s_nop 0
	v_pk_fma_f32 v[14:15], v[18:19], v[14:15], v[16:17] op_sel_hi:[1,0,1]
	s_nop 0
	v_pk_add_f32 v[12:13], v[12:13], v[14:15] neg_lo:[0,1] neg_hi:[0,1]
	ds_write_b64 v9, v[12:13] offset:16448
.LBB193_28:
	s_or_b64 exec, exec, s[8:9]
	s_waitcnt lgkmcnt(0)
	s_barrier
	s_and_saveexec_b64 s[6:7], s[4:5]
	s_cbranch_execz .LBB193_30
; %bb.29:
	ds_read_b64 v[12:13], v8 offset:12312
	v_max_u32_e32 v9, 1, v6
	v_min_u32_e32 v6, 0x1f7, v6
	v_lshlrev_b32_e32 v9, 3, v9
	ds_read_b64 v[14:15], v8 offset:20504
	ds_read_b64 v[16:17], v9 offset:20472
	ds_read_b64 v[18:19], v8 offset:4120
	v_lshlrev_b32_e32 v6, 3, v6
	ds_read_b64 v[22:23], v6 offset:16448
	s_waitcnt lgkmcnt(4)
	v_xor_b32_e32 v20, 0x80000000, v13
	v_mov_b32_e32 v21, v12
	s_waitcnt lgkmcnt(2)
	v_pk_mul_f32 v[20:21], v[16:17], v[20:21] op_sel:[1,0]
	s_nop 0
	v_pk_fma_f32 v[12:13], v[12:13], v[16:17], v[20:21] op_sel_hi:[1,0,1]
	s_nop 0
	v_pk_add_f32 v[12:13], v[14:15], v[12:13] neg_lo:[0,1] neg_hi:[0,1]
	s_waitcnt lgkmcnt(1)
	v_xor_b32_e32 v14, 0x80000000, v19
	v_mov_b32_e32 v15, v18
	s_waitcnt lgkmcnt(0)
	v_pk_mul_f32 v[14:15], v[22:23], v[14:15] op_sel:[1,0]
	s_nop 0
	v_pk_fma_f32 v[14:15], v[18:19], v[22:23], v[14:15] op_sel_hi:[1,0,1]
	s_nop 0
	v_pk_add_f32 v[12:13], v[12:13], v[14:15] neg_lo:[0,1] neg_hi:[0,1]
	ds_read_b64 v[14:15], v8 offset:8224
	ds_write_b64 v8, v[12:13] offset:20504
	ds_read_b64 v[12:13], v9 offset:20472
	ds_read_b64 v[16:17], v8 offset:16416
	;; [unrolled: 1-line block ×3, first 2 shown]
	s_waitcnt lgkmcnt(4)
	v_xor_b32_e32 v20, 0x80000000, v15
	v_mov_b32_e32 v21, v14
	s_waitcnt lgkmcnt(2)
	v_pk_mul_f32 v[20:21], v[12:13], v[20:21] op_sel:[1,0]
	s_nop 0
	v_pk_fma_f32 v[12:13], v[14:15], v[12:13], v[20:21] op_sel_hi:[1,0,1]
	s_waitcnt lgkmcnt(1)
	v_pk_add_f32 v[12:13], v[16:17], v[12:13] neg_lo:[0,1] neg_hi:[0,1]
	ds_write_b64 v8, v[12:13] offset:16416
	ds_read_b64 v[14:15], v6 offset:16448
	s_waitcnt lgkmcnt(2)
	v_xor_b32_e32 v16, 0x80000000, v19
	v_mov_b32_e32 v17, v18
	s_waitcnt lgkmcnt(0)
	v_pk_mul_f32 v[16:17], v[14:15], v[16:17] op_sel:[1,0]
	s_nop 0
	v_pk_fma_f32 v[14:15], v[18:19], v[14:15], v[16:17] op_sel_hi:[1,0,1]
	s_nop 0
	v_pk_add_f32 v[12:13], v[12:13], v[14:15] neg_lo:[0,1] neg_hi:[0,1]
	ds_write_b64 v8, v[12:13] offset:16416
.LBB193_30:
	s_or_b64 exec, exec, s[6:7]
	s_waitcnt lgkmcnt(0)
	s_barrier
	s_and_saveexec_b64 s[4:5], s[2:3]
	s_cbranch_execz .LBB193_32
; %bb.31:
	v_lshlrev_b32_e32 v6, 2, v0
	ds_read_b64 v[8:9], v7 offset:12296
	v_max_u32_e32 v11, 1, v6
	v_min_u32_e32 v6, 0x1fb, v6
	v_lshlrev_b32_e32 v11, 3, v11
	ds_read_b64 v[12:13], v7 offset:20488
	ds_read_b64 v[14:15], v11 offset:20472
	;; [unrolled: 1-line block ×3, first 2 shown]
	v_lshlrev_b32_e32 v6, 3, v6
	ds_read_b64 v[20:21], v6 offset:16416
	s_waitcnt lgkmcnt(4)
	v_xor_b32_e32 v18, 0x80000000, v9
	v_mov_b32_e32 v19, v8
	s_waitcnt lgkmcnt(2)
	v_pk_mul_f32 v[18:19], v[14:15], v[18:19] op_sel:[1,0]
	s_nop 0
	v_pk_fma_f32 v[8:9], v[8:9], v[14:15], v[18:19] op_sel_hi:[1,0,1]
	s_nop 0
	v_pk_add_f32 v[8:9], v[12:13], v[8:9] neg_lo:[0,1] neg_hi:[0,1]
	s_waitcnt lgkmcnt(1)
	v_xor_b32_e32 v12, 0x80000000, v17
	v_mov_b32_e32 v13, v16
	s_waitcnt lgkmcnt(0)
	v_pk_mul_f32 v[12:13], v[20:21], v[12:13] op_sel:[1,0]
	s_nop 0
	v_pk_fma_f32 v[12:13], v[16:17], v[20:21], v[12:13] op_sel_hi:[1,0,1]
	s_nop 0
	v_pk_add_f32 v[8:9], v[8:9], v[12:13] neg_lo:[0,1] neg_hi:[0,1]
	ds_read_b64 v[12:13], v7 offset:8208
	ds_write_b64 v7, v[8:9] offset:20488
	ds_read_b64 v[8:9], v11 offset:20472
	ds_read_b64 v[14:15], v7 offset:16400
	;; [unrolled: 1-line block ×3, first 2 shown]
	s_waitcnt lgkmcnt(4)
	v_xor_b32_e32 v18, 0x80000000, v13
	v_mov_b32_e32 v19, v12
	s_waitcnt lgkmcnt(2)
	v_pk_mul_f32 v[18:19], v[8:9], v[18:19] op_sel:[1,0]
	s_nop 0
	v_pk_fma_f32 v[8:9], v[12:13], v[8:9], v[18:19] op_sel_hi:[1,0,1]
	s_waitcnt lgkmcnt(1)
	v_pk_add_f32 v[8:9], v[14:15], v[8:9] neg_lo:[0,1] neg_hi:[0,1]
	ds_write_b64 v7, v[8:9] offset:16400
	ds_read_b64 v[12:13], v6 offset:16416
	s_waitcnt lgkmcnt(2)
	v_xor_b32_e32 v14, 0x80000000, v17
	v_mov_b32_e32 v15, v16
	s_waitcnt lgkmcnt(0)
	v_pk_mul_f32 v[14:15], v[12:13], v[14:15] op_sel:[1,0]
	s_nop 0
	v_pk_fma_f32 v[12:13], v[16:17], v[12:13], v[14:15] op_sel_hi:[1,0,1]
	s_nop 0
	v_pk_add_f32 v[8:9], v[8:9], v[12:13] neg_lo:[0,1] neg_hi:[0,1]
	ds_write_b64 v7, v[8:9] offset:16400
.LBB193_32:
	s_or_b64 exec, exec, s[4:5]
	s_waitcnt lgkmcnt(0)
	s_barrier
	s_and_saveexec_b64 s[2:3], s[0:1]
	s_cbranch_execz .LBB193_34
; %bb.33:
	v_lshlrev_b32_e32 v0, 1, v0
	ds_read_b64 v[6:7], v10 offset:12288
	v_max_u32_e32 v8, 1, v0
	v_min_u32_e32 v0, 0x1fd, v0
	v_lshlrev_b32_e32 v11, 3, v8
	ds_read_b64 v[8:9], v10 offset:20480
	ds_read_b64 v[12:13], v11 offset:20472
	;; [unrolled: 1-line block ×3, first 2 shown]
	v_lshlrev_b32_e32 v0, 3, v0
	ds_read_b64 v[18:19], v0 offset:16400
	s_waitcnt lgkmcnt(4)
	v_xor_b32_e32 v16, 0x80000000, v7
	v_mov_b32_e32 v17, v6
	s_waitcnt lgkmcnt(2)
	v_pk_mul_f32 v[16:17], v[12:13], v[16:17] op_sel:[1,0]
	s_nop 0
	v_pk_fma_f32 v[6:7], v[6:7], v[12:13], v[16:17] op_sel_hi:[1,0,1]
	s_nop 0
	v_pk_add_f32 v[6:7], v[8:9], v[6:7] neg_lo:[0,1] neg_hi:[0,1]
	s_waitcnt lgkmcnt(1)
	v_xor_b32_e32 v8, 0x80000000, v15
	v_mov_b32_e32 v9, v14
	s_waitcnt lgkmcnt(0)
	v_pk_mul_f32 v[8:9], v[18:19], v[8:9] op_sel:[1,0]
	s_nop 0
	v_pk_fma_f32 v[8:9], v[14:15], v[18:19], v[8:9] op_sel_hi:[1,0,1]
	s_nop 0
	v_pk_add_f32 v[6:7], v[6:7], v[8:9] neg_lo:[0,1] neg_hi:[0,1]
	ds_read_b64 v[8:9], v10 offset:8200
	ds_write_b64 v10, v[6:7] offset:20480
	ds_read_b64 v[6:7], v11 offset:20472
	ds_read_b64 v[12:13], v10 offset:16392
	;; [unrolled: 1-line block ×3, first 2 shown]
	s_waitcnt lgkmcnt(4)
	v_xor_b32_e32 v16, 0x80000000, v9
	v_mov_b32_e32 v17, v8
	s_waitcnt lgkmcnt(2)
	v_pk_mul_f32 v[16:17], v[6:7], v[16:17] op_sel:[1,0]
	s_nop 0
	v_pk_fma_f32 v[6:7], v[8:9], v[6:7], v[16:17] op_sel_hi:[1,0,1]
	s_waitcnt lgkmcnt(1)
	v_pk_add_f32 v[6:7], v[12:13], v[6:7] neg_lo:[0,1] neg_hi:[0,1]
	ds_write_b64 v10, v[6:7] offset:16392
	ds_read_b64 v[8:9], v0 offset:16400
	s_waitcnt lgkmcnt(2)
	v_xor_b32_e32 v12, 0x80000000, v15
	v_mov_b32_e32 v13, v14
	s_waitcnt lgkmcnt(0)
	v_pk_mul_f32 v[12:13], v[8:9], v[12:13] op_sel:[1,0]
	s_nop 0
	v_pk_fma_f32 v[8:9], v[14:15], v[8:9], v[12:13] op_sel_hi:[1,0,1]
	s_nop 0
	v_pk_add_f32 v[6:7], v[6:7], v[8:9] neg_lo:[0,1] neg_hi:[0,1]
	ds_write_b64 v10, v[6:7] offset:16392
.LBB193_34:
	s_or_b64 exec, exec, s[2:3]
	s_waitcnt lgkmcnt(0)
	s_barrier
	ds_read2st64_b64 v[6:9], v1 offset1:8
	s_waitcnt lgkmcnt(0)
	global_store_dwordx2 v[2:3], v[6:7], off
	global_store_dwordx2 v[4:5], v[8:9], off
	s_endpgm
	.section	.rodata,"a",@progbits
	.p2align	6, 0x0
	.amdhsa_kernel _ZN9rocsparseL34gtsv_solve_spike_grid_level_kernelILj512E21rocsparse_complex_numIfEEEviiiPT0_PKS3_S6_
		.amdhsa_group_segment_fixed_size 24576
		.amdhsa_private_segment_fixed_size 0
		.amdhsa_kernarg_size 40
		.amdhsa_user_sgpr_count 2
		.amdhsa_user_sgpr_dispatch_ptr 0
		.amdhsa_user_sgpr_queue_ptr 0
		.amdhsa_user_sgpr_kernarg_segment_ptr 1
		.amdhsa_user_sgpr_dispatch_id 0
		.amdhsa_user_sgpr_kernarg_preload_length 0
		.amdhsa_user_sgpr_kernarg_preload_offset 0
		.amdhsa_user_sgpr_private_segment_size 0
		.amdhsa_uses_dynamic_stack 0
		.amdhsa_enable_private_segment 0
		.amdhsa_system_sgpr_workgroup_id_x 1
		.amdhsa_system_sgpr_workgroup_id_y 1
		.amdhsa_system_sgpr_workgroup_id_z 0
		.amdhsa_system_sgpr_workgroup_info 0
		.amdhsa_system_vgpr_workitem_id 0
		.amdhsa_next_free_vgpr 58
		.amdhsa_next_free_sgpr 20
		.amdhsa_accum_offset 60
		.amdhsa_reserve_vcc 1
		.amdhsa_float_round_mode_32 0
		.amdhsa_float_round_mode_16_64 0
		.amdhsa_float_denorm_mode_32 3
		.amdhsa_float_denorm_mode_16_64 3
		.amdhsa_dx10_clamp 1
		.amdhsa_ieee_mode 1
		.amdhsa_fp16_overflow 0
		.amdhsa_tg_split 0
		.amdhsa_exception_fp_ieee_invalid_op 0
		.amdhsa_exception_fp_denorm_src 0
		.amdhsa_exception_fp_ieee_div_zero 0
		.amdhsa_exception_fp_ieee_overflow 0
		.amdhsa_exception_fp_ieee_underflow 0
		.amdhsa_exception_fp_ieee_inexact 0
		.amdhsa_exception_int_div_zero 0
	.end_amdhsa_kernel
	.section	.text._ZN9rocsparseL34gtsv_solve_spike_grid_level_kernelILj512E21rocsparse_complex_numIfEEEviiiPT0_PKS3_S6_,"axG",@progbits,_ZN9rocsparseL34gtsv_solve_spike_grid_level_kernelILj512E21rocsparse_complex_numIfEEEviiiPT0_PKS3_S6_,comdat
.Lfunc_end193:
	.size	_ZN9rocsparseL34gtsv_solve_spike_grid_level_kernelILj512E21rocsparse_complex_numIfEEEviiiPT0_PKS3_S6_, .Lfunc_end193-_ZN9rocsparseL34gtsv_solve_spike_grid_level_kernelILj512E21rocsparse_complex_numIfEEEviiiPT0_PKS3_S6_
                                        ; -- End function
	.set _ZN9rocsparseL34gtsv_solve_spike_grid_level_kernelILj512E21rocsparse_complex_numIfEEEviiiPT0_PKS3_S6_.num_vgpr, 58
	.set _ZN9rocsparseL34gtsv_solve_spike_grid_level_kernelILj512E21rocsparse_complex_numIfEEEviiiPT0_PKS3_S6_.num_agpr, 0
	.set _ZN9rocsparseL34gtsv_solve_spike_grid_level_kernelILj512E21rocsparse_complex_numIfEEEviiiPT0_PKS3_S6_.numbered_sgpr, 20
	.set _ZN9rocsparseL34gtsv_solve_spike_grid_level_kernelILj512E21rocsparse_complex_numIfEEEviiiPT0_PKS3_S6_.num_named_barrier, 0
	.set _ZN9rocsparseL34gtsv_solve_spike_grid_level_kernelILj512E21rocsparse_complex_numIfEEEviiiPT0_PKS3_S6_.private_seg_size, 0
	.set _ZN9rocsparseL34gtsv_solve_spike_grid_level_kernelILj512E21rocsparse_complex_numIfEEEviiiPT0_PKS3_S6_.uses_vcc, 1
	.set _ZN9rocsparseL34gtsv_solve_spike_grid_level_kernelILj512E21rocsparse_complex_numIfEEEviiiPT0_PKS3_S6_.uses_flat_scratch, 0
	.set _ZN9rocsparseL34gtsv_solve_spike_grid_level_kernelILj512E21rocsparse_complex_numIfEEEviiiPT0_PKS3_S6_.has_dyn_sized_stack, 0
	.set _ZN9rocsparseL34gtsv_solve_spike_grid_level_kernelILj512E21rocsparse_complex_numIfEEEviiiPT0_PKS3_S6_.has_recursion, 0
	.set _ZN9rocsparseL34gtsv_solve_spike_grid_level_kernelILj512E21rocsparse_complex_numIfEEEviiiPT0_PKS3_S6_.has_indirect_call, 0
	.section	.AMDGPU.csdata,"",@progbits
; Kernel info:
; codeLenInByte = 10428
; TotalNumSgprs: 26
; NumVgprs: 58
; NumAgprs: 0
; TotalNumVgprs: 58
; ScratchSize: 0
; MemoryBound: 0
; FloatMode: 240
; IeeeMode: 1
; LDSByteSize: 24576 bytes/workgroup (compile time only)
; SGPRBlocks: 3
; VGPRBlocks: 7
; NumSGPRsForWavesPerEU: 26
; NumVGPRsForWavesPerEU: 58
; AccumOffset: 60
; Occupancy: 8
; WaveLimiterHint : 1
; COMPUTE_PGM_RSRC2:SCRATCH_EN: 0
; COMPUTE_PGM_RSRC2:USER_SGPR: 2
; COMPUTE_PGM_RSRC2:TRAP_HANDLER: 0
; COMPUTE_PGM_RSRC2:TGID_X_EN: 1
; COMPUTE_PGM_RSRC2:TGID_Y_EN: 1
; COMPUTE_PGM_RSRC2:TGID_Z_EN: 0
; COMPUTE_PGM_RSRC2:TIDIG_COMP_CNT: 0
; COMPUTE_PGM_RSRC3_GFX90A:ACCUM_OFFSET: 14
; COMPUTE_PGM_RSRC3_GFX90A:TG_SPLIT: 0
	.section	.text._ZN9rocsparseL33gtsv_solve_spike_propagate_kernelILj256ELj2E21rocsparse_complex_numIfEEEviiiPT1_PKS3_S6_S6_,"axG",@progbits,_ZN9rocsparseL33gtsv_solve_spike_propagate_kernelILj256ELj2E21rocsparse_complex_numIfEEEviiiPT1_PKS3_S6_S6_,comdat
	.globl	_ZN9rocsparseL33gtsv_solve_spike_propagate_kernelILj256ELj2E21rocsparse_complex_numIfEEEviiiPT1_PKS3_S6_S6_ ; -- Begin function _ZN9rocsparseL33gtsv_solve_spike_propagate_kernelILj256ELj2E21rocsparse_complex_numIfEEEviiiPT1_PKS3_S6_S6_
	.p2align	8
	.type	_ZN9rocsparseL33gtsv_solve_spike_propagate_kernelILj256ELj2E21rocsparse_complex_numIfEEEviiiPT1_PKS3_S6_S6_,@function
_ZN9rocsparseL33gtsv_solve_spike_propagate_kernelILj256ELj2E21rocsparse_complex_numIfEEEviiiPT1_PKS3_S6_S6_: ; @_ZN9rocsparseL33gtsv_solve_spike_propagate_kernelILj256ELj2E21rocsparse_complex_numIfEEEviiiPT1_PKS3_S6_S6_
; %bb.0:
	s_load_dword s8, s[0:1], 0x0
	v_lshl_or_b32 v2, s2, 8, v0
	v_lshlrev_b32_e32 v1, 3, v0
	s_waitcnt lgkmcnt(0)
	s_lshr_b32 s14, s8, 1
	v_cmp_gt_i32_e32 vcc, s14, v2
	v_cmp_le_i32_e64 s[4:5], s14, v2
	s_and_saveexec_b64 s[6:7], s[4:5]
	s_xor_b64 s[6:7], exec, s[6:7]
; %bb.1:
	v_mov_b32_e32 v4, 0
	v_mov_b32_e32 v5, v4
	ds_write_b64 v1, v[4:5] offset:8208
; %bb.2:
	s_or_saveexec_b64 s[6:7], s[6:7]
	v_mov_b32_e32 v6, 0
	v_ashrrev_i32_e32 v3, 31, v2
	v_add_u32_e32 v4, s14, v2
	v_mov_b32_e32 v7, 0
	s_xor_b64 exec, exec, s[6:7]
	s_cbranch_execz .LBB194_4
; %bb.3:
	s_load_dwordx2 s[10:11], s[0:1], 0x18
	v_mov_b32_e32 v5, 0
	s_waitcnt lgkmcnt(0)
	v_lshl_add_u64 v[8:9], v[2:3], 3, s[10:11]
	v_lshl_add_u64 v[10:11], v[4:5], 3, s[10:11]
	global_load_dwordx2 v[12:13], v[8:9], off
	global_load_dwordx2 v[6:7], v[10:11], off
	s_waitcnt vmcnt(1)
	ds_write_b64 v1, v[12:13] offset:8208
.LBB194_4:
	s_or_b64 exec, exec, s[6:7]
	s_waitcnt vmcnt(0)
	ds_write_b64 v1, v[6:7] offset:10256
	s_and_saveexec_b64 s[6:7], s[4:5]
	s_xor_b64 s[4:5], exec, s[6:7]
; %bb.5:
	v_mov_b32_e32 v4, 0
	v_mov_b32_e32 v5, v4
	ds_write_b64 v1, v[4:5] offset:4112
                                        ; implicit-def: $vgpr4
; %bb.6:
	s_or_saveexec_b64 s[4:5], s[4:5]
	s_load_dwordx2 s[6:7], s[0:1], 0x10
	v_mov_b32_e32 v6, 0
	v_mov_b32_e32 v8, 0
	v_mov_b32_e32 v9, 0
	s_xor_b64 exec, exec, s[4:5]
	s_cbranch_execz .LBB194_8
; %bb.7:
	s_load_dwordx2 s[10:11], s[0:1], 0x20
	v_mov_b32_e32 v5, 0
	s_waitcnt lgkmcnt(0)
	v_lshl_add_u64 v[10:11], v[2:3], 3, s[10:11]
	v_lshl_add_u64 v[4:5], v[4:5], 3, s[10:11]
	global_load_dwordx2 v[12:13], v[10:11], off
	global_load_dwordx2 v[8:9], v[4:5], off
	s_waitcnt vmcnt(1)
	ds_write_b64 v1, v[12:13] offset:4112
.LBB194_8:
	s_or_b64 exec, exec, s[4:5]
	s_mul_i32 s8, s8, s3
	v_mov_b32_e32 v7, 0
	s_waitcnt vmcnt(0)
	ds_write_b64 v1, v[8:9] offset:6160
	s_and_saveexec_b64 s[4:5], vcc
	s_cbranch_execz .LBB194_10
; %bb.9:
	s_add_i32 s9, s8, s14
	v_add_u32_e32 v4, s9, v2
	v_mov_b32_e32 v5, 0
	s_waitcnt lgkmcnt(0)
	v_lshl_add_u64 v[4:5], v[4:5], 3, s[6:7]
	global_load_dwordx2 v[6:7], v[4:5], off
.LBB194_10:
	s_or_b64 exec, exec, s[4:5]
	v_mov_b32_e32 v4, 0
	v_add_u32_e32 v2, s8, v2
	v_mov_b32_e32 v5, 0
	s_waitcnt vmcnt(0)
	ds_write_b64 v1, v[6:7] offset:8
	s_and_saveexec_b64 s[4:5], vcc
	s_cbranch_execz .LBB194_12
; %bb.11:
	v_ashrrev_i32_e32 v3, 31, v2
	s_waitcnt lgkmcnt(0)
	v_lshl_add_u64 v[4:5], v[2:3], 3, s[6:7]
	global_load_dwordx2 v[4:5], v[4:5], off
.LBB194_12:
	s_or_b64 exec, exec, s[4:5]
	s_mov_b32 s12, 0
	v_cmp_eq_u32_e64 s[4:5], 0, v0
	s_waitcnt vmcnt(0)
	ds_write_b64 v1, v[4:5] offset:2056
	s_waitcnt lgkmcnt(0)
	s_barrier
	s_and_saveexec_b64 s[8:9], s[4:5]
	s_cbranch_execz .LBB194_18
; %bb.13:
	s_load_dword s15, s[0:1], 0x30
	s_load_dwordx2 s[10:11], s[0:1], 0x28
	s_cmp_lt_i32 s2, 1
	s_mov_b32 s13, 0
	s_waitcnt lgkmcnt(0)
	s_mul_i32 s3, s3, s15
	s_cbranch_scc1 .LBB194_15
; %bb.14:
	s_lshl_b32 s0, s3, 1
	s_add_i32 s1, s2, s15
	s_add_i32 s0, s1, s0
	s_add_i32 s0, s0, -1
	s_mov_b32 s1, 0
	s_lshl_b64 s[0:1], s[0:1], 3
	s_add_u32 s0, s10, s0
	s_addc_u32 s1, s11, s1
	s_load_dwordx2 s[12:13], s[0:1], 0x0
.LBB194_15:
	s_add_i32 s0, s15, -1
	s_waitcnt lgkmcnt(0)
	v_mov_b32_e32 v4, s12
	v_mov_b32_e32 v5, s13
	;; [unrolled: 1-line block ×3, first 2 shown]
	s_mov_b32 s1, 0
	s_cmp_ge_u32 s2, s0
	s_mov_b32 s12, 0
	s_mov_b32 s13, 0
	ds_write_b64 v3, v[4:5]
	s_cbranch_scc1 .LBB194_17
; %bb.16:
	s_lshl_b32 s0, s3, 1
	s_add_i32 s0, s2, s0
	s_add_i32 s12, s0, 1
	s_lshl_b64 s[12:13], s[12:13], 3
	s_add_u32 s16, s10, s12
	s_addc_u32 s17, s11, s13
	s_load_dwordx2 s[12:13], s[16:17], 0x0
.LBB194_17:
	s_lshl_b32 s0, s3, 1
	s_add_i32 s0, s0, s2
	s_lshl_b64 s[2:3], s[0:1], 3
	s_add_u32 s2, s10, s2
	s_addc_u32 s3, s11, s3
	s_add_i32 s0, s0, s15
	s_lshl_b64 s[0:1], s[0:1], 3
	s_add_u32 s0, s10, s0
	s_addc_u32 s1, s11, s1
	s_load_dwordx2 s[10:11], s[0:1], 0x0
	s_load_dwordx2 s[16:17], s[2:3], 0x0
	s_waitcnt lgkmcnt(0)
	v_mov_b32_e32 v4, s12
	v_mov_b32_e32 v5, s13
	ds_write_b64 v3, v[4:5] offset:4104
	v_mov_b32_e32 v4, s10
	v_mov_b32_e32 v5, s11
	;; [unrolled: 1-line block ×4, first 2 shown]
	ds_write_b128 v3, v[4:7] offset:2048
.LBB194_18:
	s_or_b64 exec, exec, s[8:9]
	s_waitcnt lgkmcnt(0)
	s_barrier
	s_and_saveexec_b64 s[0:1], s[4:5]
	s_cbranch_execz .LBB194_20
; %bb.19:
	s_movk_i32 s2, 0x1410
	v_add_u32_e64 v3, s2, 0
	ds_read2_b64 v[4:7], v3 offset1:255
	v_add_u32_e64 v8, 8, 0
	s_movk_i32 s2, 0x2410
	v_mov_b32_e32 v3, 0
	ds_read2st64_b64 v[8:11], v8 offset0:6 offset1:8
	ds_read2st64_b64 v[12:15], v3 offset1:2
	v_add_u32_e64 v16, s2, 0
	ds_read2_b64 v[16:19], v16 offset1:255
	s_waitcnt lgkmcnt(3)
	v_xor_b32_e32 v20, 0x80000000, v7
	v_mov_b32_e32 v21, v6
	s_waitcnt lgkmcnt(2)
	v_pk_mul_f32 v[20:21], v[10:11], v[20:21] op_sel:[1,0]
	s_nop 0
	v_pk_fma_f32 v[6:7], v[6:7], v[10:11], v[20:21] op_sel_hi:[1,0,1]
	s_waitcnt lgkmcnt(1)
	v_pk_add_f32 v[6:7], v[14:15], v[6:7] neg_lo:[0,1] neg_hi:[0,1]
	s_waitcnt lgkmcnt(0)
	v_xor_b32_e32 v14, 0x80000000, v19
	v_mov_b32_e32 v15, v18
	v_pk_mul_f32 v[14:15], v[12:13], v[14:15] op_sel:[1,0]
	s_nop 0
	v_pk_fma_f32 v[14:15], v[18:19], v[12:13], v[14:15] op_sel_hi:[1,0,1]
	s_nop 0
	v_pk_add_f32 v[6:7], v[6:7], v[14:15] neg_lo:[0,1] neg_hi:[0,1]
	ds_write_b64 v3, v[6:7] offset:1024
	v_xor_b32_e32 v6, 0x80000000, v5
	v_mov_b32_e32 v7, v4
	v_pk_mul_f32 v[6:7], v[10:11], v[6:7] op_sel:[1,0]
	s_nop 0
	v_pk_fma_f32 v[4:5], v[4:5], v[10:11], v[6:7] op_sel_hi:[1,0,1]
	v_xor_b32_e32 v6, 0x80000000, v17
	v_mov_b32_e32 v7, v16
	v_pk_mul_f32 v[6:7], v[12:13], v[6:7] op_sel:[1,0]
	v_pk_add_f32 v[4:5], v[8:9], v[4:5] neg_lo:[0,1] neg_hi:[0,1]
	v_pk_fma_f32 v[6:7], v[16:17], v[12:13], v[6:7] op_sel_hi:[1,0,1]
	s_nop 0
	v_pk_add_f32 v[4:5], v[4:5], v[6:7] neg_lo:[0,1] neg_hi:[0,1]
	ds_write_b64 v3, v[4:5] offset:3080
.LBB194_20:
	s_or_b64 exec, exec, s[0:1]
	v_cmp_gt_u32_e64 s[0:1], 2, v0
	s_waitcnt lgkmcnt(0)
	s_barrier
	s_and_saveexec_b64 s[2:3], s[0:1]
	s_cbranch_execz .LBB194_22
; %bb.21:
	v_lshlrev_b32_e32 v3, 10, v0
	v_add_u32_e32 v4, 0x1210, v3
	ds_read2_b64 v[4:7], v4 offset1:255
	v_add_u32_e32 v12, 8, v3
	ds_read2st64_b64 v[8:11], v3 offset1:1
	ds_read2st64_b64 v[12:15], v12 offset0:5 offset1:6
	v_add_u32_e32 v16, 0x2210, v3
	ds_read2_b64 v[16:19], v16 offset1:255
	s_waitcnt lgkmcnt(3)
	v_xor_b32_e32 v20, 0x80000000, v7
	v_mov_b32_e32 v21, v6
	s_waitcnt lgkmcnt(1)
	v_pk_mul_f32 v[20:21], v[14:15], v[20:21] op_sel:[1,0]
	s_nop 0
	v_pk_fma_f32 v[6:7], v[6:7], v[14:15], v[20:21] op_sel_hi:[1,0,1]
	s_nop 0
	v_pk_add_f32 v[6:7], v[10:11], v[6:7] neg_lo:[0,1] neg_hi:[0,1]
	s_waitcnt lgkmcnt(0)
	v_xor_b32_e32 v10, 0x80000000, v19
	v_mov_b32_e32 v11, v18
	v_pk_mul_f32 v[10:11], v[8:9], v[10:11] op_sel:[1,0]
	s_nop 0
	v_pk_fma_f32 v[10:11], v[18:19], v[8:9], v[10:11] op_sel_hi:[1,0,1]
	s_nop 0
	v_pk_add_f32 v[6:7], v[6:7], v[10:11] neg_lo:[0,1] neg_hi:[0,1]
	ds_write_b64 v3, v[6:7] offset:512
	v_xor_b32_e32 v6, 0x80000000, v5
	v_mov_b32_e32 v7, v4
	v_pk_mul_f32 v[6:7], v[14:15], v[6:7] op_sel:[1,0]
	s_nop 0
	v_pk_fma_f32 v[4:5], v[4:5], v[14:15], v[6:7] op_sel_hi:[1,0,1]
	v_xor_b32_e32 v6, 0x80000000, v17
	v_mov_b32_e32 v7, v16
	v_pk_mul_f32 v[6:7], v[8:9], v[6:7] op_sel:[1,0]
	v_pk_add_f32 v[4:5], v[12:13], v[4:5] neg_lo:[0,1] neg_hi:[0,1]
	v_pk_fma_f32 v[6:7], v[16:17], v[8:9], v[6:7] op_sel_hi:[1,0,1]
	s_nop 0
	v_pk_add_f32 v[4:5], v[4:5], v[6:7] neg_lo:[0,1] neg_hi:[0,1]
	ds_write_b64 v3, v[4:5] offset:2568
.LBB194_22:
	s_or_b64 exec, exec, s[2:3]
	v_cmp_gt_u32_e64 s[0:1], 4, v0
	s_waitcnt lgkmcnt(0)
	s_barrier
	s_and_saveexec_b64 s[2:3], s[0:1]
	s_cbranch_execz .LBB194_24
; %bb.23:
	v_lshlrev_b32_e32 v3, 9, v0
	v_add_u32_e32 v4, 0x1110, v3
	ds_read2_b64 v[4:7], v4 offset1:255
	v_add_u32_e32 v12, 0x800, v3
	ds_read2_b64 v[8:11], v3 offset1:32
	ds_read2_b64 v[12:15], v12 offset0:33 offset1:65
	v_add_u32_e32 v16, 0x2110, v3
	ds_read2_b64 v[16:19], v16 offset1:255
	s_waitcnt lgkmcnt(3)
	v_xor_b32_e32 v20, 0x80000000, v7
	v_mov_b32_e32 v21, v6
	s_waitcnt lgkmcnt(1)
	v_pk_mul_f32 v[20:21], v[14:15], v[20:21] op_sel:[1,0]
	s_nop 0
	v_pk_fma_f32 v[6:7], v[6:7], v[14:15], v[20:21] op_sel_hi:[1,0,1]
	s_nop 0
	v_pk_add_f32 v[6:7], v[10:11], v[6:7] neg_lo:[0,1] neg_hi:[0,1]
	s_waitcnt lgkmcnt(0)
	v_xor_b32_e32 v10, 0x80000000, v19
	v_mov_b32_e32 v11, v18
	v_pk_mul_f32 v[10:11], v[8:9], v[10:11] op_sel:[1,0]
	s_nop 0
	v_pk_fma_f32 v[10:11], v[18:19], v[8:9], v[10:11] op_sel_hi:[1,0,1]
	s_nop 0
	v_pk_add_f32 v[6:7], v[6:7], v[10:11] neg_lo:[0,1] neg_hi:[0,1]
	ds_write_b64 v3, v[6:7] offset:256
	v_xor_b32_e32 v6, 0x80000000, v5
	v_mov_b32_e32 v7, v4
	v_pk_mul_f32 v[6:7], v[14:15], v[6:7] op_sel:[1,0]
	s_nop 0
	v_pk_fma_f32 v[4:5], v[4:5], v[14:15], v[6:7] op_sel_hi:[1,0,1]
	v_xor_b32_e32 v6, 0x80000000, v17
	v_mov_b32_e32 v7, v16
	v_pk_mul_f32 v[6:7], v[8:9], v[6:7] op_sel:[1,0]
	v_pk_add_f32 v[4:5], v[12:13], v[4:5] neg_lo:[0,1] neg_hi:[0,1]
	v_pk_fma_f32 v[6:7], v[16:17], v[8:9], v[6:7] op_sel_hi:[1,0,1]
	s_nop 0
	v_pk_add_f32 v[4:5], v[4:5], v[6:7] neg_lo:[0,1] neg_hi:[0,1]
	ds_write_b64 v3, v[4:5] offset:2312
.LBB194_24:
	s_or_b64 exec, exec, s[2:3]
	v_cmp_gt_u32_e64 s[0:1], 8, v0
	s_waitcnt lgkmcnt(0)
	s_barrier
	s_and_saveexec_b64 s[2:3], s[0:1]
	s_cbranch_execz .LBB194_26
; %bb.25:
	v_lshlrev_b32_e32 v3, 8, v0
	v_add_u32_e32 v4, 0x1090, v3
	ds_read2_b64 v[4:7], v4 offset1:255
	v_add_u32_e32 v12, 0x800, v3
	ds_read2_b64 v[8:11], v3 offset1:16
	ds_read2_b64 v[12:15], v12 offset0:17 offset1:33
	v_add_u32_e32 v16, 0x2090, v3
	ds_read2_b64 v[16:19], v16 offset1:255
	s_waitcnt lgkmcnt(3)
	v_xor_b32_e32 v20, 0x80000000, v7
	v_mov_b32_e32 v21, v6
	s_waitcnt lgkmcnt(1)
	v_pk_mul_f32 v[20:21], v[14:15], v[20:21] op_sel:[1,0]
	s_nop 0
	v_pk_fma_f32 v[6:7], v[6:7], v[14:15], v[20:21] op_sel_hi:[1,0,1]
	s_nop 0
	v_pk_add_f32 v[6:7], v[10:11], v[6:7] neg_lo:[0,1] neg_hi:[0,1]
	s_waitcnt lgkmcnt(0)
	v_xor_b32_e32 v10, 0x80000000, v19
	v_mov_b32_e32 v11, v18
	v_pk_mul_f32 v[10:11], v[8:9], v[10:11] op_sel:[1,0]
	s_nop 0
	v_pk_fma_f32 v[10:11], v[18:19], v[8:9], v[10:11] op_sel_hi:[1,0,1]
	s_nop 0
	v_pk_add_f32 v[6:7], v[6:7], v[10:11] neg_lo:[0,1] neg_hi:[0,1]
	ds_write_b64 v3, v[6:7] offset:128
	v_xor_b32_e32 v6, 0x80000000, v5
	v_mov_b32_e32 v7, v4
	v_pk_mul_f32 v[6:7], v[14:15], v[6:7] op_sel:[1,0]
	s_nop 0
	v_pk_fma_f32 v[4:5], v[4:5], v[14:15], v[6:7] op_sel_hi:[1,0,1]
	v_xor_b32_e32 v6, 0x80000000, v17
	v_mov_b32_e32 v7, v16
	v_pk_mul_f32 v[6:7], v[8:9], v[6:7] op_sel:[1,0]
	v_pk_add_f32 v[4:5], v[12:13], v[4:5] neg_lo:[0,1] neg_hi:[0,1]
	v_pk_fma_f32 v[6:7], v[16:17], v[8:9], v[6:7] op_sel_hi:[1,0,1]
	s_nop 0
	v_pk_add_f32 v[4:5], v[4:5], v[6:7] neg_lo:[0,1] neg_hi:[0,1]
	ds_write_b64 v3, v[4:5] offset:2184
.LBB194_26:
	;; [unrolled: 47-line block ×5, first 2 shown]
	s_or_b64 exec, exec, s[2:3]
	s_movk_i32 s0, 0x80
	v_cmp_gt_u32_e64 s[0:1], s0, v0
	s_waitcnt lgkmcnt(0)
	s_barrier
	s_and_saveexec_b64 s[2:3], s[0:1]
	s_cbranch_execz .LBB194_34
; %bb.33:
	v_lshlrev_b32_e32 v3, 4, v0
	v_add_u32_e32 v0, 0x1018, v3
	ds_read_b128 v[4:7], v3 offset:2064
	ds_read2_b64 v[8:11], v0 offset1:255
	ds_read_b128 v[12:15], v3
	v_add_u32_e32 v16, 0x2018, v3
	ds_read2_b64 v[16:19], v16 offset1:255
	s_waitcnt lgkmcnt(3)
	v_mov_b32_e32 v0, v7
	s_waitcnt lgkmcnt(2)
	v_xor_b32_e32 v20, 0x80000000, v11
	v_mov_b32_e32 v21, v10
	v_pk_mul_f32 v[20:21], v[0:1], v[20:21] op_sel_hi:[0,1]
	v_pk_fma_f32 v[10:11], v[10:11], v[6:7], v[20:21] op_sel_hi:[1,0,1]
	s_waitcnt lgkmcnt(1)
	v_pk_add_f32 v[10:11], v[14:15], v[10:11] neg_lo:[0,1] neg_hi:[0,1]
	s_waitcnt lgkmcnt(0)
	v_xor_b32_e32 v14, 0x80000000, v19
	v_mov_b32_e32 v15, v18
	v_pk_mul_f32 v[14:15], v[12:13], v[14:15] op_sel:[1,0]
	s_nop 0
	v_pk_fma_f32 v[14:15], v[18:19], v[12:13], v[14:15] op_sel_hi:[1,0,1]
	s_nop 0
	v_pk_add_f32 v[10:11], v[10:11], v[14:15] neg_lo:[0,1] neg_hi:[0,1]
	ds_write_b64 v3, v[10:11] offset:8
	v_xor_b32_e32 v10, 0x80000000, v9
	v_mov_b32_e32 v11, v8
	v_pk_mul_f32 v[10:11], v[0:1], v[10:11] op_sel_hi:[0,1]
	v_pk_fma_f32 v[6:7], v[8:9], v[6:7], v[10:11] op_sel_hi:[1,0,1]
	s_nop 0
	v_pk_add_f32 v[4:5], v[4:5], v[6:7] neg_lo:[0,1] neg_hi:[0,1]
	v_xor_b32_e32 v6, 0x80000000, v17
	v_mov_b32_e32 v7, v16
	v_pk_mul_f32 v[6:7], v[12:13], v[6:7] op_sel:[1,0]
	s_nop 0
	v_pk_fma_f32 v[6:7], v[16:17], v[12:13], v[6:7] op_sel_hi:[1,0,1]
	s_nop 0
	v_pk_add_f32 v[4:5], v[4:5], v[6:7] neg_lo:[0,1] neg_hi:[0,1]
	ds_write_b64 v3, v[4:5] offset:2064
.LBB194_34:
	s_or_b64 exec, exec, s[2:3]
	s_waitcnt lgkmcnt(0)
	s_barrier
	s_and_saveexec_b64 s[0:1], vcc
	s_cbranch_execz .LBB194_36
; %bb.35:
	v_add_u32_e32 v0, 8, v1
	ds_read2st64_b64 v[4:7], v0 offset1:4
	v_ashrrev_i32_e32 v3, 31, v2
	v_add_u32_e32 v0, s14, v2
	v_mov_b32_e32 v1, 0
	v_lshl_add_u64 v[2:3], v[2:3], 3, s[6:7]
	v_lshl_add_u64 v[0:1], v[0:1], 3, s[6:7]
	s_waitcnt lgkmcnt(0)
	global_store_dwordx2 v[2:3], v[6:7], off
	global_store_dwordx2 v[0:1], v[4:5], off
.LBB194_36:
	s_endpgm
	.section	.rodata,"a",@progbits
	.p2align	6, 0x0
	.amdhsa_kernel _ZN9rocsparseL33gtsv_solve_spike_propagate_kernelILj256ELj2E21rocsparse_complex_numIfEEEviiiPT1_PKS3_S6_S6_
		.amdhsa_group_segment_fixed_size 12304
		.amdhsa_private_segment_fixed_size 0
		.amdhsa_kernarg_size 304
		.amdhsa_user_sgpr_count 2
		.amdhsa_user_sgpr_dispatch_ptr 0
		.amdhsa_user_sgpr_queue_ptr 0
		.amdhsa_user_sgpr_kernarg_segment_ptr 1
		.amdhsa_user_sgpr_dispatch_id 0
		.amdhsa_user_sgpr_kernarg_preload_length 0
		.amdhsa_user_sgpr_kernarg_preload_offset 0
		.amdhsa_user_sgpr_private_segment_size 0
		.amdhsa_uses_dynamic_stack 0
		.amdhsa_enable_private_segment 0
		.amdhsa_system_sgpr_workgroup_id_x 1
		.amdhsa_system_sgpr_workgroup_id_y 1
		.amdhsa_system_sgpr_workgroup_id_z 0
		.amdhsa_system_sgpr_workgroup_info 0
		.amdhsa_system_vgpr_workitem_id 0
		.amdhsa_next_free_vgpr 22
		.amdhsa_next_free_sgpr 18
		.amdhsa_accum_offset 24
		.amdhsa_reserve_vcc 1
		.amdhsa_float_round_mode_32 0
		.amdhsa_float_round_mode_16_64 0
		.amdhsa_float_denorm_mode_32 3
		.amdhsa_float_denorm_mode_16_64 3
		.amdhsa_dx10_clamp 1
		.amdhsa_ieee_mode 1
		.amdhsa_fp16_overflow 0
		.amdhsa_tg_split 0
		.amdhsa_exception_fp_ieee_invalid_op 0
		.amdhsa_exception_fp_denorm_src 0
		.amdhsa_exception_fp_ieee_div_zero 0
		.amdhsa_exception_fp_ieee_overflow 0
		.amdhsa_exception_fp_ieee_underflow 0
		.amdhsa_exception_fp_ieee_inexact 0
		.amdhsa_exception_int_div_zero 0
	.end_amdhsa_kernel
	.section	.text._ZN9rocsparseL33gtsv_solve_spike_propagate_kernelILj256ELj2E21rocsparse_complex_numIfEEEviiiPT1_PKS3_S6_S6_,"axG",@progbits,_ZN9rocsparseL33gtsv_solve_spike_propagate_kernelILj256ELj2E21rocsparse_complex_numIfEEEviiiPT1_PKS3_S6_S6_,comdat
.Lfunc_end194:
	.size	_ZN9rocsparseL33gtsv_solve_spike_propagate_kernelILj256ELj2E21rocsparse_complex_numIfEEEviiiPT1_PKS3_S6_S6_, .Lfunc_end194-_ZN9rocsparseL33gtsv_solve_spike_propagate_kernelILj256ELj2E21rocsparse_complex_numIfEEEviiiPT1_PKS3_S6_S6_
                                        ; -- End function
	.set _ZN9rocsparseL33gtsv_solve_spike_propagate_kernelILj256ELj2E21rocsparse_complex_numIfEEEviiiPT1_PKS3_S6_S6_.num_vgpr, 22
	.set _ZN9rocsparseL33gtsv_solve_spike_propagate_kernelILj256ELj2E21rocsparse_complex_numIfEEEviiiPT1_PKS3_S6_S6_.num_agpr, 0
	.set _ZN9rocsparseL33gtsv_solve_spike_propagate_kernelILj256ELj2E21rocsparse_complex_numIfEEEviiiPT1_PKS3_S6_S6_.numbered_sgpr, 18
	.set _ZN9rocsparseL33gtsv_solve_spike_propagate_kernelILj256ELj2E21rocsparse_complex_numIfEEEviiiPT1_PKS3_S6_S6_.num_named_barrier, 0
	.set _ZN9rocsparseL33gtsv_solve_spike_propagate_kernelILj256ELj2E21rocsparse_complex_numIfEEEviiiPT1_PKS3_S6_S6_.private_seg_size, 0
	.set _ZN9rocsparseL33gtsv_solve_spike_propagate_kernelILj256ELj2E21rocsparse_complex_numIfEEEviiiPT1_PKS3_S6_S6_.uses_vcc, 1
	.set _ZN9rocsparseL33gtsv_solve_spike_propagate_kernelILj256ELj2E21rocsparse_complex_numIfEEEviiiPT1_PKS3_S6_S6_.uses_flat_scratch, 0
	.set _ZN9rocsparseL33gtsv_solve_spike_propagate_kernelILj256ELj2E21rocsparse_complex_numIfEEEviiiPT1_PKS3_S6_S6_.has_dyn_sized_stack, 0
	.set _ZN9rocsparseL33gtsv_solve_spike_propagate_kernelILj256ELj2E21rocsparse_complex_numIfEEEviiiPT1_PKS3_S6_S6_.has_recursion, 0
	.set _ZN9rocsparseL33gtsv_solve_spike_propagate_kernelILj256ELj2E21rocsparse_complex_numIfEEEviiiPT1_PKS3_S6_S6_.has_indirect_call, 0
	.section	.AMDGPU.csdata,"",@progbits
; Kernel info:
; codeLenInByte = 3056
; TotalNumSgprs: 24
; NumVgprs: 22
; NumAgprs: 0
; TotalNumVgprs: 22
; ScratchSize: 0
; MemoryBound: 0
; FloatMode: 240
; IeeeMode: 1
; LDSByteSize: 12304 bytes/workgroup (compile time only)
; SGPRBlocks: 2
; VGPRBlocks: 2
; NumSGPRsForWavesPerEU: 24
; NumVGPRsForWavesPerEU: 22
; AccumOffset: 24
; Occupancy: 8
; WaveLimiterHint : 0
; COMPUTE_PGM_RSRC2:SCRATCH_EN: 0
; COMPUTE_PGM_RSRC2:USER_SGPR: 2
; COMPUTE_PGM_RSRC2:TRAP_HANDLER: 0
; COMPUTE_PGM_RSRC2:TGID_X_EN: 1
; COMPUTE_PGM_RSRC2:TGID_Y_EN: 1
; COMPUTE_PGM_RSRC2:TGID_Z_EN: 0
; COMPUTE_PGM_RSRC2:TIDIG_COMP_CNT: 0
; COMPUTE_PGM_RSRC3_GFX90A:ACCUM_OFFSET: 5
; COMPUTE_PGM_RSRC3_GFX90A:TG_SPLIT: 0
	.section	.text._ZN9rocsparseL39gtsv_spike_backward_substitution_kernelILj256ELj2E21rocsparse_complex_numIfEEEviiiPT1_PKS3_S6_,"axG",@progbits,_ZN9rocsparseL39gtsv_spike_backward_substitution_kernelILj256ELj2E21rocsparse_complex_numIfEEEviiiPT1_PKS3_S6_,comdat
	.globl	_ZN9rocsparseL39gtsv_spike_backward_substitution_kernelILj256ELj2E21rocsparse_complex_numIfEEEviiiPT1_PKS3_S6_ ; -- Begin function _ZN9rocsparseL39gtsv_spike_backward_substitution_kernelILj256ELj2E21rocsparse_complex_numIfEEEviiiPT1_PKS3_S6_
	.p2align	8
	.type	_ZN9rocsparseL39gtsv_spike_backward_substitution_kernelILj256ELj2E21rocsparse_complex_numIfEEEviiiPT1_PKS3_S6_,@function
_ZN9rocsparseL39gtsv_spike_backward_substitution_kernelILj256ELj2E21rocsparse_complex_numIfEEEviiiPT1_PKS3_S6_: ; @_ZN9rocsparseL39gtsv_spike_backward_substitution_kernelILj256ELj2E21rocsparse_complex_numIfEEEviiiPT1_PKS3_S6_
; %bb.0:
	s_endpgm
	.section	.rodata,"a",@progbits
	.p2align	6, 0x0
	.amdhsa_kernel _ZN9rocsparseL39gtsv_spike_backward_substitution_kernelILj256ELj2E21rocsparse_complex_numIfEEEviiiPT1_PKS3_S6_
		.amdhsa_group_segment_fixed_size 0
		.amdhsa_private_segment_fixed_size 0
		.amdhsa_kernarg_size 40
		.amdhsa_user_sgpr_count 2
		.amdhsa_user_sgpr_dispatch_ptr 0
		.amdhsa_user_sgpr_queue_ptr 0
		.amdhsa_user_sgpr_kernarg_segment_ptr 1
		.amdhsa_user_sgpr_dispatch_id 0
		.amdhsa_user_sgpr_kernarg_preload_length 0
		.amdhsa_user_sgpr_kernarg_preload_offset 0
		.amdhsa_user_sgpr_private_segment_size 0
		.amdhsa_uses_dynamic_stack 0
		.amdhsa_enable_private_segment 0
		.amdhsa_system_sgpr_workgroup_id_x 1
		.amdhsa_system_sgpr_workgroup_id_y 0
		.amdhsa_system_sgpr_workgroup_id_z 0
		.amdhsa_system_sgpr_workgroup_info 0
		.amdhsa_system_vgpr_workitem_id 0
		.amdhsa_next_free_vgpr 1
		.amdhsa_next_free_sgpr 0
		.amdhsa_accum_offset 4
		.amdhsa_reserve_vcc 0
		.amdhsa_float_round_mode_32 0
		.amdhsa_float_round_mode_16_64 0
		.amdhsa_float_denorm_mode_32 3
		.amdhsa_float_denorm_mode_16_64 3
		.amdhsa_dx10_clamp 1
		.amdhsa_ieee_mode 1
		.amdhsa_fp16_overflow 0
		.amdhsa_tg_split 0
		.amdhsa_exception_fp_ieee_invalid_op 0
		.amdhsa_exception_fp_denorm_src 0
		.amdhsa_exception_fp_ieee_div_zero 0
		.amdhsa_exception_fp_ieee_overflow 0
		.amdhsa_exception_fp_ieee_underflow 0
		.amdhsa_exception_fp_ieee_inexact 0
		.amdhsa_exception_int_div_zero 0
	.end_amdhsa_kernel
	.section	.text._ZN9rocsparseL39gtsv_spike_backward_substitution_kernelILj256ELj2E21rocsparse_complex_numIfEEEviiiPT1_PKS3_S6_,"axG",@progbits,_ZN9rocsparseL39gtsv_spike_backward_substitution_kernelILj256ELj2E21rocsparse_complex_numIfEEEviiiPT1_PKS3_S6_,comdat
.Lfunc_end195:
	.size	_ZN9rocsparseL39gtsv_spike_backward_substitution_kernelILj256ELj2E21rocsparse_complex_numIfEEEviiiPT1_PKS3_S6_, .Lfunc_end195-_ZN9rocsparseL39gtsv_spike_backward_substitution_kernelILj256ELj2E21rocsparse_complex_numIfEEEviiiPT1_PKS3_S6_
                                        ; -- End function
	.set _ZN9rocsparseL39gtsv_spike_backward_substitution_kernelILj256ELj2E21rocsparse_complex_numIfEEEviiiPT1_PKS3_S6_.num_vgpr, 0
	.set _ZN9rocsparseL39gtsv_spike_backward_substitution_kernelILj256ELj2E21rocsparse_complex_numIfEEEviiiPT1_PKS3_S6_.num_agpr, 0
	.set _ZN9rocsparseL39gtsv_spike_backward_substitution_kernelILj256ELj2E21rocsparse_complex_numIfEEEviiiPT1_PKS3_S6_.numbered_sgpr, 0
	.set _ZN9rocsparseL39gtsv_spike_backward_substitution_kernelILj256ELj2E21rocsparse_complex_numIfEEEviiiPT1_PKS3_S6_.num_named_barrier, 0
	.set _ZN9rocsparseL39gtsv_spike_backward_substitution_kernelILj256ELj2E21rocsparse_complex_numIfEEEviiiPT1_PKS3_S6_.private_seg_size, 0
	.set _ZN9rocsparseL39gtsv_spike_backward_substitution_kernelILj256ELj2E21rocsparse_complex_numIfEEEviiiPT1_PKS3_S6_.uses_vcc, 0
	.set _ZN9rocsparseL39gtsv_spike_backward_substitution_kernelILj256ELj2E21rocsparse_complex_numIfEEEviiiPT1_PKS3_S6_.uses_flat_scratch, 0
	.set _ZN9rocsparseL39gtsv_spike_backward_substitution_kernelILj256ELj2E21rocsparse_complex_numIfEEEviiiPT1_PKS3_S6_.has_dyn_sized_stack, 0
	.set _ZN9rocsparseL39gtsv_spike_backward_substitution_kernelILj256ELj2E21rocsparse_complex_numIfEEEviiiPT1_PKS3_S6_.has_recursion, 0
	.set _ZN9rocsparseL39gtsv_spike_backward_substitution_kernelILj256ELj2E21rocsparse_complex_numIfEEEviiiPT1_PKS3_S6_.has_indirect_call, 0
	.section	.AMDGPU.csdata,"",@progbits
; Kernel info:
; codeLenInByte = 4
; TotalNumSgprs: 6
; NumVgprs: 0
; NumAgprs: 0
; TotalNumVgprs: 0
; ScratchSize: 0
; MemoryBound: 0
; FloatMode: 240
; IeeeMode: 1
; LDSByteSize: 0 bytes/workgroup (compile time only)
; SGPRBlocks: 0
; VGPRBlocks: 0
; NumSGPRsForWavesPerEU: 6
; NumVGPRsForWavesPerEU: 1
; AccumOffset: 4
; Occupancy: 8
; WaveLimiterHint : 0
; COMPUTE_PGM_RSRC2:SCRATCH_EN: 0
; COMPUTE_PGM_RSRC2:USER_SGPR: 2
; COMPUTE_PGM_RSRC2:TRAP_HANDLER: 0
; COMPUTE_PGM_RSRC2:TGID_X_EN: 1
; COMPUTE_PGM_RSRC2:TGID_Y_EN: 0
; COMPUTE_PGM_RSRC2:TGID_Z_EN: 0
; COMPUTE_PGM_RSRC2:TIDIG_COMP_CNT: 0
; COMPUTE_PGM_RSRC3_GFX90A:ACCUM_OFFSET: 0
; COMPUTE_PGM_RSRC3_GFX90A:TG_SPLIT: 0
	.section	.text._ZN9rocsparseL32gtsv_transpose_back_array_kernelILj256ELj2E21rocsparse_complex_numIfEEEviiiPKT1_PS3_,"axG",@progbits,_ZN9rocsparseL32gtsv_transpose_back_array_kernelILj256ELj2E21rocsparse_complex_numIfEEEviiiPKT1_PS3_,comdat
	.globl	_ZN9rocsparseL32gtsv_transpose_back_array_kernelILj256ELj2E21rocsparse_complex_numIfEEEviiiPKT1_PS3_ ; -- Begin function _ZN9rocsparseL32gtsv_transpose_back_array_kernelILj256ELj2E21rocsparse_complex_numIfEEEviiiPKT1_PS3_
	.p2align	8
	.type	_ZN9rocsparseL32gtsv_transpose_back_array_kernelILj256ELj2E21rocsparse_complex_numIfEEEviiiPKT1_PS3_,@function
_ZN9rocsparseL32gtsv_transpose_back_array_kernelILj256ELj2E21rocsparse_complex_numIfEEEviiiPKT1_PS3_: ; @_ZN9rocsparseL32gtsv_transpose_back_array_kernelILj256ELj2E21rocsparse_complex_numIfEEEviiiPKT1_PS3_
; %bb.0:
	s_load_dwordx4 s[4:7], s[0:1], 0x0
	v_lshl_or_b32 v0, s2, 8, v0
	v_lshlrev_b32_e32 v2, 1, v0
	s_waitcnt lgkmcnt(0)
	v_cvt_f32_u32_e32 v1, s5
	s_sub_i32 s2, 0, s5
	v_rcp_iflag_f32_e32 v1, v1
	s_nop 0
	v_mul_f32_e32 v1, 0x4f7ffffe, v1
	v_cvt_u32_f32_e32 v1, v1
	v_mul_lo_u32 v3, s2, v1
	v_mul_hi_u32 v3, v1, v3
	v_add_u32_e32 v1, v1, v3
	v_mul_hi_u32 v1, v2, v1
	v_mul_lo_u32 v3, v1, s5
	v_sub_u32_e32 v3, v2, v3
	v_add_u32_e32 v4, 1, v1
	v_cmp_le_u32_e32 vcc, s5, v3
	s_nop 1
	v_cndmask_b32_e32 v1, v1, v4, vcc
	v_subrev_u32_e32 v4, s5, v3
	v_cndmask_b32_e32 v3, v3, v4, vcc
	v_add_u32_e32 v4, 1, v1
	v_cmp_le_u32_e32 vcc, s5, v3
	s_nop 1
	v_cndmask_b32_e32 v1, v1, v4, vcc
	v_mul_lo_u32 v3, v1, s5
	v_sub_u32_e32 v2, v2, v3
	v_add_u32_e32 v1, v1, v2
	v_cmp_gt_i32_e32 vcc, s4, v1
	s_and_saveexec_b64 s[8:9], vcc
	s_cbranch_execz .LBB196_2
; %bb.1:
	s_load_dwordx4 s[8:11], s[0:1], 0x10
	s_mul_i32 s0, s5, s3
	v_add_u32_e32 v2, s0, v0
	v_ashrrev_i32_e32 v3, 31, v2
	s_mul_i32 s0, s6, s3
	s_waitcnt lgkmcnt(0)
	v_lshl_add_u64 v[2:3], v[2:3], 3, s[8:9]
	global_load_dwordx2 v[2:3], v[2:3], off
	v_add_u32_e32 v0, s0, v1
	v_ashrrev_i32_e32 v1, 31, v0
	v_lshl_add_u64 v[0:1], v[0:1], 3, s[10:11]
	s_waitcnt vmcnt(0)
	global_store_dwordx2 v[0:1], v[2:3], off
.LBB196_2:
	s_endpgm
	.section	.rodata,"a",@progbits
	.p2align	6, 0x0
	.amdhsa_kernel _ZN9rocsparseL32gtsv_transpose_back_array_kernelILj256ELj2E21rocsparse_complex_numIfEEEviiiPKT1_PS3_
		.amdhsa_group_segment_fixed_size 0
		.amdhsa_private_segment_fixed_size 0
		.amdhsa_kernarg_size 32
		.amdhsa_user_sgpr_count 2
		.amdhsa_user_sgpr_dispatch_ptr 0
		.amdhsa_user_sgpr_queue_ptr 0
		.amdhsa_user_sgpr_kernarg_segment_ptr 1
		.amdhsa_user_sgpr_dispatch_id 0
		.amdhsa_user_sgpr_kernarg_preload_length 0
		.amdhsa_user_sgpr_kernarg_preload_offset 0
		.amdhsa_user_sgpr_private_segment_size 0
		.amdhsa_uses_dynamic_stack 0
		.amdhsa_enable_private_segment 0
		.amdhsa_system_sgpr_workgroup_id_x 1
		.amdhsa_system_sgpr_workgroup_id_y 1
		.amdhsa_system_sgpr_workgroup_id_z 0
		.amdhsa_system_sgpr_workgroup_info 0
		.amdhsa_system_vgpr_workitem_id 0
		.amdhsa_next_free_vgpr 5
		.amdhsa_next_free_sgpr 12
		.amdhsa_accum_offset 8
		.amdhsa_reserve_vcc 1
		.amdhsa_float_round_mode_32 0
		.amdhsa_float_round_mode_16_64 0
		.amdhsa_float_denorm_mode_32 3
		.amdhsa_float_denorm_mode_16_64 3
		.amdhsa_dx10_clamp 1
		.amdhsa_ieee_mode 1
		.amdhsa_fp16_overflow 0
		.amdhsa_tg_split 0
		.amdhsa_exception_fp_ieee_invalid_op 0
		.amdhsa_exception_fp_denorm_src 0
		.amdhsa_exception_fp_ieee_div_zero 0
		.amdhsa_exception_fp_ieee_overflow 0
		.amdhsa_exception_fp_ieee_underflow 0
		.amdhsa_exception_fp_ieee_inexact 0
		.amdhsa_exception_int_div_zero 0
	.end_amdhsa_kernel
	.section	.text._ZN9rocsparseL32gtsv_transpose_back_array_kernelILj256ELj2E21rocsparse_complex_numIfEEEviiiPKT1_PS3_,"axG",@progbits,_ZN9rocsparseL32gtsv_transpose_back_array_kernelILj256ELj2E21rocsparse_complex_numIfEEEviiiPKT1_PS3_,comdat
.Lfunc_end196:
	.size	_ZN9rocsparseL32gtsv_transpose_back_array_kernelILj256ELj2E21rocsparse_complex_numIfEEEviiiPKT1_PS3_, .Lfunc_end196-_ZN9rocsparseL32gtsv_transpose_back_array_kernelILj256ELj2E21rocsparse_complex_numIfEEEviiiPKT1_PS3_
                                        ; -- End function
	.set _ZN9rocsparseL32gtsv_transpose_back_array_kernelILj256ELj2E21rocsparse_complex_numIfEEEviiiPKT1_PS3_.num_vgpr, 5
	.set _ZN9rocsparseL32gtsv_transpose_back_array_kernelILj256ELj2E21rocsparse_complex_numIfEEEviiiPKT1_PS3_.num_agpr, 0
	.set _ZN9rocsparseL32gtsv_transpose_back_array_kernelILj256ELj2E21rocsparse_complex_numIfEEEviiiPKT1_PS3_.numbered_sgpr, 12
	.set _ZN9rocsparseL32gtsv_transpose_back_array_kernelILj256ELj2E21rocsparse_complex_numIfEEEviiiPKT1_PS3_.num_named_barrier, 0
	.set _ZN9rocsparseL32gtsv_transpose_back_array_kernelILj256ELj2E21rocsparse_complex_numIfEEEviiiPKT1_PS3_.private_seg_size, 0
	.set _ZN9rocsparseL32gtsv_transpose_back_array_kernelILj256ELj2E21rocsparse_complex_numIfEEEviiiPKT1_PS3_.uses_vcc, 1
	.set _ZN9rocsparseL32gtsv_transpose_back_array_kernelILj256ELj2E21rocsparse_complex_numIfEEEviiiPKT1_PS3_.uses_flat_scratch, 0
	.set _ZN9rocsparseL32gtsv_transpose_back_array_kernelILj256ELj2E21rocsparse_complex_numIfEEEviiiPKT1_PS3_.has_dyn_sized_stack, 0
	.set _ZN9rocsparseL32gtsv_transpose_back_array_kernelILj256ELj2E21rocsparse_complex_numIfEEEviiiPKT1_PS3_.has_recursion, 0
	.set _ZN9rocsparseL32gtsv_transpose_back_array_kernelILj256ELj2E21rocsparse_complex_numIfEEEviiiPKT1_PS3_.has_indirect_call, 0
	.section	.AMDGPU.csdata,"",@progbits
; Kernel info:
; codeLenInByte = 236
; TotalNumSgprs: 18
; NumVgprs: 5
; NumAgprs: 0
; TotalNumVgprs: 5
; ScratchSize: 0
; MemoryBound: 0
; FloatMode: 240
; IeeeMode: 1
; LDSByteSize: 0 bytes/workgroup (compile time only)
; SGPRBlocks: 2
; VGPRBlocks: 0
; NumSGPRsForWavesPerEU: 18
; NumVGPRsForWavesPerEU: 5
; AccumOffset: 8
; Occupancy: 8
; WaveLimiterHint : 0
; COMPUTE_PGM_RSRC2:SCRATCH_EN: 0
; COMPUTE_PGM_RSRC2:USER_SGPR: 2
; COMPUTE_PGM_RSRC2:TRAP_HANDLER: 0
; COMPUTE_PGM_RSRC2:TGID_X_EN: 1
; COMPUTE_PGM_RSRC2:TGID_Y_EN: 1
; COMPUTE_PGM_RSRC2:TGID_Z_EN: 0
; COMPUTE_PGM_RSRC2:TIDIG_COMP_CNT: 0
; COMPUTE_PGM_RSRC3_GFX90A:ACCUM_OFFSET: 1
; COMPUTE_PGM_RSRC3_GFX90A:TG_SPLIT: 0
	.section	.text._ZN9rocsparseL42gtsv_transpose_and_pad_array_shared_kernelILj256ELj4E21rocsparse_complex_numIfEEEviiiPKT1_PS3_S3_,"axG",@progbits,_ZN9rocsparseL42gtsv_transpose_and_pad_array_shared_kernelILj256ELj4E21rocsparse_complex_numIfEEEviiiPKT1_PS3_S3_,comdat
	.globl	_ZN9rocsparseL42gtsv_transpose_and_pad_array_shared_kernelILj256ELj4E21rocsparse_complex_numIfEEEviiiPKT1_PS3_S3_ ; -- Begin function _ZN9rocsparseL42gtsv_transpose_and_pad_array_shared_kernelILj256ELj4E21rocsparse_complex_numIfEEEviiiPKT1_PS3_S3_
	.p2align	8
	.type	_ZN9rocsparseL42gtsv_transpose_and_pad_array_shared_kernelILj256ELj4E21rocsparse_complex_numIfEEEviiiPKT1_PS3_S3_,@function
_ZN9rocsparseL42gtsv_transpose_and_pad_array_shared_kernelILj256ELj4E21rocsparse_complex_numIfEEEviiiPKT1_PS3_S3_: ; @_ZN9rocsparseL42gtsv_transpose_and_pad_array_shared_kernelILj256ELj4E21rocsparse_complex_numIfEEEviiiPKT1_PS3_S3_
; %bb.0:
	s_load_dwordx4 s[4:7], s[0:1], 0x0
	v_lshl_or_b32 v1, s2, 8, v0
                                        ; implicit-def: $sgpr10_sgpr11
	s_waitcnt lgkmcnt(0)
	v_cmp_le_i32_e32 vcc, s4, v1
	s_and_saveexec_b64 s[8:9], vcc
	s_xor_b64 s[8:9], exec, s[8:9]
; %bb.1:
	s_load_dwordx2 s[10:11], s[0:1], 0x20
                                        ; implicit-def: $vgpr1
; %bb.2:
	s_or_saveexec_b64 s[8:9], s[8:9]
	s_waitcnt lgkmcnt(0)
	v_mov_b64_e32 v[4:5], s[10:11]
	s_xor_b64 exec, exec, s[8:9]
	s_cbranch_execz .LBB197_4
; %bb.3:
	s_load_dwordx2 s[10:11], s[0:1], 0x10
	s_mul_i32 s4, s6, s3
	v_add_u32_e32 v2, s4, v1
	v_ashrrev_i32_e32 v3, 31, v2
	s_waitcnt lgkmcnt(0)
	v_lshl_add_u64 v[2:3], v[2:3], 3, s[10:11]
	global_load_dwordx2 v[4:5], v[2:3], off
.LBB197_4:
	s_or_b64 exec, exec, s[8:9]
	v_lshrrev_b32_e32 v2, 6, v0
	v_and_b32_e32 v3, 63, v0
	v_lshlrev_b32_e32 v0, 3, v0
	s_waitcnt vmcnt(0)
	ds_write_b64 v0, v[4:5]
	s_lshr_b32 s4, s5, 2
	v_lshl_or_b32 v0, s2, 6, v3
	v_mad_u64_u32 v[0:1], s[6:7], s4, v2, v[0:1]
	v_cmp_gt_i32_e32 vcc, s5, v0
	s_waitcnt lgkmcnt(0)
	s_barrier
	s_and_saveexec_b64 s[6:7], vcc
	s_cbranch_execz .LBB197_6
; %bb.5:
	v_lshlrev_b32_e32 v1, 3, v2
	s_load_dwordx2 s[0:1], s[0:1], 0x18
	v_lshl_or_b32 v1, v3, 5, v1
	ds_read_b64 v[2:3], v1
	s_mul_i32 s2, s5, s3
	v_add_u32_e32 v0, s2, v0
	v_ashrrev_i32_e32 v1, 31, v0
	s_waitcnt lgkmcnt(0)
	v_lshl_add_u64 v[0:1], v[0:1], 3, s[0:1]
	global_store_dwordx2 v[0:1], v[2:3], off
.LBB197_6:
	s_endpgm
	.section	.rodata,"a",@progbits
	.p2align	6, 0x0
	.amdhsa_kernel _ZN9rocsparseL42gtsv_transpose_and_pad_array_shared_kernelILj256ELj4E21rocsparse_complex_numIfEEEviiiPKT1_PS3_S3_
		.amdhsa_group_segment_fixed_size 2048
		.amdhsa_private_segment_fixed_size 0
		.amdhsa_kernarg_size 40
		.amdhsa_user_sgpr_count 2
		.amdhsa_user_sgpr_dispatch_ptr 0
		.amdhsa_user_sgpr_queue_ptr 0
		.amdhsa_user_sgpr_kernarg_segment_ptr 1
		.amdhsa_user_sgpr_dispatch_id 0
		.amdhsa_user_sgpr_kernarg_preload_length 0
		.amdhsa_user_sgpr_kernarg_preload_offset 0
		.amdhsa_user_sgpr_private_segment_size 0
		.amdhsa_uses_dynamic_stack 0
		.amdhsa_enable_private_segment 0
		.amdhsa_system_sgpr_workgroup_id_x 1
		.amdhsa_system_sgpr_workgroup_id_y 1
		.amdhsa_system_sgpr_workgroup_id_z 0
		.amdhsa_system_sgpr_workgroup_info 0
		.amdhsa_system_vgpr_workitem_id 0
		.amdhsa_next_free_vgpr 6
		.amdhsa_next_free_sgpr 12
		.amdhsa_accum_offset 8
		.amdhsa_reserve_vcc 1
		.amdhsa_float_round_mode_32 0
		.amdhsa_float_round_mode_16_64 0
		.amdhsa_float_denorm_mode_32 3
		.amdhsa_float_denorm_mode_16_64 3
		.amdhsa_dx10_clamp 1
		.amdhsa_ieee_mode 1
		.amdhsa_fp16_overflow 0
		.amdhsa_tg_split 0
		.amdhsa_exception_fp_ieee_invalid_op 0
		.amdhsa_exception_fp_denorm_src 0
		.amdhsa_exception_fp_ieee_div_zero 0
		.amdhsa_exception_fp_ieee_overflow 0
		.amdhsa_exception_fp_ieee_underflow 0
		.amdhsa_exception_fp_ieee_inexact 0
		.amdhsa_exception_int_div_zero 0
	.end_amdhsa_kernel
	.section	.text._ZN9rocsparseL42gtsv_transpose_and_pad_array_shared_kernelILj256ELj4E21rocsparse_complex_numIfEEEviiiPKT1_PS3_S3_,"axG",@progbits,_ZN9rocsparseL42gtsv_transpose_and_pad_array_shared_kernelILj256ELj4E21rocsparse_complex_numIfEEEviiiPKT1_PS3_S3_,comdat
.Lfunc_end197:
	.size	_ZN9rocsparseL42gtsv_transpose_and_pad_array_shared_kernelILj256ELj4E21rocsparse_complex_numIfEEEviiiPKT1_PS3_S3_, .Lfunc_end197-_ZN9rocsparseL42gtsv_transpose_and_pad_array_shared_kernelILj256ELj4E21rocsparse_complex_numIfEEEviiiPKT1_PS3_S3_
                                        ; -- End function
	.set _ZN9rocsparseL42gtsv_transpose_and_pad_array_shared_kernelILj256ELj4E21rocsparse_complex_numIfEEEviiiPKT1_PS3_S3_.num_vgpr, 6
	.set _ZN9rocsparseL42gtsv_transpose_and_pad_array_shared_kernelILj256ELj4E21rocsparse_complex_numIfEEEviiiPKT1_PS3_S3_.num_agpr, 0
	.set _ZN9rocsparseL42gtsv_transpose_and_pad_array_shared_kernelILj256ELj4E21rocsparse_complex_numIfEEEviiiPKT1_PS3_S3_.numbered_sgpr, 12
	.set _ZN9rocsparseL42gtsv_transpose_and_pad_array_shared_kernelILj256ELj4E21rocsparse_complex_numIfEEEviiiPKT1_PS3_S3_.num_named_barrier, 0
	.set _ZN9rocsparseL42gtsv_transpose_and_pad_array_shared_kernelILj256ELj4E21rocsparse_complex_numIfEEEviiiPKT1_PS3_S3_.private_seg_size, 0
	.set _ZN9rocsparseL42gtsv_transpose_and_pad_array_shared_kernelILj256ELj4E21rocsparse_complex_numIfEEEviiiPKT1_PS3_S3_.uses_vcc, 1
	.set _ZN9rocsparseL42gtsv_transpose_and_pad_array_shared_kernelILj256ELj4E21rocsparse_complex_numIfEEEviiiPKT1_PS3_S3_.uses_flat_scratch, 0
	.set _ZN9rocsparseL42gtsv_transpose_and_pad_array_shared_kernelILj256ELj4E21rocsparse_complex_numIfEEEviiiPKT1_PS3_S3_.has_dyn_sized_stack, 0
	.set _ZN9rocsparseL42gtsv_transpose_and_pad_array_shared_kernelILj256ELj4E21rocsparse_complex_numIfEEEviiiPKT1_PS3_S3_.has_recursion, 0
	.set _ZN9rocsparseL42gtsv_transpose_and_pad_array_shared_kernelILj256ELj4E21rocsparse_complex_numIfEEEviiiPKT1_PS3_S3_.has_indirect_call, 0
	.section	.AMDGPU.csdata,"",@progbits
; Kernel info:
; codeLenInByte = 232
; TotalNumSgprs: 18
; NumVgprs: 6
; NumAgprs: 0
; TotalNumVgprs: 6
; ScratchSize: 0
; MemoryBound: 0
; FloatMode: 240
; IeeeMode: 1
; LDSByteSize: 2048 bytes/workgroup (compile time only)
; SGPRBlocks: 2
; VGPRBlocks: 0
; NumSGPRsForWavesPerEU: 18
; NumVGPRsForWavesPerEU: 6
; AccumOffset: 8
; Occupancy: 8
; WaveLimiterHint : 0
; COMPUTE_PGM_RSRC2:SCRATCH_EN: 0
; COMPUTE_PGM_RSRC2:USER_SGPR: 2
; COMPUTE_PGM_RSRC2:TRAP_HANDLER: 0
; COMPUTE_PGM_RSRC2:TGID_X_EN: 1
; COMPUTE_PGM_RSRC2:TGID_Y_EN: 1
; COMPUTE_PGM_RSRC2:TGID_Z_EN: 0
; COMPUTE_PGM_RSRC2:TIDIG_COMP_CNT: 0
; COMPUTE_PGM_RSRC3_GFX90A:ACCUM_OFFSET: 1
; COMPUTE_PGM_RSRC3_GFX90A:TG_SPLIT: 0
	.section	.text._ZN9rocsparseL18gtsv_LBM_wv_kernelILj256ELj4E21rocsparse_complex_numIfEEEviiiPKT1_S5_S5_PS3_S6_S6_Pi,"axG",@progbits,_ZN9rocsparseL18gtsv_LBM_wv_kernelILj256ELj4E21rocsparse_complex_numIfEEEviiiPKT1_S5_S5_PS3_S6_S6_Pi,comdat
	.globl	_ZN9rocsparseL18gtsv_LBM_wv_kernelILj256ELj4E21rocsparse_complex_numIfEEEviiiPKT1_S5_S5_PS3_S6_S6_Pi ; -- Begin function _ZN9rocsparseL18gtsv_LBM_wv_kernelILj256ELj4E21rocsparse_complex_numIfEEEviiiPKT1_S5_S5_PS3_S6_S6_Pi
	.p2align	8
	.type	_ZN9rocsparseL18gtsv_LBM_wv_kernelILj256ELj4E21rocsparse_complex_numIfEEEviiiPKT1_S5_S5_PS3_S6_S6_Pi,@function
_ZN9rocsparseL18gtsv_LBM_wv_kernelILj256ELj4E21rocsparse_complex_numIfEEEviiiPKT1_S5_S5_PS3_S6_S6_Pi: ; @_ZN9rocsparseL18gtsv_LBM_wv_kernelILj256ELj4E21rocsparse_complex_numIfEEEviiiPKT1_S5_S5_PS3_S6_S6_Pi
; %bb.0:
	s_load_dword s29, s[0:1], 0x0
	v_lshl_or_b32 v0, s2, 8, v0
	s_waitcnt lgkmcnt(0)
	s_lshr_b32 s28, s29, 2
	v_cmp_gt_i32_e32 vcc, s28, v0
	s_and_saveexec_b64 s[2:3], vcc
	s_cbranch_execz .LBB198_72
; %bb.1:
	s_load_dwordx2 s[16:17], s[0:1], 0x10
	s_load_dwordx8 s[8:15], s[0:1], 0x20
	v_ashrrev_i32_e32 v1, 31, v0
	s_mul_i32 s30, s28, 3
	v_lshlrev_b64 v[2:3], 3, v[0:1]
	v_add_u32_e32 v6, s30, v0
	v_mov_b32_e32 v7, 0
	s_waitcnt lgkmcnt(0)
	v_lshl_add_u64 v[4:5], s[16:17], 0, v[2:3]
	v_lshlrev_b64 v[8:9], 3, v[6:7]
	global_load_dwordx2 v[4:5], v[4:5], off
	v_lshl_add_u64 v[10:11], s[8:9], 0, v[8:9]
	global_load_dwordx2 v[10:11], v[10:11], off
	s_load_dwordx2 s[6:7], s[0:1], 0x40
	v_lshl_add_u64 v[2:3], s[10:11], 0, v[2:3]
	s_cmp_lt_i32 s29, 1
	v_add_u32_e32 v46, s28, v0
	v_lshl_add_u64 v[8:9], s[12:13], 0, v[8:9]
	s_waitcnt vmcnt(1)
	global_store_dwordx2 v[2:3], v[4:5], off
	s_waitcnt vmcnt(1)
	global_store_dwordx2 v[8:9], v[10:11], off
	v_mov_b32_e32 v4, v7
	s_cbranch_scc1 .LBB198_65
; %bb.2:
	s_load_dwordx2 s[18:19], s[0:1], 0x18
	s_mov_b32 s22, 0x372fe950
	s_lshl_b32 s31, s28, 1
	v_mov_b32_e32 v50, 0
	s_mov_b64 s[20:21], 0
	s_waitcnt lgkmcnt(0)
	v_lshl_add_u64 v[4:5], v[0:1], 3, s[18:19]
	global_load_dwordx2 v[6:7], v[4:5], off
	v_add_u32_e32 v1, s28, v46
	s_mov_b32 s33, 0xf800000
	v_mov_b32_e32 v47, 0x260
	s_mov_b32 s23, 0x3fe3c6ef
	v_mov_b32_e32 v48, 2
	v_mov_b32_e32 v49, 1
	;; [unrolled: 1-line block ×3, first 2 shown]
	s_branch .LBB198_5
.LBB198_3:                              ;   in Loop: Header=BB198_5 Depth=1
	s_or_b64 exec, exec, s[4:5]
	v_xor_b32_e32 v8, 0x80000000, v25
	v_mov_b32_e32 v9, v24
	v_pk_mul_f32 v[8:9], v[16:17], v[8:9] op_sel_hi:[0,1]
	v_pk_fma_f32 v[6:7], v[24:25], v[6:7], v[8:9] op_sel_hi:[1,0,1]
	v_mov_b32_e32 v5, s28
	v_pk_add_f32 v[6:7], v[12:13], v[6:7] neg_lo:[0,1] neg_hi:[0,1]
.LBB198_4:                              ;   in Loop: Header=BB198_5 Depth=1
	s_or_b64 exec, exec, s[2:3]
	v_add_u32_e32 v4, v5, v4
	v_cmp_le_i32_e32 vcc, s29, v4
	s_or_b64 s[20:21], vcc, s[20:21]
	s_andn2_b64 exec, exec, s[20:21]
	s_cbranch_execz .LBB198_64
.LBB198_5:                              ; =>This Inner Loop Header: Depth=1
	v_add_u32_e32 v20, v4, v0
	v_ashrrev_i32_e32 v21, 31, v20
	v_lshl_add_u64 v[8:9], v[20:21], 3, s[8:9]
	global_load_dwordx2 v[14:15], v[8:9], off
	v_cmp_gt_u32_e64 s[0:1], s30, v4
	v_mov_b32_e32 v8, 0
	v_mov_b32_e32 v9, 0
	s_and_saveexec_b64 s[2:3], s[0:1]
	s_cbranch_execz .LBB198_7
; %bb.6:                                ;   in Loop: Header=BB198_5 Depth=1
	v_add_u32_e32 v8, v46, v4
	v_ashrrev_i32_e32 v9, 31, v8
	v_lshl_add_u64 v[8:9], v[8:9], 3, s[16:17]
	global_load_dwordx2 v[8:9], v[8:9], off
.LBB198_7:                              ;   in Loop: Header=BB198_5 Depth=1
	s_or_b64 exec, exec, s[2:3]
	v_mov_b32_e32 v11, 0
	v_mov_b32_e32 v12, 0
	;; [unrolled: 1-line block ×3, first 2 shown]
	s_and_saveexec_b64 s[2:3], s[0:1]
	s_cbranch_execz .LBB198_9
; %bb.8:                                ;   in Loop: Header=BB198_5 Depth=1
	v_add_u32_e32 v12, v46, v4
	v_ashrrev_i32_e32 v13, 31, v12
	v_lshl_add_u64 v[12:13], v[12:13], 3, s[18:19]
	global_load_dwordx2 v[12:13], v[12:13], off
.LBB198_9:                              ;   in Loop: Header=BB198_5 Depth=1
	s_or_b64 exec, exec, s[2:3]
	v_mov_b32_e32 v16, 0
	s_and_saveexec_b64 s[2:3], s[0:1]
	s_cbranch_execz .LBB198_11
; %bb.10:                               ;   in Loop: Header=BB198_5 Depth=1
	v_add_u32_e32 v10, v46, v4
	v_ashrrev_i32_e32 v11, 31, v10
	v_lshl_add_u64 v[10:11], v[10:11], 3, s[8:9]
	global_load_dwordx2 v[16:17], v[10:11], off
	s_waitcnt vmcnt(0)
	v_mov_b32_e32 v11, v16
	v_mov_b32_e32 v16, v17
.LBB198_11:                             ;   in Loop: Header=BB198_5 Depth=1
	s_or_b64 exec, exec, s[2:3]
	v_cmp_gt_u32_e64 s[2:3], s31, v4
	v_mov_b32_e32 v18, 0
	v_mov_b32_e32 v19, 0
	s_and_saveexec_b64 s[4:5], s[2:3]
	s_cbranch_execz .LBB198_13
; %bb.12:                               ;   in Loop: Header=BB198_5 Depth=1
	v_add_u32_e32 v18, v1, v4
	v_ashrrev_i32_e32 v19, 31, v18
	v_lshl_add_u64 v[18:19], v[18:19], 3, s[16:17]
	global_load_dwordx2 v[18:19], v[18:19], off
.LBB198_13:                             ;   in Loop: Header=BB198_5 Depth=1
	s_or_b64 exec, exec, s[4:5]
	s_waitcnt vmcnt(0)
	v_cmp_gt_f32_e32 vcc, 0, v8
                                        ; implicit-def: $vgpr5
	s_nop 1
	v_cndmask_b32_e64 v10, v8, -v8, vcc
	v_cmp_gt_f32_e32 vcc, 0, v9
	s_nop 1
	v_cndmask_b32_e64 v17, v9, -v9, vcc
	v_cmp_ngt_f32_e32 vcc, v10, v17
	s_and_saveexec_b64 s[4:5], vcc
	s_xor_b64 s[24:25], exec, s[4:5]
	s_cbranch_execz .LBB198_17
; %bb.14:                               ;   in Loop: Header=BB198_5 Depth=1
	v_mov_b32_e32 v5, 0
	v_cmp_neq_f32_e32 vcc, 0, v9
	s_and_saveexec_b64 s[26:27], vcc
	s_cbranch_execz .LBB198_16
; %bb.15:                               ;   in Loop: Header=BB198_5 Depth=1
	v_div_scale_f32 v5, s[4:5], v17, v17, v10
	v_rcp_f32_e32 v22, v5
	v_div_scale_f32 v23, vcc, v10, v17, v10
	v_fma_f32 v24, -v5, v22, 1.0
	v_fmac_f32_e32 v22, v24, v22
	v_mul_f32_e32 v24, v23, v22
	v_fma_f32 v25, -v5, v24, v23
	v_fmac_f32_e32 v24, v25, v22
	v_fma_f32 v5, -v5, v24, v23
	v_div_fmas_f32 v5, v5, v22, v24
	v_div_fixup_f32 v5, v5, v17, v10
	v_fma_f32 v5, v5, v5, 1.0
	v_mul_f32_e32 v10, 0x4f800000, v5
	v_cmp_gt_f32_e32 vcc, s33, v5
	s_nop 1
	v_cndmask_b32_e32 v5, v5, v10, vcc
	v_sqrt_f32_e32 v10, v5
	s_nop 0
	v_add_u32_e32 v22, -1, v10
	v_fma_f32 v23, -v22, v10, v5
	v_cmp_ge_f32_e64 s[4:5], 0, v23
	v_add_u32_e32 v23, 1, v10
	s_nop 0
	v_cndmask_b32_e64 v22, v10, v22, s[4:5]
	v_fma_f32 v10, -v23, v10, v5
	v_cmp_lt_f32_e64 s[4:5], 0, v10
	s_nop 1
	v_cndmask_b32_e64 v10, v22, v23, s[4:5]
	v_mul_f32_e32 v22, 0x37800000, v10
	v_cndmask_b32_e32 v10, v10, v22, vcc
	v_cmp_class_f32_e32 vcc, v5, v47
	s_nop 1
	v_cndmask_b32_e32 v5, v10, v5, vcc
	v_mul_f32_e32 v5, v17, v5
.LBB198_16:                             ;   in Loop: Header=BB198_5 Depth=1
	s_or_b64 exec, exec, s[26:27]
                                        ; implicit-def: $vgpr10
                                        ; implicit-def: $vgpr17
.LBB198_17:                             ;   in Loop: Header=BB198_5 Depth=1
	s_andn2_saveexec_b64 s[24:25], s[24:25]
	s_cbranch_execz .LBB198_19
; %bb.18:                               ;   in Loop: Header=BB198_5 Depth=1
	v_div_scale_f32 v5, s[4:5], v10, v10, v17
	v_rcp_f32_e32 v22, v5
	v_div_scale_f32 v23, vcc, v17, v10, v17
	v_fma_f32 v24, -v5, v22, 1.0
	v_fmac_f32_e32 v22, v24, v22
	v_mul_f32_e32 v24, v23, v22
	v_fma_f32 v25, -v5, v24, v23
	v_fmac_f32_e32 v24, v25, v22
	v_fma_f32 v5, -v5, v24, v23
	v_div_fmas_f32 v5, v5, v22, v24
	v_div_fixup_f32 v5, v5, v10, v17
	v_fma_f32 v5, v5, v5, 1.0
	v_mul_f32_e32 v17, 0x4f800000, v5
	v_cmp_gt_f32_e32 vcc, s33, v5
	s_nop 1
	v_cndmask_b32_e32 v5, v5, v17, vcc
	v_sqrt_f32_e32 v17, v5
	s_nop 0
	v_add_u32_e32 v22, -1, v17
	v_fma_f32 v23, -v22, v17, v5
	v_cmp_ge_f32_e64 s[4:5], 0, v23
	v_add_u32_e32 v23, 1, v17
	s_nop 0
	v_cndmask_b32_e64 v22, v17, v22, s[4:5]
	v_fma_f32 v17, -v23, v17, v5
	v_cmp_lt_f32_e64 s[4:5], 0, v17
	s_nop 1
	v_cndmask_b32_e64 v17, v22, v23, s[4:5]
	v_mul_f32_e32 v22, 0x37800000, v17
	v_cndmask_b32_e32 v17, v17, v22, vcc
	v_cmp_class_f32_e32 vcc, v5, v47
	s_nop 1
	v_cndmask_b32_e32 v5, v17, v5, vcc
	v_mul_f32_e32 v5, v10, v5
.LBB198_19:                             ;   in Loop: Header=BB198_5 Depth=1
	s_or_b64 exec, exec, s[24:25]
	v_cmp_gt_f32_e32 vcc, 0, v18
                                        ; implicit-def: $vgpr10
	s_nop 1
	v_cndmask_b32_e64 v17, v18, -v18, vcc
	v_cmp_gt_f32_e32 vcc, 0, v19
	s_nop 1
	v_cndmask_b32_e64 v22, v19, -v19, vcc
	v_cmp_ngt_f32_e32 vcc, v17, v22
	s_and_saveexec_b64 s[4:5], vcc
	s_xor_b64 s[24:25], exec, s[4:5]
	s_cbranch_execz .LBB198_23
; %bb.20:                               ;   in Loop: Header=BB198_5 Depth=1
	v_mov_b32_e32 v10, 0
	v_cmp_neq_f32_e32 vcc, 0, v19
	s_and_saveexec_b64 s[26:27], vcc
	s_cbranch_execz .LBB198_22
; %bb.21:                               ;   in Loop: Header=BB198_5 Depth=1
	v_div_scale_f32 v10, s[4:5], v22, v22, v17
	v_rcp_f32_e32 v23, v10
	v_div_scale_f32 v24, vcc, v17, v22, v17
	v_fma_f32 v25, -v10, v23, 1.0
	v_fmac_f32_e32 v23, v25, v23
	v_mul_f32_e32 v25, v24, v23
	v_fma_f32 v26, -v10, v25, v24
	v_fmac_f32_e32 v25, v26, v23
	v_fma_f32 v10, -v10, v25, v24
	v_div_fmas_f32 v10, v10, v23, v25
	v_div_fixup_f32 v10, v10, v22, v17
	v_fma_f32 v10, v10, v10, 1.0
	v_mul_f32_e32 v17, 0x4f800000, v10
	v_cmp_gt_f32_e32 vcc, s33, v10
	s_nop 1
	v_cndmask_b32_e32 v10, v10, v17, vcc
	v_sqrt_f32_e32 v17, v10
	s_nop 0
	v_add_u32_e32 v23, -1, v17
	v_fma_f32 v24, -v23, v17, v10
	v_cmp_ge_f32_e64 s[4:5], 0, v24
	v_add_u32_e32 v24, 1, v17
	s_nop 0
	v_cndmask_b32_e64 v23, v17, v23, s[4:5]
	v_fma_f32 v17, -v24, v17, v10
	v_cmp_lt_f32_e64 s[4:5], 0, v17
	s_nop 1
	v_cndmask_b32_e64 v17, v23, v24, s[4:5]
	v_mul_f32_e32 v23, 0x37800000, v17
	v_cndmask_b32_e32 v17, v17, v23, vcc
	v_cmp_class_f32_e32 vcc, v10, v47
	s_nop 1
	v_cndmask_b32_e32 v10, v17, v10, vcc
	v_mul_f32_e32 v10, v22, v10
.LBB198_22:                             ;   in Loop: Header=BB198_5 Depth=1
	s_or_b64 exec, exec, s[26:27]
                                        ; implicit-def: $vgpr17
                                        ; implicit-def: $vgpr22
.LBB198_23:                             ;   in Loop: Header=BB198_5 Depth=1
	s_andn2_saveexec_b64 s[24:25], s[24:25]
	s_cbranch_execz .LBB198_25
; %bb.24:                               ;   in Loop: Header=BB198_5 Depth=1
	v_div_scale_f32 v10, s[4:5], v17, v17, v22
	v_rcp_f32_e32 v23, v10
	v_div_scale_f32 v24, vcc, v22, v17, v22
	v_fma_f32 v25, -v10, v23, 1.0
	v_fmac_f32_e32 v23, v25, v23
	v_mul_f32_e32 v25, v24, v23
	v_fma_f32 v26, -v10, v25, v24
	v_fmac_f32_e32 v25, v26, v23
	v_fma_f32 v10, -v10, v25, v24
	v_div_fmas_f32 v10, v10, v23, v25
	v_div_fixup_f32 v10, v10, v17, v22
	v_fma_f32 v10, v10, v10, 1.0
	v_mul_f32_e32 v22, 0x4f800000, v10
	v_cmp_gt_f32_e32 vcc, s33, v10
	s_nop 1
	v_cndmask_b32_e32 v10, v10, v22, vcc
	v_sqrt_f32_e32 v22, v10
	s_nop 0
	v_add_u32_e32 v23, -1, v22
	v_fma_f32 v24, -v23, v22, v10
	v_cmp_ge_f32_e64 s[4:5], 0, v24
	v_add_u32_e32 v24, 1, v22
	s_nop 0
	v_cndmask_b32_e64 v23, v22, v23, s[4:5]
	v_fma_f32 v22, -v24, v22, v10
	v_cmp_lt_f32_e64 s[4:5], 0, v22
	s_nop 1
	v_cndmask_b32_e64 v22, v23, v24, s[4:5]
	v_mul_f32_e32 v23, 0x37800000, v22
	v_cndmask_b32_e32 v22, v22, v23, vcc
	v_cmp_class_f32_e32 vcc, v10, v47
	s_nop 1
	v_cndmask_b32_e32 v10, v22, v10, vcc
	v_mul_f32_e32 v10, v17, v10
.LBB198_25:                             ;   in Loop: Header=BB198_5 Depth=1
	s_or_b64 exec, exec, s[24:25]
	v_cmp_gt_f32_e32 vcc, 0, v12
                                        ; implicit-def: $vgpr17
	s_nop 1
	v_cndmask_b32_e64 v22, v12, -v12, vcc
	v_cmp_gt_f32_e32 vcc, 0, v13
	s_nop 1
	v_cndmask_b32_e64 v23, v13, -v13, vcc
	v_cmp_ngt_f32_e32 vcc, v22, v23
	s_and_saveexec_b64 s[4:5], vcc
	s_xor_b64 s[24:25], exec, s[4:5]
	s_cbranch_execz .LBB198_29
; %bb.26:                               ;   in Loop: Header=BB198_5 Depth=1
	v_mov_b32_e32 v17, 0
	v_cmp_neq_f32_e32 vcc, 0, v13
	s_and_saveexec_b64 s[26:27], vcc
	s_cbranch_execz .LBB198_28
; %bb.27:                               ;   in Loop: Header=BB198_5 Depth=1
	v_div_scale_f32 v17, s[4:5], v23, v23, v22
	v_rcp_f32_e32 v24, v17
	v_div_scale_f32 v25, vcc, v22, v23, v22
	v_fma_f32 v26, -v17, v24, 1.0
	v_fmac_f32_e32 v24, v26, v24
	v_mul_f32_e32 v26, v25, v24
	v_fma_f32 v27, -v17, v26, v25
	v_fmac_f32_e32 v26, v27, v24
	v_fma_f32 v17, -v17, v26, v25
	v_div_fmas_f32 v17, v17, v24, v26
	v_div_fixup_f32 v17, v17, v23, v22
	v_fma_f32 v17, v17, v17, 1.0
	v_mul_f32_e32 v22, 0x4f800000, v17
	v_cmp_gt_f32_e32 vcc, s33, v17
	s_nop 1
	v_cndmask_b32_e32 v17, v17, v22, vcc
	v_sqrt_f32_e32 v22, v17
	s_nop 0
	v_add_u32_e32 v24, -1, v22
	v_fma_f32 v25, -v24, v22, v17
	v_cmp_ge_f32_e64 s[4:5], 0, v25
	v_add_u32_e32 v25, 1, v22
	s_nop 0
	v_cndmask_b32_e64 v24, v22, v24, s[4:5]
	v_fma_f32 v22, -v25, v22, v17
	v_cmp_lt_f32_e64 s[4:5], 0, v22
	s_nop 1
	v_cndmask_b32_e64 v22, v24, v25, s[4:5]
	v_mul_f32_e32 v24, 0x37800000, v22
	v_cndmask_b32_e32 v22, v22, v24, vcc
	v_cmp_class_f32_e32 vcc, v17, v47
	s_nop 1
	v_cndmask_b32_e32 v17, v22, v17, vcc
	v_mul_f32_e32 v17, v23, v17
.LBB198_28:                             ;   in Loop: Header=BB198_5 Depth=1
	s_or_b64 exec, exec, s[26:27]
                                        ; implicit-def: $vgpr22
                                        ; implicit-def: $vgpr23
.LBB198_29:                             ;   in Loop: Header=BB198_5 Depth=1
	s_andn2_saveexec_b64 s[24:25], s[24:25]
	s_cbranch_execz .LBB198_31
; %bb.30:                               ;   in Loop: Header=BB198_5 Depth=1
	v_div_scale_f32 v17, s[4:5], v22, v22, v23
	v_rcp_f32_e32 v24, v17
	v_div_scale_f32 v25, vcc, v23, v22, v23
	v_fma_f32 v26, -v17, v24, 1.0
	v_fmac_f32_e32 v24, v26, v24
	v_mul_f32_e32 v26, v25, v24
	v_fma_f32 v27, -v17, v26, v25
	v_fmac_f32_e32 v26, v27, v24
	v_fma_f32 v17, -v17, v26, v25
	v_div_fmas_f32 v17, v17, v24, v26
	v_div_fixup_f32 v17, v17, v22, v23
	v_fma_f32 v17, v17, v17, 1.0
	v_mul_f32_e32 v23, 0x4f800000, v17
	v_cmp_gt_f32_e32 vcc, s33, v17
	s_nop 1
	v_cndmask_b32_e32 v17, v17, v23, vcc
	v_sqrt_f32_e32 v23, v17
	s_nop 0
	v_add_u32_e32 v24, -1, v23
	v_fma_f32 v25, -v24, v23, v17
	v_cmp_ge_f32_e64 s[4:5], 0, v25
	v_add_u32_e32 v25, 1, v23
	s_nop 0
	v_cndmask_b32_e64 v24, v23, v24, s[4:5]
	v_fma_f32 v23, -v25, v23, v17
	v_cmp_lt_f32_e64 s[4:5], 0, v23
	s_nop 1
	v_cndmask_b32_e64 v23, v24, v25, s[4:5]
	v_mul_f32_e32 v24, 0x37800000, v23
	v_cndmask_b32_e32 v23, v23, v24, vcc
	v_cmp_class_f32_e32 vcc, v17, v47
	s_nop 1
	v_cndmask_b32_e32 v17, v23, v17, vcc
	v_mul_f32_e32 v17, v22, v17
.LBB198_31:                             ;   in Loop: Header=BB198_5 Depth=1
	s_or_b64 exec, exec, s[24:25]
	v_cmp_gt_f32_e32 vcc, 0, v14
                                        ; implicit-def: $vgpr28
	s_nop 1
	v_cndmask_b32_e64 v22, v14, -v14, vcc
	v_cmp_gt_f32_e32 vcc, 0, v15
	s_nop 1
	v_cndmask_b32_e64 v23, v15, -v15, vcc
	v_cmp_ngt_f32_e32 vcc, v22, v23
	s_and_saveexec_b64 s[4:5], vcc
	s_xor_b64 s[24:25], exec, s[4:5]
	s_cbranch_execz .LBB198_35
; %bb.32:                               ;   in Loop: Header=BB198_5 Depth=1
	v_mov_b32_e32 v28, 0
	v_cmp_neq_f32_e32 vcc, 0, v15
	s_and_saveexec_b64 s[26:27], vcc
	s_cbranch_execz .LBB198_34
; %bb.33:                               ;   in Loop: Header=BB198_5 Depth=1
	v_div_scale_f32 v24, s[4:5], v23, v23, v22
	v_rcp_f32_e32 v25, v24
	v_div_scale_f32 v26, vcc, v22, v23, v22
	v_fma_f32 v27, -v24, v25, 1.0
	v_fmac_f32_e32 v25, v27, v25
	v_mul_f32_e32 v27, v26, v25
	v_fma_f32 v28, -v24, v27, v26
	v_fmac_f32_e32 v27, v28, v25
	v_fma_f32 v24, -v24, v27, v26
	v_div_fmas_f32 v24, v24, v25, v27
	v_div_fixup_f32 v22, v24, v23, v22
	v_fma_f32 v22, v22, v22, 1.0
	v_mul_f32_e32 v24, 0x4f800000, v22
	v_cmp_gt_f32_e32 vcc, s33, v22
	s_nop 1
	v_cndmask_b32_e32 v22, v22, v24, vcc
	v_sqrt_f32_e32 v24, v22
	s_nop 0
	v_add_u32_e32 v25, -1, v24
	v_fma_f32 v26, -v25, v24, v22
	v_cmp_ge_f32_e64 s[4:5], 0, v26
	v_add_u32_e32 v26, 1, v24
	s_nop 0
	v_cndmask_b32_e64 v25, v24, v25, s[4:5]
	v_fma_f32 v24, -v26, v24, v22
	v_cmp_lt_f32_e64 s[4:5], 0, v24
	s_nop 1
	v_cndmask_b32_e64 v24, v25, v26, s[4:5]
	v_mul_f32_e32 v25, 0x37800000, v24
	v_cndmask_b32_e32 v24, v24, v25, vcc
	v_cmp_class_f32_e32 vcc, v22, v47
	s_nop 1
	v_cndmask_b32_e32 v22, v24, v22, vcc
	v_mul_f32_e32 v28, v23, v22
.LBB198_34:                             ;   in Loop: Header=BB198_5 Depth=1
	s_or_b64 exec, exec, s[26:27]
                                        ; implicit-def: $vgpr22
                                        ; implicit-def: $vgpr23
.LBB198_35:                             ;   in Loop: Header=BB198_5 Depth=1
	s_andn2_saveexec_b64 s[24:25], s[24:25]
	s_cbranch_execz .LBB198_37
; %bb.36:                               ;   in Loop: Header=BB198_5 Depth=1
	v_div_scale_f32 v24, s[4:5], v22, v22, v23
	v_rcp_f32_e32 v25, v24
	v_div_scale_f32 v26, vcc, v23, v22, v23
	v_fma_f32 v27, -v24, v25, 1.0
	v_fmac_f32_e32 v25, v27, v25
	v_mul_f32_e32 v27, v26, v25
	v_fma_f32 v28, -v24, v27, v26
	v_fmac_f32_e32 v27, v28, v25
	v_fma_f32 v24, -v24, v27, v26
	v_div_fmas_f32 v24, v24, v25, v27
	v_div_fixup_f32 v23, v24, v22, v23
	v_fma_f32 v23, v23, v23, 1.0
	v_mul_f32_e32 v24, 0x4f800000, v23
	v_cmp_gt_f32_e32 vcc, s33, v23
	s_nop 1
	v_cndmask_b32_e32 v23, v23, v24, vcc
	v_sqrt_f32_e32 v24, v23
	s_nop 0
	v_add_u32_e32 v25, -1, v24
	v_fma_f32 v26, -v25, v24, v23
	v_cmp_ge_f32_e64 s[4:5], 0, v26
	v_add_u32_e32 v26, 1, v24
	s_nop 0
	v_cndmask_b32_e64 v25, v24, v25, s[4:5]
	v_fma_f32 v24, -v26, v24, v23
	v_cmp_lt_f32_e64 s[4:5], 0, v24
	s_nop 1
	v_cndmask_b32_e64 v24, v25, v26, s[4:5]
	v_mul_f32_e32 v25, 0x37800000, v24
	v_cndmask_b32_e32 v24, v24, v25, vcc
	v_cmp_class_f32_e32 vcc, v23, v47
	s_nop 1
	v_cndmask_b32_e32 v23, v24, v23, vcc
	v_mul_f32_e32 v28, v22, v23
.LBB198_37:                             ;   in Loop: Header=BB198_5 Depth=1
	s_or_b64 exec, exec, s[24:25]
	v_cmp_gt_f32_e32 vcc, 0, v11
                                        ; implicit-def: $vgpr29
	s_nop 1
	v_cndmask_b32_e64 v22, v11, -v11, vcc
	v_cmp_gt_f32_e32 vcc, 0, v16
	s_nop 1
	v_cndmask_b32_e64 v23, v16, -v16, vcc
	v_cmp_ngt_f32_e32 vcc, v22, v23
	s_and_saveexec_b64 s[4:5], vcc
	s_xor_b64 s[24:25], exec, s[4:5]
	s_cbranch_execz .LBB198_41
; %bb.38:                               ;   in Loop: Header=BB198_5 Depth=1
	v_mov_b32_e32 v29, 0
	v_cmp_neq_f32_e32 vcc, 0, v16
	s_and_saveexec_b64 s[26:27], vcc
	s_cbranch_execz .LBB198_40
; %bb.39:                               ;   in Loop: Header=BB198_5 Depth=1
	v_div_scale_f32 v24, s[4:5], v23, v23, v22
	v_rcp_f32_e32 v25, v24
	v_div_scale_f32 v26, vcc, v22, v23, v22
	v_fma_f32 v27, -v24, v25, 1.0
	v_fmac_f32_e32 v25, v27, v25
	v_mul_f32_e32 v27, v26, v25
	v_fma_f32 v29, -v24, v27, v26
	v_fmac_f32_e32 v27, v29, v25
	v_fma_f32 v24, -v24, v27, v26
	v_div_fmas_f32 v24, v24, v25, v27
	v_div_fixup_f32 v22, v24, v23, v22
	v_fma_f32 v22, v22, v22, 1.0
	v_mul_f32_e32 v24, 0x4f800000, v22
	v_cmp_gt_f32_e32 vcc, s33, v22
	s_nop 1
	v_cndmask_b32_e32 v22, v22, v24, vcc
	v_sqrt_f32_e32 v24, v22
	s_nop 0
	v_add_u32_e32 v25, -1, v24
	v_fma_f32 v26, -v25, v24, v22
	v_cmp_ge_f32_e64 s[4:5], 0, v26
	v_add_u32_e32 v26, 1, v24
	s_nop 0
	v_cndmask_b32_e64 v25, v24, v25, s[4:5]
	v_fma_f32 v24, -v26, v24, v22
	v_cmp_lt_f32_e64 s[4:5], 0, v24
	s_nop 1
	v_cndmask_b32_e64 v24, v25, v26, s[4:5]
	v_mul_f32_e32 v25, 0x37800000, v24
	v_cndmask_b32_e32 v24, v24, v25, vcc
	v_cmp_class_f32_e32 vcc, v22, v47
	s_nop 1
	v_cndmask_b32_e32 v22, v24, v22, vcc
	v_mul_f32_e32 v29, v23, v22
.LBB198_40:                             ;   in Loop: Header=BB198_5 Depth=1
	s_or_b64 exec, exec, s[26:27]
                                        ; implicit-def: $vgpr22
                                        ; implicit-def: $vgpr23
.LBB198_41:                             ;   in Loop: Header=BB198_5 Depth=1
	s_andn2_saveexec_b64 s[24:25], s[24:25]
	s_cbranch_execz .LBB198_43
; %bb.42:                               ;   in Loop: Header=BB198_5 Depth=1
	v_div_scale_f32 v24, s[4:5], v22, v22, v23
	v_rcp_f32_e32 v25, v24
	v_div_scale_f32 v26, vcc, v23, v22, v23
	v_fma_f32 v27, -v24, v25, 1.0
	v_fmac_f32_e32 v25, v27, v25
	v_mul_f32_e32 v27, v26, v25
	v_fma_f32 v29, -v24, v27, v26
	v_fmac_f32_e32 v27, v29, v25
	v_fma_f32 v24, -v24, v27, v26
	v_div_fmas_f32 v24, v24, v25, v27
	v_div_fixup_f32 v23, v24, v22, v23
	v_fma_f32 v23, v23, v23, 1.0
	v_mul_f32_e32 v24, 0x4f800000, v23
	v_cmp_gt_f32_e32 vcc, s33, v23
	s_nop 1
	v_cndmask_b32_e32 v23, v23, v24, vcc
	v_sqrt_f32_e32 v24, v23
	s_nop 0
	v_add_u32_e32 v25, -1, v24
	v_fma_f32 v26, -v25, v24, v23
	v_cmp_ge_f32_e64 s[4:5], 0, v26
	v_add_u32_e32 v26, 1, v24
	s_nop 0
	v_cndmask_b32_e64 v25, v24, v25, s[4:5]
	v_fma_f32 v24, -v26, v24, v23
	v_cmp_lt_f32_e64 s[4:5], 0, v24
	s_nop 1
	v_cndmask_b32_e64 v24, v25, v26, s[4:5]
	v_mul_f32_e32 v25, 0x37800000, v24
	v_cndmask_b32_e32 v24, v24, v25, vcc
	v_cmp_class_f32_e32 vcc, v23, v47
	s_nop 1
	v_cndmask_b32_e32 v23, v24, v23, vcc
	v_mul_f32_e32 v29, v22, v23
.LBB198_43:                             ;   in Loop: Header=BB198_5 Depth=1
	s_or_b64 exec, exec, s[24:25]
	v_cmp_gt_f32_e32 vcc, 0, v6
                                        ; implicit-def: $vgpr30
	s_nop 1
	v_cndmask_b32_e64 v22, v6, -v6, vcc
	v_cmp_gt_f32_e32 vcc, 0, v7
	s_nop 1
	v_cndmask_b32_e64 v23, v7, -v7, vcc
	v_cmp_ngt_f32_e32 vcc, v22, v23
	s_and_saveexec_b64 s[4:5], vcc
	s_xor_b64 s[24:25], exec, s[4:5]
	s_cbranch_execz .LBB198_47
; %bb.44:                               ;   in Loop: Header=BB198_5 Depth=1
	v_mov_b32_e32 v30, 0
	v_cmp_neq_f32_e32 vcc, 0, v7
	s_and_saveexec_b64 s[26:27], vcc
	s_cbranch_execz .LBB198_46
; %bb.45:                               ;   in Loop: Header=BB198_5 Depth=1
	v_div_scale_f32 v24, s[4:5], v23, v23, v22
	v_rcp_f32_e32 v25, v24
	v_div_scale_f32 v26, vcc, v22, v23, v22
	v_fma_f32 v27, -v24, v25, 1.0
	v_fmac_f32_e32 v25, v27, v25
	v_mul_f32_e32 v27, v26, v25
	v_fma_f32 v30, -v24, v27, v26
	v_fmac_f32_e32 v27, v30, v25
	v_fma_f32 v24, -v24, v27, v26
	v_div_fmas_f32 v24, v24, v25, v27
	v_div_fixup_f32 v22, v24, v23, v22
	v_fma_f32 v22, v22, v22, 1.0
	v_mul_f32_e32 v24, 0x4f800000, v22
	v_cmp_gt_f32_e32 vcc, s33, v22
	s_nop 1
	v_cndmask_b32_e32 v22, v22, v24, vcc
	v_sqrt_f32_e32 v24, v22
	s_nop 0
	v_add_u32_e32 v25, -1, v24
	v_fma_f32 v26, -v25, v24, v22
	v_cmp_ge_f32_e64 s[4:5], 0, v26
	v_add_u32_e32 v26, 1, v24
	s_nop 0
	v_cndmask_b32_e64 v25, v24, v25, s[4:5]
	v_fma_f32 v24, -v26, v24, v22
	v_cmp_lt_f32_e64 s[4:5], 0, v24
	s_nop 1
	v_cndmask_b32_e64 v24, v25, v26, s[4:5]
	v_mul_f32_e32 v25, 0x37800000, v24
	v_cndmask_b32_e32 v24, v24, v25, vcc
	v_cmp_class_f32_e32 vcc, v22, v47
	s_nop 1
	v_cndmask_b32_e32 v22, v24, v22, vcc
	v_mul_f32_e32 v30, v23, v22
.LBB198_46:                             ;   in Loop: Header=BB198_5 Depth=1
	s_or_b64 exec, exec, s[26:27]
                                        ; implicit-def: $vgpr22
                                        ; implicit-def: $vgpr23
.LBB198_47:                             ;   in Loop: Header=BB198_5 Depth=1
	s_andn2_saveexec_b64 s[24:25], s[24:25]
	s_cbranch_execz .LBB198_49
; %bb.48:                               ;   in Loop: Header=BB198_5 Depth=1
	v_div_scale_f32 v24, s[4:5], v22, v22, v23
	v_rcp_f32_e32 v25, v24
	v_div_scale_f32 v26, vcc, v23, v22, v23
	v_fma_f32 v27, -v24, v25, 1.0
	v_fmac_f32_e32 v25, v27, v25
	v_mul_f32_e32 v27, v26, v25
	v_fma_f32 v30, -v24, v27, v26
	v_fmac_f32_e32 v27, v30, v25
	v_fma_f32 v24, -v24, v27, v26
	v_div_fmas_f32 v24, v24, v25, v27
	v_div_fixup_f32 v23, v24, v22, v23
	v_fma_f32 v23, v23, v23, 1.0
	v_mul_f32_e32 v24, 0x4f800000, v23
	v_cmp_gt_f32_e32 vcc, s33, v23
	s_nop 1
	v_cndmask_b32_e32 v23, v23, v24, vcc
	v_sqrt_f32_e32 v24, v23
	s_nop 0
	v_add_u32_e32 v25, -1, v24
	v_fma_f32 v26, -v25, v24, v23
	v_cmp_ge_f32_e64 s[4:5], 0, v26
	v_add_u32_e32 v26, 1, v24
	s_nop 0
	v_cndmask_b32_e64 v25, v24, v25, s[4:5]
	v_fma_f32 v24, -v26, v24, v23
	v_cmp_lt_f32_e64 s[4:5], 0, v24
	s_nop 1
	v_cndmask_b32_e64 v24, v25, v26, s[4:5]
	v_mul_f32_e32 v25, 0x37800000, v24
	v_cndmask_b32_e32 v24, v24, v25, vcc
	v_cmp_class_f32_e32 vcc, v23, v47
	s_nop 1
	v_cndmask_b32_e32 v23, v24, v23, vcc
	v_mul_f32_e32 v30, v22, v23
.LBB198_49:                             ;   in Loop: Header=BB198_5 Depth=1
	s_or_b64 exec, exec, s[24:25]
	v_pk_add_f32 v[22:23], v[8:9], 0 neg_lo:[1,1] neg_hi:[1,1]
                                        ; implicit-def: $vgpr33
	s_nop 0
	v_pk_mov_b32 v[26:27], v[22:23], v[8:9] op_sel:[1,0]
	s_nop 0
	v_pk_mul_f32 v[24:25], v[14:15], v[26:27] op_sel:[1,0]
	s_nop 0
	v_pk_fma_f32 v[24:25], v[8:9], v[14:15], v[24:25] op_sel_hi:[1,0,1]
	s_nop 0
	v_cmp_gt_f32_e32 vcc, 0, v24
	s_nop 1
	v_cndmask_b32_e64 v31, v24, -v24, vcc
	v_cmp_gt_f32_e32 vcc, 0, v25
	s_nop 1
	v_cndmask_b32_e64 v32, v25, -v25, vcc
	v_cmp_ngt_f32_e32 vcc, v31, v32
	s_and_saveexec_b64 s[4:5], vcc
	s_xor_b64 s[24:25], exec, s[4:5]
	s_cbranch_execz .LBB198_53
; %bb.50:                               ;   in Loop: Header=BB198_5 Depth=1
	v_mov_b32_e32 v33, 0
	v_cmp_neq_f32_e32 vcc, 0, v25
	s_and_saveexec_b64 s[26:27], vcc
	s_cbranch_execz .LBB198_52
; %bb.51:                               ;   in Loop: Header=BB198_5 Depth=1
	v_div_scale_f32 v33, s[4:5], v32, v32, v31
	v_rcp_f32_e32 v34, v33
	v_div_scale_f32 v35, vcc, v31, v32, v31
	v_fma_f32 v36, -v33, v34, 1.0
	v_fmac_f32_e32 v34, v36, v34
	v_mul_f32_e32 v36, v35, v34
	v_fma_f32 v37, -v33, v36, v35
	v_fmac_f32_e32 v36, v37, v34
	v_fma_f32 v33, -v33, v36, v35
	v_div_fmas_f32 v33, v33, v34, v36
	v_div_fixup_f32 v31, v33, v32, v31
	v_fma_f32 v31, v31, v31, 1.0
	v_mul_f32_e32 v33, 0x4f800000, v31
	v_cmp_gt_f32_e32 vcc, s33, v31
	s_nop 1
	v_cndmask_b32_e32 v31, v31, v33, vcc
	v_sqrt_f32_e32 v33, v31
	s_nop 0
	v_add_u32_e32 v34, -1, v33
	v_fma_f32 v35, -v34, v33, v31
	v_cmp_ge_f32_e64 s[4:5], 0, v35
	v_add_u32_e32 v35, 1, v33
	s_nop 0
	v_cndmask_b32_e64 v34, v33, v34, s[4:5]
	v_fma_f32 v33, -v35, v33, v31
	v_cmp_lt_f32_e64 s[4:5], 0, v33
	s_nop 1
	v_cndmask_b32_e64 v33, v34, v35, s[4:5]
	v_mul_f32_e32 v34, 0x37800000, v33
	v_cndmask_b32_e32 v33, v33, v34, vcc
	v_cmp_class_f32_e32 vcc, v31, v47
	s_nop 1
	v_cndmask_b32_e32 v31, v33, v31, vcc
	v_mul_f32_e32 v33, v32, v31
.LBB198_52:                             ;   in Loop: Header=BB198_5 Depth=1
	s_or_b64 exec, exec, s[26:27]
                                        ; implicit-def: $vgpr31
                                        ; implicit-def: $vgpr32
.LBB198_53:                             ;   in Loop: Header=BB198_5 Depth=1
	s_andn2_saveexec_b64 s[24:25], s[24:25]
	s_cbranch_execz .LBB198_55
; %bb.54:                               ;   in Loop: Header=BB198_5 Depth=1
	v_div_scale_f32 v33, s[4:5], v31, v31, v32
	v_rcp_f32_e32 v34, v33
	v_div_scale_f32 v35, vcc, v32, v31, v32
	v_fma_f32 v36, -v33, v34, 1.0
	v_fmac_f32_e32 v34, v36, v34
	v_mul_f32_e32 v36, v35, v34
	v_fma_f32 v37, -v33, v36, v35
	v_fmac_f32_e32 v36, v37, v34
	v_fma_f32 v33, -v33, v36, v35
	v_div_fmas_f32 v33, v33, v34, v36
	v_div_fixup_f32 v32, v33, v31, v32
	v_fma_f32 v32, v32, v32, 1.0
	v_mul_f32_e32 v33, 0x4f800000, v32
	v_cmp_gt_f32_e32 vcc, s33, v32
	s_nop 1
	v_cndmask_b32_e32 v32, v32, v33, vcc
	v_sqrt_f32_e32 v33, v32
	s_nop 0
	v_add_u32_e32 v34, -1, v33
	v_fma_f32 v35, -v34, v33, v32
	v_cmp_ge_f32_e64 s[4:5], 0, v35
	v_add_u32_e32 v35, 1, v33
	s_nop 0
	v_cndmask_b32_e64 v34, v33, v34, s[4:5]
	v_fma_f32 v33, -v35, v33, v32
	v_cmp_lt_f32_e64 s[4:5], 0, v33
	s_nop 1
	v_cndmask_b32_e64 v33, v34, v35, s[4:5]
	v_mul_f32_e32 v34, 0x37800000, v33
	v_cndmask_b32_e32 v33, v33, v34, vcc
	v_cmp_class_f32_e32 vcc, v32, v47
	s_nop 1
	v_cndmask_b32_e32 v32, v33, v32, vcc
	v_mul_f32_e32 v33, v31, v32
.LBB198_55:                             ;   in Loop: Header=BB198_5 Depth=1
	s_or_b64 exec, exec, s[24:25]
	v_cmp_lt_f32_e32 vcc, v5, v10
	v_cvt_f64_f32_e32 v[30:31], v30
	v_cmp_ne_u32_e64 s[4:5], s30, v4
	v_cndmask_b32_e32 v5, v5, v10, vcc
	v_cmp_lt_f32_e32 vcc, v17, v5
	s_nop 1
	v_cndmask_b32_e32 v5, v17, v5, vcc
	v_cmp_lt_f32_e32 vcc, v28, v5
	s_nop 1
	;; [unrolled: 3-line block ×3, first 2 shown]
	v_cndmask_b32_e32 v5, v29, v5, vcc
	v_cvt_f64_f32_e32 v[28:29], v5
	v_mul_f64 v[28:29], v[28:29], v[30:31]
	v_cvt_f64_f32_e32 v[30:31], v33
	v_mul_f64 v[30:31], v[30:31], s[22:23]
	v_cmp_nge_f64_e32 vcc, v[28:29], v[30:31]
	s_and_b64 s[4:5], s[4:5], vcc
	s_and_saveexec_b64 s[24:25], s[4:5]
	s_xor_b64 s[4:5], exec, s[24:25]
	s_cbranch_execz .LBB198_61
; %bb.56:                               ;   in Loop: Header=BB198_5 Depth=1
	v_add_u32_e32 v30, v46, v4
	v_ashrrev_i32_e32 v31, 31, v30
	v_ashrrev_i32_e32 v5, 31, v4
	v_lshlrev_b64 v[34:35], 3, v[20:21]
	v_lshlrev_b64 v[26:27], 3, v[30:31]
	v_lshl_add_u64 v[52:53], v[4:5], 3, v[2:3]
	v_lshl_add_u64 v[54:55], s[12:13], 0, v[34:35]
	;; [unrolled: 1-line block ×3, first 2 shown]
	global_load_dwordx2 v[44:45], v[52:53], off
	global_load_dwordx2 v[56:57], v[42:43], off
	;; [unrolled: 1-line block ×3, first 2 shown]
	v_lshl_add_u64 v[32:33], s[12:13], 0, v[26:27]
	global_load_dwordx2 v[40:41], v[32:33], off
	v_xor_b32_e32 v28, 0x80000000, v7
	v_mov_b32_e32 v29, v6
	v_lshl_add_u64 v[62:63], v[20:21], 2, s[6:7]
	v_pk_mul_f32 v[20:21], v[12:13], v[28:29] op_sel:[1,0]
	v_pk_add_f32 v[60:61], v[14:15], 0 neg_lo:[1,1] neg_hi:[1,1]
	v_pk_fma_f32 v[20:21], v[6:7], v[12:13], v[20:21] op_sel_hi:[1,0,1]
	v_mov_b32_e32 v36, v11
	v_pk_add_f32 v[20:21], v[20:21], v[24:25] neg_lo:[0,1] neg_hi:[0,1]
	v_mov_b32_e32 v37, v16
	v_mul_f32_e32 v5, v21, v21
	v_fmac_f32_e32 v5, v20, v20
	v_fma_f32 v24, 0, v21, v20
	v_fma_f32 v21, v20, 0, -v21
	v_div_scale_f32 v20, s[24:25], v5, v5, 1.0
	v_rcp_f32_e32 v25, v20
	v_div_scale_f32 v51, vcc, 1.0, v5, 1.0
	v_pk_mov_b32 v[64:65], v[60:61], v[14:15] op_sel:[1,0]
	v_fma_f32 v66, -v20, v25, 1.0
	v_fmac_f32_e32 v25, v66, v25
	v_mul_f32_e32 v66, v51, v25
	v_fma_f32 v67, -v20, v66, v51
	v_fmac_f32_e32 v66, v67, v25
	v_fma_f32 v20, -v20, v66, v51
	v_pk_mov_b32 v[60:61], v[14:15], v[60:61] op_sel:[1,0]
	v_div_fmas_f32 v20, v20, v25, v66
	v_pk_mul_f32 v[60:61], v[36:37], v[60:61] op_sel:[1,0]
	v_div_fixup_f32 v5, v20, v5, 1.0
	v_pk_fma_f32 v[36:37], v[14:15], v[36:37], v[60:61] op_sel_hi:[1,0,1] neg_lo:[1,0,0] neg_hi:[1,0,0]
	v_mul_f32_e32 v20, v24, v5
	v_mul_f32_e32 v24, v21, v5
	v_xor_b32_e32 v60, 0x80000000, v37
	v_mov_b32_e32 v61, v36
	v_mov_b32_e32 v25, v24
	v_xor_b32_e32 v58, 0x80000000, v13
	v_mov_b32_e32 v59, v12
	v_mov_b32_e32 v21, v20
	v_pk_mul_f32 v[60:61], v[24:25], v[60:61] op_sel_hi:[0,1]
	v_lshl_add_u64 v[34:35], s[14:15], 0, v[34:35]
	v_pk_fma_f32 v[36:37], v[36:37], v[20:21], v[60:61] op_sel_hi:[1,0,1]
	global_store_dwordx2 v[34:35], v[36:37], off
	v_mov_b32_e32 v26, v6
	v_mov_b32_e32 v27, v6
	;; [unrolled: 1-line block ×4, first 2 shown]
	s_waitcnt vmcnt(4)
	v_pk_mul_f32 v[60:61], v[44:45], v[58:59] op_sel:[1,0]
	s_waitcnt vmcnt(3)
	v_pk_mul_f32 v[66:67], v[56:57], v[64:65] op_sel:[1,0]
	;; [unrolled: 2-line block ×3, first 2 shown]
	v_mov_b32_e32 v36, v45
	v_mov_b32_e32 v37, v45
	v_mov_b32_e32 v34, v44
	v_mov_b32_e32 v35, v44
	v_pk_fma_f32 v[60:61], v[12:13], v[44:45], v[60:61] op_sel_hi:[1,0,1]
	v_pk_fma_f32 v[58:59], v[12:13], v[38:39], v[58:59] op_sel_hi:[1,0,1]
	v_mov_b32_e32 v44, v57
	v_mov_b32_e32 v45, v57
	;; [unrolled: 1-line block ×4, first 2 shown]
	s_waitcnt vmcnt(1)
	v_pk_mul_f32 v[64:65], v[40:41], v[64:65] op_sel:[1,0]
	v_pk_fma_f32 v[56:57], v[14:15], v[56:57], v[66:67] op_sel_hi:[1,0,1]
	v_pk_fma_f32 v[14:15], v[14:15], v[40:41], v[64:65] op_sel_hi:[1,0,1]
	v_pk_add_f32 v[56:57], v[60:61], v[56:57] neg_lo:[0,1] neg_hi:[0,1]
	v_pk_add_f32 v[14:15], v[58:59], v[14:15] neg_lo:[0,1] neg_hi:[0,1]
	v_xor_b32_e32 v58, 0x80000000, v57
	v_mov_b32_e32 v59, v56
	v_xor_b32_e32 v60, 0x80000000, v15
	v_mov_b32_e32 v61, v14
	v_pk_mul_f32 v[58:59], v[24:25], v[58:59] op_sel_hi:[0,1]
	v_pk_mul_f32 v[60:61], v[24:25], v[60:61] op_sel_hi:[0,1]
	v_pk_fma_f32 v[56:57], v[56:57], v[20:21], v[58:59] op_sel_hi:[1,0,1]
	v_pk_fma_f32 v[14:15], v[14:15], v[20:21], v[60:61] op_sel_hi:[1,0,1]
	global_store_dwordx2 v[52:53], v[56:57], off
	global_store_dwordx2 v[54:55], v[14:15], off
	global_store_dword v[62:63], v48, off
	s_and_saveexec_b64 s[24:25], s[0:1]
	s_cbranch_execz .LBB198_58
; %bb.57:                               ;   in Loop: Header=BB198_5 Depth=1
	v_mov_b32_e32 v14, v39
	v_mov_b32_e32 v15, v39
	v_pk_mov_b32 v[54:55], v[8:9], v[22:23] op_sel:[1,0]
	v_mov_b32_e32 v39, v38
	v_mov_b32_e32 v52, v41
	v_mov_b32_e32 v53, v41
	v_pk_mul_f32 v[14:15], v[54:55], v[14:15]
	v_mov_b32_e32 v41, v40
	v_pk_fma_f32 v[14:15], v[8:9], v[38:39], v[14:15] neg_lo:[1,0,0] neg_hi:[1,0,0]
	v_pk_mul_f32 v[38:39], v[52:53], v[28:29]
	v_pk_mul_f32 v[56:57], v[54:55], v[36:37]
	v_pk_fma_f32 v[38:39], v[6:7], v[40:41], v[38:39]
	v_pk_mul_f32 v[58:59], v[44:45], v[28:29]
	v_pk_add_f32 v[14:15], v[14:15], v[38:39]
	v_pk_fma_f32 v[56:57], v[8:9], v[34:35], v[56:57] neg_lo:[1,0,0] neg_hi:[1,0,0]
	v_xor_b32_e32 v38, 0x80000000, v15
	v_mov_b32_e32 v39, v14
	v_pk_mul_f32 v[38:39], v[24:25], v[38:39]
	v_pk_fma_f32 v[58:59], v[6:7], v[12:13], v[58:59]
	v_pk_fma_f32 v[14:15], v[14:15], v[20:21], v[38:39]
	global_store_dwordx2 v[32:33], v[14:15], off
	v_pk_mul_f32 v[32:33], v[16:17], v[28:29]
	v_pk_add_f32 v[56:57], v[56:57], v[58:59]
	v_pk_fma_f32 v[32:33], v[6:7], v[10:11], v[32:33]
	v_xor_b32_e32 v58, 0x80000000, v57
	v_xor_b32_e32 v38, 0x80000000, v33
	v_mov_b32_e32 v39, v32
	v_mov_b32_e32 v59, v56
	v_pk_mul_f32 v[38:39], v[24:25], v[38:39]
	v_pk_mul_f32 v[58:59], v[24:25], v[58:59]
	v_lshl_add_u64 v[14:15], v[30:31], 3, s[14:15]
	v_pk_fma_f32 v[32:33], v[32:33], v[20:21], v[38:39]
	v_pk_fma_f32 v[56:57], v[56:57], v[20:21], v[58:59]
	global_store_dwordx2 v[14:15], v[32:33], off
	v_lshl_add_u64 v[14:15], v[30:31], 2, s[6:7]
	global_store_dwordx2 v[42:43], v[56:57], off
	global_store_dword v[14:15], v48, off
.LBB198_58:                             ;   in Loop: Header=BB198_5 Depth=1
	s_or_b64 exec, exec, s[24:25]
	v_mov_b32_e32 v51, v50
	v_mov_b64_e32 v[14:15], v[50:51]
	s_and_saveexec_b64 s[24:25], s[2:3]
	s_cbranch_execz .LBB198_60
; %bb.59:                               ;   in Loop: Header=BB198_5 Depth=1
	v_add_u32_e32 v14, v1, v4
	v_ashrrev_i32_e32 v15, 31, v14
	v_lshlrev_b64 v[14:15], 3, v[14:15]
	v_lshl_add_u64 v[30:31], s[10:11], 0, v[14:15]
	v_lshl_add_u64 v[14:15], s[18:19], 0, v[14:15]
	global_load_dwordx2 v[32:33], v[30:31], off
	v_mov_b32_e32 v38, v19
	global_load_dwordx2 v[14:15], v[14:15], off
	v_pk_mov_b32 v[22:23], v[8:9], v[22:23] op_sel:[1,0]
	v_xor_b32_e32 v40, 0x80000000, v19
	v_mov_b32_e32 v41, v18
	v_pk_mul_f32 v[22:23], v[38:39], v[22:23] op_sel_hi:[0,1]
	v_pk_mul_f32 v[28:29], v[38:39], v[28:29] op_sel_hi:[0,1]
	v_pk_mul_f32 v[38:39], v[6:7], v[40:41] op_sel:[1,0]
	v_pk_fma_f32 v[8:9], v[8:9], v[18:19], v[22:23] op_sel_hi:[1,0,1] neg_lo:[1,0,0] neg_hi:[1,0,0]
	v_pk_fma_f32 v[6:7], v[6:7], v[18:19], v[28:29] op_sel_hi:[1,0,1]
	v_pk_fma_f32 v[18:19], v[18:19], v[26:27], v[38:39]
	v_xor_b32_e32 v22, 0x80000000, v9
	v_mov_b32_e32 v23, v8
	v_xor_b32_e32 v26, 0x80000000, v7
	v_mov_b32_e32 v27, v6
	;; [unrolled: 2-line block ×3, first 2 shown]
	v_pk_mul_f32 v[22:23], v[24:25], v[22:23]
	v_pk_mul_f32 v[26:27], v[24:25], v[26:27]
	;; [unrolled: 1-line block ×3, first 2 shown]
	v_pk_fma_f32 v[8:9], v[8:9], v[20:21], v[22:23]
	v_pk_fma_f32 v[6:7], v[6:7], v[20:21], v[26:27]
	;; [unrolled: 1-line block ×3, first 2 shown]
	v_pk_add_f32 v[16:17], v[8:9], 0 neg_lo:[1,1] neg_hi:[1,1]
	v_xor_b32_e32 v18, 0x80000000, v7
	v_mov_b32_e32 v19, v6
	v_pk_mov_b32 v[16:17], v[8:9], v[16:17] op_sel:[1,0]
	v_xor_b32_e32 v22, 0x80000000, v11
	v_mov_b32_e32 v23, v10
	v_pk_mul_f32 v[18:19], v[44:45], v[18:19]
	v_pk_mul_f32 v[16:17], v[16:17], v[36:37]
	;; [unrolled: 1-line block ×3, first 2 shown]
	v_pk_fma_f32 v[6:7], v[6:7], v[12:13], v[18:19]
	v_pk_fma_f32 v[8:9], v[8:9], v[34:35], v[16:17] neg_lo:[1,0,0] neg_hi:[1,0,0]
	v_pk_fma_f32 v[10:11], v[10:11], v[20:21], v[22:23]
	v_pk_add_f32 v[6:7], v[8:9], v[6:7] neg_lo:[0,1] neg_hi:[0,1]
	s_waitcnt vmcnt(0)
	v_pk_add_f32 v[14:15], v[14:15], v[10:11] neg_lo:[0,1] neg_hi:[0,1]
	v_pk_add_f32 v[6:7], v[6:7], v[32:33]
	global_store_dwordx2 v[30:31], v[6:7], off
.LBB198_60:                             ;   in Loop: Header=BB198_5 Depth=1
	s_or_b64 exec, exec, s[24:25]
	v_mov_b64_e32 v[6:7], v[14:15]
                                        ; implicit-def: $vgpr24_vgpr25
                                        ; implicit-def: $vgpr12_vgpr13
                                        ; implicit-def: $vgpr20_vgpr21
                                        ; implicit-def: $vgpr14_vgpr15
                                        ; implicit-def: $vgpr26_vgpr27
                                        ; implicit-def: $vgpr8_vgpr9
.LBB198_61:                             ;   in Loop: Header=BB198_5 Depth=1
	s_or_saveexec_b64 s[2:3], s[4:5]
	v_mov_b32_e32 v5, s31
	s_xor_b64 exec, exec, s[2:3]
	s_cbranch_execz .LBB198_4
; %bb.62:                               ;   in Loop: Header=BB198_5 Depth=1
	v_ashrrev_i32_e32 v5, 31, v4
	v_lshlrev_b64 v[16:17], 3, v[20:21]
	v_lshl_add_u64 v[18:19], v[4:5], 3, v[2:3]
	v_lshl_add_u64 v[22:23], s[12:13], 0, v[16:17]
	global_load_dwordx2 v[10:11], v[18:19], off
	global_load_dwordx2 v[28:29], v[22:23], off
	v_mul_f32_e32 v5, v7, v7
	v_fmac_f32_e32 v5, v6, v6
	v_fma_f32 v34, 0, v7, v6
	v_fma_f32 v7, v6, 0, -v7
	v_div_scale_f32 v6, s[4:5], v5, v5, 1.0
	v_lshl_add_u64 v[32:33], s[14:15], 0, v[16:17]
	v_rcp_f32_e32 v16, v6
	v_div_scale_f32 v17, vcc, 1.0, v5, 1.0
	v_pk_add_f32 v[30:31], v[14:15], 0 neg_lo:[1,1] neg_hi:[1,1]
	v_fma_f32 v35, -v6, v16, 1.0
	v_fmac_f32_e32 v16, v35, v16
	v_mul_f32_e32 v35, v17, v16
	v_fma_f32 v36, -v6, v35, v17
	v_fmac_f32_e32 v35, v36, v16
	v_fma_f32 v6, -v6, v35, v17
	v_div_fmas_f32 v6, v6, v16, v35
	v_div_fixup_f32 v5, v6, v5, 1.0
	v_pk_mov_b32 v[30:31], v[30:31], v[14:15] op_sel:[1,0]
	v_mul_f32_e32 v16, v7, v5
	v_mul_f32_e32 v6, v34, v5
	v_pk_mul_f32 v[30:31], v[16:17], v[30:31] op_sel_hi:[0,1]
	v_pk_fma_f32 v[14:15], v[14:15], v[6:7], v[30:31] op_sel_hi:[1,0,1]
	global_store_dwordx2 v[32:33], v[14:15], off
	v_lshl_add_u64 v[20:21], v[20:21], 2, s[6:7]
	s_waitcnt vmcnt(2)
	v_xor_b32_e32 v30, 0x80000000, v11
	v_mov_b32_e32 v31, v10
	s_waitcnt vmcnt(1)
	v_pk_mul_f32 v[32:33], v[16:17], v[28:29] op_sel:[0,1] op_sel_hi:[0,0] neg_lo:[0,1]
	v_mov_b32_e32 v14, v10
	v_mov_b32_e32 v15, v10
	v_pk_mul_f32 v[30:31], v[16:17], v[30:31] op_sel_hi:[0,1]
	v_pk_fma_f32 v[28:29], v[28:29], v[6:7], v[32:33] op_sel_hi:[1,0,1]
	v_pk_fma_f32 v[30:31], v[10:11], v[6:7], v[30:31] op_sel_hi:[1,0,1]
	global_store_dwordx2 v[22:23], v[28:29], off
	global_store_dwordx2 v[18:19], v[30:31], off
	global_store_dword v[20:21], v49, off
	s_and_saveexec_b64 s[4:5], s[0:1]
	s_cbranch_execz .LBB198_3
; %bb.63:                               ;   in Loop: Header=BB198_5 Depth=1
	v_add_u32_e32 v18, v46, v4
	v_ashrrev_i32_e32 v19, 31, v18
	v_lshl_add_u64 v[18:19], v[18:19], 3, s[10:11]
	global_load_dwordx2 v[20:21], v[18:19], off
	v_mov_b32_e32 v17, v16
	v_mov_b32_e32 v7, v6
	v_pk_mul_f32 v[22:23], v[16:17], v[26:27]
	s_nop 0
	v_pk_fma_f32 v[8:9], v[8:9], v[6:7], v[22:23]
	s_nop 0
	v_pk_add_f32 v[22:23], v[8:9], 0 neg_lo:[1,1] neg_hi:[1,1]
	s_nop 0
	v_pk_mov_b32 v[22:23], v[8:9], v[22:23] op_sel:[1,0]
	s_nop 0
	v_pk_mul_f32 v[10:11], v[22:23], v[10:11] op_sel:[0,1]
	s_nop 0
	v_pk_fma_f32 v[8:9], v[8:9], v[14:15], v[10:11] neg_lo:[1,0,0] neg_hi:[1,0,0]
	s_waitcnt vmcnt(0)
	v_pk_add_f32 v[8:9], v[8:9], v[20:21]
	global_store_dwordx2 v[18:19], v[8:9], off
	s_branch .LBB198_3
.LBB198_64:
	s_or_b64 exec, exec, s[20:21]
.LBB198_65:
	v_subrev_u32_e32 v1, s28, v4
	v_add_u32_e32 v4, v1, v0
	v_ashrrev_i32_e32 v5, 31, v4
	s_waitcnt lgkmcnt(0)
	v_lshl_add_u64 v[4:5], v[4:5], 2, s[6:7]
	buffer_wbl2 sc1
	s_waitcnt vmcnt(0)
	buffer_inv sc1
	global_load_dword v4, v[4:5], off
	s_waitcnt vmcnt(0)
	v_mul_lo_u32 v4, v4, s28
	v_sub_u32_e32 v4, v1, v4
	v_cmp_lt_i32_e32 vcc, -1, v4
	s_and_b64 exec, exec, vcc
	s_cbranch_execz .LBB198_72
; %bb.66:
	v_subrev_u32_e32 v1, s28, v0
	s_lshl_b32 s4, s28, 1
	s_mov_b64 s[0:1], 0
	s_branch .LBB198_68
.LBB198_67:                             ;   in Loop: Header=BB198_68 Depth=1
	s_or_b64 exec, exec, s[2:3]
	v_lshl_add_u64 v[6:7], v[6:7], 3, s[12:13]
	global_load_dwordx2 v[8:9], v[6:7], off
	v_sub_u32_e32 v4, v4, v5
	v_cmp_gt_i32_e32 vcc, 0, v4
	s_or_b64 s[0:1], vcc, s[0:1]
	s_waitcnt vmcnt(0)
	v_pk_add_f32 v[8:9], v[8:9], v[10:11]
	global_store_dwordx2 v[6:7], v[8:9], off
	s_andn2_b64 exec, exec, s[0:1]
	s_cbranch_execz .LBB198_72
.LBB198_68:                             ; =>This Inner Loop Header: Depth=1
	v_add_u32_e32 v6, v4, v0
	v_ashrrev_i32_e32 v7, 31, v6
	v_lshl_add_u64 v[8:9], v[6:7], 2, s[6:7]
	global_load_dword v5, v[8:9], off
	v_lshl_add_u64 v[8:9], v[6:7], 3, s[14:15]
	global_load_dwordx2 v[8:9], v[8:9], off
                                        ; implicit-def: $vgpr10_vgpr11
	s_waitcnt vmcnt(1)
	v_cmp_ne_u32_e32 vcc, 1, v5
	s_and_saveexec_b64 s[2:3], vcc
	s_xor_b64 s[2:3], exec, s[2:3]
	s_cbranch_execz .LBB198_70
; %bb.69:                               ;   in Loop: Header=BB198_68 Depth=1
	v_add_u32_e32 v10, v46, v4
	v_ashrrev_i32_e32 v11, 31, v10
	v_lshlrev_b64 v[10:11], 3, v[10:11]
	v_lshl_add_u64 v[12:13], s[10:11], 0, v[10:11]
	global_load_dwordx2 v[14:15], v[12:13], off
	v_ashrrev_i32_e32 v5, 31, v4
	v_lshl_add_u64 v[10:11], s[12:13], 0, v[10:11]
	global_load_dwordx2 v[16:17], v[10:11], off
	v_lshl_add_u64 v[18:19], v[4:5], 3, v[2:3]
	global_load_dwordx2 v[20:21], v[18:19], off
	;; [unrolled: 2-line block ×3, first 2 shown]
	v_add_u32_e32 v24, v1, v4
	s_waitcnt vmcnt(4)
	v_pk_add_f32 v[26:27], v[8:9], 0 neg_lo:[1,1] neg_hi:[1,1]
	v_ashrrev_i32_e32 v25, 31, v24
	v_pk_mov_b32 v[26:27], v[8:9], v[26:27] op_sel:[1,0]
	v_lshlrev_b64 v[28:29], 3, v[24:25]
	v_lshl_add_u64 v[30:31], s[14:15], 0, v[28:29]
	global_load_dwordx2 v[30:31], v[30:31], off
	s_waitcnt vmcnt(4)
	v_pk_mul_f32 v[32:33], v[26:27], v[14:15] op_sel:[0,1]
	s_nop 0
	v_pk_fma_f32 v[14:15], v[8:9], v[14:15], v[32:33] op_sel_hi:[1,0,1] neg_lo:[1,0,0] neg_hi:[1,0,0]
	s_waitcnt vmcnt(3)
	v_pk_mul_f32 v[26:27], v[26:27], v[16:17] op_sel:[0,1]
	s_nop 0
	v_pk_fma_f32 v[8:9], v[8:9], v[16:17], v[26:27] op_sel_hi:[1,0,1] neg_lo:[1,0,0] neg_hi:[1,0,0]
	s_waitcnt vmcnt(2)
	v_pk_add_f32 v[14:15], v[20:21], v[14:15]
	s_waitcnt vmcnt(1)
	v_pk_add_f32 v[8:9], v[22:23], v[8:9]
	global_store_dwordx2 v[18:19], v[14:15], off
	global_store_dwordx2 v[6:7], v[8:9], off
	global_load_dwordx2 v[6:7], v[12:13], off
	s_nop 0
	global_load_dwordx2 v[8:9], v[10:11], off
	v_lshl_add_u64 v[12:13], s[10:11], 0, v[28:29]
	global_load_dwordx2 v[14:15], v[12:13], off
	s_waitcnt vmcnt(5)
	v_pk_add_f32 v[10:11], v[30:31], 0 neg_lo:[1,1] neg_hi:[1,1]
	s_nop 0
	v_pk_mov_b32 v[10:11], v[30:31], v[10:11] op_sel:[1,0]
	s_waitcnt vmcnt(2)
	v_pk_mul_f32 v[16:17], v[10:11], v[6:7] op_sel:[0,1]
	s_nop 0
	v_pk_fma_f32 v[6:7], v[30:31], v[6:7], v[16:17] op_sel_hi:[1,0,1] neg_lo:[1,0,0] neg_hi:[1,0,0]
	s_waitcnt vmcnt(1)
	v_pk_mul_f32 v[10:11], v[8:9], v[10:11] op_sel:[1,0]
	s_waitcnt vmcnt(0)
	v_pk_add_f32 v[6:7], v[14:15], v[6:7]
	v_pk_fma_f32 v[10:11], v[30:31], v[8:9], v[10:11] op_sel_hi:[1,0,1] neg_lo:[1,0,0] neg_hi:[1,0,0]
	global_store_dwordx2 v[12:13], v[6:7], off
	v_mov_b64_e32 v[6:7], v[24:25]
                                        ; implicit-def: $vgpr8_vgpr9
.LBB198_70:                             ;   in Loop: Header=BB198_68 Depth=1
	s_or_saveexec_b64 s[2:3], s[2:3]
	v_mov_b32_e32 v5, s4
	s_xor_b64 exec, exec, s[2:3]
	s_cbranch_execz .LBB198_67
; %bb.71:                               ;   in Loop: Header=BB198_68 Depth=1
	v_add_u32_e32 v10, v46, v4
	v_ashrrev_i32_e32 v11, 31, v10
	v_lshlrev_b64 v[10:11], 3, v[10:11]
	v_lshl_add_u64 v[12:13], s[10:11], 0, v[10:11]
	global_load_dwordx2 v[12:13], v[12:13], off
	v_lshl_add_u64 v[10:11], s[12:13], 0, v[10:11]
	v_ashrrev_i32_e32 v5, 31, v4
	global_load_dwordx2 v[10:11], v[10:11], off
	v_lshl_add_u64 v[14:15], v[4:5], 3, v[2:3]
	global_load_dwordx2 v[16:17], v[14:15], off
	s_waitcnt vmcnt(3)
	v_pk_add_f32 v[18:19], v[8:9], 0 neg_lo:[1,1] neg_hi:[1,1]
	v_mov_b32_e32 v5, s28
	v_pk_mov_b32 v[18:19], v[8:9], v[18:19] op_sel:[1,0]
	s_waitcnt vmcnt(2)
	v_pk_mul_f32 v[20:21], v[18:19], v[12:13] op_sel:[0,1]
	s_nop 0
	v_pk_fma_f32 v[12:13], v[8:9], v[12:13], v[20:21] op_sel_hi:[1,0,1] neg_lo:[1,0,0] neg_hi:[1,0,0]
	s_waitcnt vmcnt(1)
	v_pk_mul_f32 v[18:19], v[18:19], v[10:11] op_sel:[0,1]
	s_nop 0
	v_pk_fma_f32 v[10:11], v[8:9], v[10:11], v[18:19] op_sel_hi:[1,0,1] neg_lo:[1,0,0] neg_hi:[1,0,0]
	s_waitcnt vmcnt(0)
	v_pk_add_f32 v[8:9], v[16:17], v[12:13]
	global_store_dwordx2 v[14:15], v[8:9], off
	s_branch .LBB198_67
.LBB198_72:
	s_endpgm
	.section	.rodata,"a",@progbits
	.p2align	6, 0x0
	.amdhsa_kernel _ZN9rocsparseL18gtsv_LBM_wv_kernelILj256ELj4E21rocsparse_complex_numIfEEEviiiPKT1_S5_S5_PS3_S6_S6_Pi
		.amdhsa_group_segment_fixed_size 0
		.amdhsa_private_segment_fixed_size 0
		.amdhsa_kernarg_size 72
		.amdhsa_user_sgpr_count 2
		.amdhsa_user_sgpr_dispatch_ptr 0
		.amdhsa_user_sgpr_queue_ptr 0
		.amdhsa_user_sgpr_kernarg_segment_ptr 1
		.amdhsa_user_sgpr_dispatch_id 0
		.amdhsa_user_sgpr_kernarg_preload_length 0
		.amdhsa_user_sgpr_kernarg_preload_offset 0
		.amdhsa_user_sgpr_private_segment_size 0
		.amdhsa_uses_dynamic_stack 0
		.amdhsa_enable_private_segment 0
		.amdhsa_system_sgpr_workgroup_id_x 1
		.amdhsa_system_sgpr_workgroup_id_y 0
		.amdhsa_system_sgpr_workgroup_id_z 0
		.amdhsa_system_sgpr_workgroup_info 0
		.amdhsa_system_vgpr_workitem_id 0
		.amdhsa_next_free_vgpr 68
		.amdhsa_next_free_sgpr 34
		.amdhsa_accum_offset 68
		.amdhsa_reserve_vcc 1
		.amdhsa_float_round_mode_32 0
		.amdhsa_float_round_mode_16_64 0
		.amdhsa_float_denorm_mode_32 3
		.amdhsa_float_denorm_mode_16_64 3
		.amdhsa_dx10_clamp 1
		.amdhsa_ieee_mode 1
		.amdhsa_fp16_overflow 0
		.amdhsa_tg_split 0
		.amdhsa_exception_fp_ieee_invalid_op 0
		.amdhsa_exception_fp_denorm_src 0
		.amdhsa_exception_fp_ieee_div_zero 0
		.amdhsa_exception_fp_ieee_overflow 0
		.amdhsa_exception_fp_ieee_underflow 0
		.amdhsa_exception_fp_ieee_inexact 0
		.amdhsa_exception_int_div_zero 0
	.end_amdhsa_kernel
	.section	.text._ZN9rocsparseL18gtsv_LBM_wv_kernelILj256ELj4E21rocsparse_complex_numIfEEEviiiPKT1_S5_S5_PS3_S6_S6_Pi,"axG",@progbits,_ZN9rocsparseL18gtsv_LBM_wv_kernelILj256ELj4E21rocsparse_complex_numIfEEEviiiPKT1_S5_S5_PS3_S6_S6_Pi,comdat
.Lfunc_end198:
	.size	_ZN9rocsparseL18gtsv_LBM_wv_kernelILj256ELj4E21rocsparse_complex_numIfEEEviiiPKT1_S5_S5_PS3_S6_S6_Pi, .Lfunc_end198-_ZN9rocsparseL18gtsv_LBM_wv_kernelILj256ELj4E21rocsparse_complex_numIfEEEviiiPKT1_S5_S5_PS3_S6_S6_Pi
                                        ; -- End function
	.set _ZN9rocsparseL18gtsv_LBM_wv_kernelILj256ELj4E21rocsparse_complex_numIfEEEviiiPKT1_S5_S5_PS3_S6_S6_Pi.num_vgpr, 68
	.set _ZN9rocsparseL18gtsv_LBM_wv_kernelILj256ELj4E21rocsparse_complex_numIfEEEviiiPKT1_S5_S5_PS3_S6_S6_Pi.num_agpr, 0
	.set _ZN9rocsparseL18gtsv_LBM_wv_kernelILj256ELj4E21rocsparse_complex_numIfEEEviiiPKT1_S5_S5_PS3_S6_S6_Pi.numbered_sgpr, 34
	.set _ZN9rocsparseL18gtsv_LBM_wv_kernelILj256ELj4E21rocsparse_complex_numIfEEEviiiPKT1_S5_S5_PS3_S6_S6_Pi.num_named_barrier, 0
	.set _ZN9rocsparseL18gtsv_LBM_wv_kernelILj256ELj4E21rocsparse_complex_numIfEEEviiiPKT1_S5_S5_PS3_S6_S6_Pi.private_seg_size, 0
	.set _ZN9rocsparseL18gtsv_LBM_wv_kernelILj256ELj4E21rocsparse_complex_numIfEEEviiiPKT1_S5_S5_PS3_S6_S6_Pi.uses_vcc, 1
	.set _ZN9rocsparseL18gtsv_LBM_wv_kernelILj256ELj4E21rocsparse_complex_numIfEEEviiiPKT1_S5_S5_PS3_S6_S6_Pi.uses_flat_scratch, 0
	.set _ZN9rocsparseL18gtsv_LBM_wv_kernelILj256ELj4E21rocsparse_complex_numIfEEEviiiPKT1_S5_S5_PS3_S6_S6_Pi.has_dyn_sized_stack, 0
	.set _ZN9rocsparseL18gtsv_LBM_wv_kernelILj256ELj4E21rocsparse_complex_numIfEEEviiiPKT1_S5_S5_PS3_S6_S6_Pi.has_recursion, 0
	.set _ZN9rocsparseL18gtsv_LBM_wv_kernelILj256ELj4E21rocsparse_complex_numIfEEEviiiPKT1_S5_S5_PS3_S6_S6_Pi.has_indirect_call, 0
	.section	.AMDGPU.csdata,"",@progbits
; Kernel info:
; codeLenInByte = 6476
; TotalNumSgprs: 40
; NumVgprs: 68
; NumAgprs: 0
; TotalNumVgprs: 68
; ScratchSize: 0
; MemoryBound: 0
; FloatMode: 240
; IeeeMode: 1
; LDSByteSize: 0 bytes/workgroup (compile time only)
; SGPRBlocks: 4
; VGPRBlocks: 8
; NumSGPRsForWavesPerEU: 40
; NumVGPRsForWavesPerEU: 68
; AccumOffset: 68
; Occupancy: 7
; WaveLimiterHint : 0
; COMPUTE_PGM_RSRC2:SCRATCH_EN: 0
; COMPUTE_PGM_RSRC2:USER_SGPR: 2
; COMPUTE_PGM_RSRC2:TRAP_HANDLER: 0
; COMPUTE_PGM_RSRC2:TGID_X_EN: 1
; COMPUTE_PGM_RSRC2:TGID_Y_EN: 0
; COMPUTE_PGM_RSRC2:TGID_Z_EN: 0
; COMPUTE_PGM_RSRC2:TIDIG_COMP_CNT: 0
; COMPUTE_PGM_RSRC3_GFX90A:ACCUM_OFFSET: 16
; COMPUTE_PGM_RSRC3_GFX90A:TG_SPLIT: 0
	.section	.text._ZN9rocsparseL19gtsv_LBM_rhs_kernelILj256ELj4ELj8E21rocsparse_complex_numIfEEEviiiPKT2_S5_S5_PS3_S5_PKi,"axG",@progbits,_ZN9rocsparseL19gtsv_LBM_rhs_kernelILj256ELj4ELj8E21rocsparse_complex_numIfEEEviiiPKT2_S5_S5_PS3_S5_PKi,comdat
	.globl	_ZN9rocsparseL19gtsv_LBM_rhs_kernelILj256ELj4ELj8E21rocsparse_complex_numIfEEEviiiPKT2_S5_S5_PS3_S5_PKi ; -- Begin function _ZN9rocsparseL19gtsv_LBM_rhs_kernelILj256ELj4ELj8E21rocsparse_complex_numIfEEEviiiPKT2_S5_S5_PS3_S5_PKi
	.p2align	8
	.type	_ZN9rocsparseL19gtsv_LBM_rhs_kernelILj256ELj4ELj8E21rocsparse_complex_numIfEEEviiiPKT2_S5_S5_PS3_S5_PKi,@function
_ZN9rocsparseL19gtsv_LBM_rhs_kernelILj256ELj4ELj8E21rocsparse_complex_numIfEEEviiiPKT2_S5_S5_PS3_S5_PKi: ; @_ZN9rocsparseL19gtsv_LBM_rhs_kernelILj256ELj4ELj8E21rocsparse_complex_numIfEEEviiiPKT2_S5_S5_PS3_S5_PKi
; %bb.0:
	s_load_dword s23, s[0:1], 0x0
	v_lshl_or_b32 v0, s2, 8, v0
	s_waitcnt lgkmcnt(0)
	s_lshr_b32 s22, s23, 2
	v_cmp_gt_i32_e32 vcc, s22, v0
	s_and_saveexec_b64 s[4:5], vcc
	s_cbranch_execz .LBB199_29
; %bb.1:
	s_load_dwordx4 s[8:11], s[0:1], 0x28
	s_load_dwordx2 s[6:7], s[0:1], 0x38
	s_cmp_lt_i32 s23, 1
	v_add_u32_e32 v92, s22, v0
	s_mul_i32 s24, s3, s23
	s_cbranch_scc1 .LBB199_21
; %bb.2:
	s_load_dwordx4 s[12:15], s[0:1], 0x10
	s_load_dwordx2 s[16:17], s[0:1], 0x20
	v_ashrrev_i32_e32 v1, 31, v0
	s_lshl_b32 s27, s24, 3
	s_add_i32 s28, s27, s23
	s_waitcnt lgkmcnt(0)
	v_lshl_add_u64 v[2:3], v[0:1], 3, s[14:15]
	global_load_dwordx2 v[4:5], v[2:3], off
	s_add_i32 s29, s28, s23
	s_add_i32 s30, s29, s23
	;; [unrolled: 1-line block ×5, first 2 shown]
	s_mul_i32 s25, s22, 3
	s_lshl_b32 s26, s22, 1
	v_add_u32_e32 v1, s22, v92
	s_add_i32 s35, s34, s23
	v_mov_b32_e32 v3, 0
	s_mov_b64 s[18:19], 0
	v_mov_b32_e32 v93, 0
	s_branch .LBB199_5
.LBB199_3:                              ;   in Loop: Header=BB199_5 Depth=1
	s_or_b64 exec, exec, s[4:5]
	v_mov_b32_e32 v19, v6
	v_pk_mul_f32 v[10:11], v[12:13], v[18:19] op_sel:[1,0]
	s_nop 0
	v_pk_fma_f32 v[6:7], v[6:7], v[12:13], v[10:11] op_sel_hi:[1,0,1]
	s_nop 0
	v_xor_b32_e32 v10, 0x80000000, v7
	v_mov_b32_e32 v11, v6
	v_pk_mul_f32 v[8:9], v[8:9], v[10:11] op_sel_hi:[0,1]
	v_pk_fma_f32 v[4:5], v[6:7], v[4:5], v[8:9] op_sel_hi:[1,0,1]
	v_mov_b32_e32 v8, s22
	v_pk_add_f32 v[4:5], v[14:15], v[4:5] neg_lo:[0,1] neg_hi:[0,1]
.LBB199_4:                              ;   in Loop: Header=BB199_5 Depth=1
	s_or_b64 exec, exec, s[2:3]
	v_add_u32_e32 v93, v8, v93
	v_cmp_le_i32_e32 vcc, s23, v93
	s_or_b64 s[18:19], vcc, s[18:19]
	s_andn2_b64 exec, exec, s[18:19]
	s_cbranch_execz .LBB199_20
.LBB199_5:                              ; =>This Inner Loop Header: Depth=1
	v_add_u32_e32 v16, v93, v0
	v_ashrrev_i32_e32 v17, 31, v16
	v_lshl_add_u64 v[6:7], v[16:17], 3, s[16:17]
	global_load_dwordx2 v[12:13], v[6:7], off
	v_cmp_gt_u32_e64 s[0:1], s25, v93
	v_mov_b32_e32 v6, 0
	v_mov_b32_e32 v7, 0
	s_and_saveexec_b64 s[2:3], s[0:1]
	s_cbranch_execz .LBB199_7
; %bb.6:                                ;   in Loop: Header=BB199_5 Depth=1
	v_add_u32_e32 v6, v92, v93
	v_ashrrev_i32_e32 v7, 31, v6
	v_lshl_add_u64 v[6:7], v[6:7], 3, s[12:13]
	global_load_dwordx2 v[6:7], v[6:7], off
.LBB199_7:                              ;   in Loop: Header=BB199_5 Depth=1
	s_or_b64 exec, exec, s[2:3]
	v_mov_b32_e32 v8, 0
	v_mov_b32_e32 v14, 0
	v_mov_b32_e32 v15, 0
	s_and_saveexec_b64 s[2:3], s[0:1]
	s_cbranch_execz .LBB199_9
; %bb.8:                                ;   in Loop: Header=BB199_5 Depth=1
	v_add_u32_e32 v10, v92, v93
	v_ashrrev_i32_e32 v11, 31, v10
	v_lshl_add_u64 v[10:11], v[10:11], 3, s[14:15]
	global_load_dwordx2 v[14:15], v[10:11], off
.LBB199_9:                              ;   in Loop: Header=BB199_5 Depth=1
	s_or_b64 exec, exec, s[2:3]
	v_mov_b32_e32 v9, 0
	s_and_saveexec_b64 s[2:3], s[0:1]
	s_cbranch_execz .LBB199_11
; %bb.10:                               ;   in Loop: Header=BB199_5 Depth=1
	v_add_u32_e32 v8, v92, v93
	v_ashrrev_i32_e32 v9, 31, v8
	v_lshl_add_u64 v[8:9], v[8:9], 3, s[16:17]
	global_load_dwordx2 v[8:9], v[8:9], off
.LBB199_11:                             ;   in Loop: Header=BB199_5 Depth=1
	s_or_b64 exec, exec, s[2:3]
	v_cmp_gt_u32_e64 s[2:3], s26, v93
	v_mov_b32_e32 v10, 0
	v_mov_b32_e32 v11, 0
	s_and_saveexec_b64 s[4:5], s[2:3]
	s_cbranch_execz .LBB199_13
; %bb.12:                               ;   in Loop: Header=BB199_5 Depth=1
	v_add_u32_e32 v10, v1, v93
	v_ashrrev_i32_e32 v11, 31, v10
	v_lshl_add_u64 v[10:11], v[10:11], 3, s[12:13]
	global_load_dwordx2 v[10:11], v[10:11], off
.LBB199_13:                             ;   in Loop: Header=BB199_5 Depth=1
	s_or_b64 exec, exec, s[4:5]
	v_lshl_add_u64 v[18:19], v[16:17], 2, s[6:7]
	global_load_dword v17, v[18:19], off
	v_cmp_ne_u32_e32 vcc, s25, v93
	v_add_u32_e32 v2, s27, v16
	v_add_u32_e32 v38, s28, v16
	;; [unrolled: 1-line block ×8, first 2 shown]
	s_waitcnt vmcnt(1)
	v_xor_b32_e32 v18, 0x80000000, v7
	s_waitcnt vmcnt(0)
	v_cmp_ne_u32_e64 s[4:5], 1, v17
	s_and_b64 s[4:5], vcc, s[4:5]
	s_and_saveexec_b64 s[20:21], s[4:5]
	s_xor_b64 s[4:5], exec, s[20:21]
	s_cbranch_execz .LBB199_17
; %bb.14:                               ;   in Loop: Header=BB199_5 Depth=1
	v_add_u32_e32 v46, v92, v93
	v_lshl_add_u64 v[30:31], v[2:3], 3, s[8:9]
	v_add_u32_e32 v2, s27, v46
	v_mov_b32_e32 v39, v3
	v_mov_b32_e32 v35, v3
	v_lshl_add_u64 v[22:23], v[2:3], 3, s[8:9]
	v_lshl_add_u64 v[38:39], v[38:39], 3, s[8:9]
	;; [unrolled: 1-line block ×3, first 2 shown]
	global_load_dwordx2 v[36:37], v[30:31], off
	global_load_dwordx2 v[42:43], v[38:39], off
	;; [unrolled: 1-line block ×4, first 2 shown]
	v_add_u32_e32 v2, s28, v46
	v_lshl_add_u64 v[90:91], v[2:3], 3, s[8:9]
	v_xor_b32_e32 v16, 0x80000000, v5
	v_mov_b32_e32 v33, v3
	v_mov_b32_e32 v17, v4
	;; [unrolled: 1-line block ×3, first 2 shown]
	global_load_dwordx2 v[44:45], v[90:91], off
	v_mov_b32_e32 v21, v3
	v_lshl_add_u64 v[48:49], v[32:33], 3, s[8:9]
	v_pk_mul_f32 v[32:33], v[14:15], v[16:17] op_sel:[1,0]
	v_pk_mul_f32 v[18:19], v[12:13], v[18:19] op_sel:[1,0]
	v_add_u32_e32 v2, s29, v46
	v_lshl_add_u64 v[96:97], v[2:3], 3, s[8:9]
	v_lshl_add_u64 v[98:99], v[20:21], 3, s[8:9]
	v_pk_fma_f32 v[20:21], v[4:5], v[14:15], v[32:33] op_sel_hi:[1,0,1]
	v_pk_fma_f32 v[18:19], v[6:7], v[12:13], v[18:19] op_sel_hi:[1,0,1]
	global_load_dwordx2 v[54:55], v[96:97], off
	v_pk_add_f32 v[18:19], v[20:21], v[18:19] neg_lo:[0,1] neg_hi:[0,1]
	v_add_u32_e32 v2, s30, v46
	v_mul_f32_e32 v20, v19, v19
	v_mov_b32_e32 v29, v3
	v_mov_b32_e32 v27, v3
	;; [unrolled: 1-line block ×3, first 2 shown]
	v_lshl_add_u64 v[102:103], v[2:3], 3, s[8:9]
	v_fmac_f32_e32 v20, v18, v18
	v_lshl_add_u64 v[28:29], v[28:29], 3, s[8:9]
	v_lshl_add_u64 v[26:27], v[26:27], 3, s[8:9]
	v_lshl_add_u64 v[24:25], v[24:25], 3, s[8:9]
	global_load_dwordx2 v[56:57], v[48:49], off
	global_load_dwordx2 v[58:59], v[28:29], off
	global_load_dwordx2 v[62:63], v[26:27], off
	global_load_dwordx2 v[100:101], v[24:25], off
	global_load_dwordx2 v[66:67], v[102:103], off
	v_fma_f32 v21, 0, v19, v18
	v_fma_f32 v19, v18, 0, -v19
	v_add_u32_e32 v2, s31, v46
	v_div_scale_f32 v18, s[20:21], v20, v20, 1.0
	v_lshl_add_u64 v[104:105], v[2:3], 3, s[8:9]
	v_rcp_f32_e32 v33, v18
	global_load_dwordx2 v[80:81], v[104:105], off
	v_add_u32_e32 v2, s33, v46
	v_lshl_add_u64 v[106:107], v[2:3], 3, s[8:9]
	v_add_u32_e32 v2, s34, v46
	v_lshl_add_u64 v[108:109], v[2:3], 3, s[8:9]
	v_fma_f32 v2, -v18, v33, 1.0
	v_div_scale_f32 v32, vcc, 1.0, v20, 1.0
	global_load_dwordx2 v[110:111], v[106:107], off
	global_load_dwordx2 v[114:115], v[98:99], off
	v_fmac_f32_e32 v33, v2, v33
	v_mul_f32_e32 v2, v32, v33
	v_fma_f32 v47, -v18, v2, v32
	v_fmac_f32_e32 v2, v47, v33
	global_load_dwordx2 v[112:113], v[108:109], off
	v_fma_f32 v18, -v18, v2, v32
	v_div_fmas_f32 v2, v18, v33, v2
	v_div_fixup_f32 v2, v2, v20, 1.0
	v_mul_f32_e32 v18, v21, v2
	v_mul_f32_e32 v20, v19, v2
	v_add_u32_e32 v2, s35, v46
	v_lshl_add_u64 v[116:117], v[2:3], 3, s[8:9]
	global_load_dwordx2 v[118:119], v[116:117], off
	v_xor_b32_e32 v88, 0x80000000, v15
	v_mov_b32_e32 v89, v14
	v_xor_b32_e32 v94, 0x80000000, v13
	v_mov_b32_e32 v95, v12
	v_mov_b32_e32 v2, v3
	s_waitcnt vmcnt(15)
	v_mul_f32_e32 v78, v20, v36
	v_mul_f32_e64 v72, v20, -v37
	v_fmac_f32_e32 v78, v37, v18
	s_waitcnt vmcnt(12)
	v_mul_f32_e32 v86, v20, v40
	v_mul_f32_e64 v82, v20, -v41
	v_fmac_f32_e32 v86, v41, v18
	v_fmac_f32_e32 v72, v36, v18
	v_pk_mul_f32 v[32:33], v[78:79], v[88:89] op_sel_hi:[0,1]
	v_fmac_f32_e32 v82, v40, v18
	v_pk_mul_f32 v[36:37], v[86:87], v[94:95] op_sel_hi:[0,1]
	v_pk_fma_f32 v[32:33], v[14:15], v[72:73], v[32:33] op_sel_hi:[1,0,1]
	v_pk_fma_f32 v[36:37], v[12:13], v[82:83], v[36:37] op_sel_hi:[1,0,1]
	v_mul_f32_e32 v46, v20, v42
	s_waitcnt vmcnt(11)
	v_mul_f32_e32 v60, v20, v44
	v_pk_add_f32 v[32:33], v[32:33], v[36:37] neg_lo:[0,1] neg_hi:[0,1]
	v_mul_f32_e64 v36, v20, -v43
	v_fmac_f32_e32 v46, v43, v18
	v_mul_f32_e64 v50, v20, -v45
	v_fmac_f32_e32 v60, v45, v18
	global_store_dwordx2 v[30:31], v[32:33], off
	v_fmac_f32_e32 v36, v42, v18
	v_fmac_f32_e32 v50, v44, v18
	v_pk_mul_f32 v[30:31], v[46:47], v[88:89] op_sel_hi:[0,1]
	v_pk_mul_f32 v[32:33], v[60:61], v[94:95] op_sel_hi:[0,1]
	v_pk_fma_f32 v[30:31], v[14:15], v[36:37], v[30:31] op_sel_hi:[1,0,1]
	v_pk_fma_f32 v[32:33], v[12:13], v[50:51], v[32:33] op_sel_hi:[1,0,1]
	v_mul_f32_e32 v74, v20, v52
	s_waitcnt vmcnt(11)
	v_mul_f32_e32 v84, v20, v54
	v_pk_add_f32 v[30:31], v[30:31], v[32:33] neg_lo:[0,1] neg_hi:[0,1]
	v_mul_f32_e64 v64, v20, -v53
	v_fmac_f32_e32 v74, v53, v18
	v_mul_f32_e64 v76, v20, -v55
	v_fmac_f32_e32 v84, v55, v18
	global_store_dwordx2 v[38:39], v[30:31], off
	v_fmac_f32_e32 v64, v52, v18
	v_fmac_f32_e32 v76, v54, v18
	v_pk_mul_f32 v[30:31], v[74:75], v[88:89] op_sel_hi:[0,1]
	v_pk_mul_f32 v[32:33], v[84:85], v[94:95] op_sel_hi:[0,1]
	v_pk_fma_f32 v[30:31], v[14:15], v[64:65], v[30:31] op_sel_hi:[1,0,1]
	v_pk_fma_f32 v[32:33], v[12:13], v[76:77], v[32:33] op_sel_hi:[1,0,1]
	s_waitcnt vmcnt(11)
	v_mul_f32_e32 v42, v20, v56
	s_waitcnt vmcnt(7)
	v_mul_f32_e32 v52, v20, v66
	v_pk_add_f32 v[30:31], v[30:31], v[32:33] neg_lo:[0,1] neg_hi:[0,1]
	v_mul_f32_e64 v32, v20, -v57
	v_fmac_f32_e32 v42, v57, v18
	v_mul_f32_e64 v44, v20, -v67
	v_fmac_f32_e32 v52, v67, v18
	global_store_dwordx2 v[34:35], v[30:31], off
	v_fmac_f32_e32 v32, v56, v18
	v_fmac_f32_e32 v44, v66, v18
	v_pk_mul_f32 v[30:31], v[42:43], v[88:89] op_sel_hi:[0,1]
	v_pk_mul_f32 v[34:35], v[52:53], v[94:95] op_sel_hi:[0,1]
	s_waitcnt vmcnt(7)
	v_mul_f32_e64 v70, v20, -v81
	v_pk_fma_f32 v[30:31], v[14:15], v[32:33], v[30:31] op_sel_hi:[1,0,1]
	v_pk_fma_f32 v[34:35], v[12:13], v[44:45], v[34:35] op_sel_hi:[1,0,1]
	v_mul_f32_e32 v68, v20, v58
	v_fmac_f32_e32 v70, v80, v18
	v_mul_f32_e32 v80, v20, v80
	v_pk_add_f32 v[30:31], v[30:31], v[34:35] neg_lo:[0,1] neg_hi:[0,1]
	v_mul_f32_e64 v56, v20, -v59
	v_fmac_f32_e32 v68, v59, v18
	v_fmac_f32_e32 v80, v81, v18
	global_store_dwordx2 v[48:49], v[30:31], off
	v_fmac_f32_e32 v56, v58, v18
	v_pk_mul_f32 v[30:31], v[68:69], v[88:89] op_sel_hi:[0,1]
	v_pk_mul_f32 v[34:35], v[80:81], v[94:95] op_sel_hi:[0,1]
	v_pk_fma_f32 v[30:31], v[14:15], v[56:57], v[30:31] op_sel_hi:[1,0,1]
	v_pk_fma_f32 v[34:35], v[12:13], v[70:71], v[34:35] op_sel_hi:[1,0,1]
	v_mul_f32_e64 v54, v20, -v63
	v_mul_f32_e32 v58, v20, v62
	s_waitcnt vmcnt(7)
	v_mul_f32_e32 v66, v20, v110
	v_pk_add_f32 v[30:31], v[30:31], v[34:35] neg_lo:[0,1] neg_hi:[0,1]
	v_fmac_f32_e32 v54, v62, v18
	v_fmac_f32_e32 v58, v63, v18
	v_mul_f32_e64 v62, v20, -v111
	v_fmac_f32_e32 v66, v111, v18
	global_store_dwordx2 v[28:29], v[30:31], off
	v_fmac_f32_e32 v62, v110, v18
	v_pk_mul_f32 v[28:29], v[58:59], v[88:89] op_sel_hi:[0,1]
	v_pk_mul_f32 v[30:31], v[66:67], v[94:95] op_sel_hi:[0,1]
	v_pk_fma_f32 v[28:29], v[14:15], v[54:55], v[28:29] op_sel_hi:[1,0,1]
	v_pk_fma_f32 v[30:31], v[12:13], v[62:63], v[30:31] op_sel_hi:[1,0,1]
	v_mul_f32_e32 v38, v20, v100
	s_waitcnt vmcnt(6)
	v_mul_f32_e32 v48, v20, v112
	v_pk_add_f32 v[28:29], v[28:29], v[30:31] neg_lo:[0,1] neg_hi:[0,1]
	v_mul_f32_e64 v34, v20, -v101
	v_fmac_f32_e32 v38, v101, v18
	v_mul_f32_e64 v40, v20, -v113
	v_fmac_f32_e32 v48, v113, v18
	global_store_dwordx2 v[26:27], v[28:29], off
	v_fmac_f32_e32 v34, v100, v18
	v_fmac_f32_e32 v40, v112, v18
	v_pk_mul_f32 v[26:27], v[38:39], v[88:89] op_sel_hi:[0,1]
	v_pk_mul_f32 v[28:29], v[48:49], v[94:95] op_sel_hi:[0,1]
	v_pk_fma_f32 v[26:27], v[14:15], v[34:35], v[26:27] op_sel_hi:[1,0,1]
	v_pk_fma_f32 v[28:29], v[12:13], v[40:41], v[28:29] op_sel_hi:[1,0,1]
	s_waitcnt vmcnt(6)
	v_mul_f32_e32 v30, v20, v118
	v_pk_add_f32 v[26:27], v[26:27], v[28:29] neg_lo:[0,1] neg_hi:[0,1]
	global_store_dwordx2 v[24:25], v[26:27], off
	v_mul_f32_e32 v26, v20, v114
	v_mul_f32_e64 v24, v20, -v115
	v_fmac_f32_e32 v26, v115, v18
	v_fmac_f32_e32 v24, v114, v18
	v_mul_f32_e64 v28, v20, -v119
	v_fmac_f32_e32 v30, v119, v18
	v_pk_mul_f32 v[88:89], v[26:27], v[88:89] op_sel_hi:[0,1]
	v_fmac_f32_e32 v28, v118, v18
	v_pk_fma_f32 v[14:15], v[14:15], v[24:25], v[88:89] op_sel_hi:[1,0,1]
	v_pk_mul_f32 v[88:89], v[30:31], v[94:95] op_sel_hi:[0,1]
	v_pk_fma_f32 v[12:13], v[12:13], v[28:29], v[88:89] op_sel_hi:[1,0,1]
	v_pk_mul_f32 v[88:89], v[86:87], v[16:17] op_sel_hi:[0,1]
	v_pk_add_f32 v[12:13], v[14:15], v[12:13] neg_lo:[0,1] neg_hi:[0,1]
	global_store_dwordx2 v[98:99], v[12:13], off
	v_pk_add_f32 v[12:13], v[6:7], 0 neg_lo:[1,1] neg_hi:[1,1]
	v_pk_fma_f32 v[88:89], v[4:5], v[82:83], v[88:89] op_sel_hi:[1,0,1]
	v_pk_mov_b32 v[14:15], v[6:7], v[12:13] op_sel:[1,0]
	s_nop 0
	v_pk_mul_f32 v[12:13], v[14:15], v[78:79] op_sel_hi:[1,0]
	s_nop 0
	v_pk_fma_f32 v[12:13], v[6:7], v[72:73], v[12:13] op_sel_hi:[1,0,1] neg_lo:[1,0,0] neg_hi:[1,0,0]
	s_nop 0
	v_pk_add_f32 v[12:13], v[12:13], v[88:89]
	global_store_dwordx2 v[22:23], v[12:13], off
	v_pk_mul_f32 v[12:13], v[14:15], v[46:47] op_sel_hi:[1,0]
	v_pk_mul_f32 v[22:23], v[60:61], v[16:17] op_sel_hi:[0,1]
	v_pk_fma_f32 v[12:13], v[6:7], v[36:37], v[12:13] op_sel_hi:[1,0,1] neg_lo:[1,0,0] neg_hi:[1,0,0]
	v_pk_fma_f32 v[22:23], v[4:5], v[50:51], v[22:23] op_sel_hi:[1,0,1]
	s_nop 0
	v_pk_add_f32 v[12:13], v[12:13], v[22:23]
	global_store_dwordx2 v[90:91], v[12:13], off
	v_pk_mul_f32 v[12:13], v[14:15], v[74:75] op_sel_hi:[1,0]
	v_pk_mul_f32 v[22:23], v[84:85], v[16:17] op_sel_hi:[0,1]
	v_pk_fma_f32 v[12:13], v[6:7], v[64:65], v[12:13] op_sel_hi:[1,0,1] neg_lo:[1,0,0] neg_hi:[1,0,0]
	v_pk_fma_f32 v[22:23], v[4:5], v[76:77], v[22:23] op_sel_hi:[1,0,1]
	;; [unrolled: 7-line block ×7, first 2 shown]
	s_nop 0
	v_pk_add_f32 v[12:13], v[12:13], v[22:23]
	global_store_dwordx2 v[116:117], v[12:13], off
	v_mov_b32_e32 v12, v4
	v_mov_b32_e32 v13, v4
	v_mov_b64_e32 v[22:23], v[2:3]
	s_and_saveexec_b64 s[20:21], s[2:3]
	s_cbranch_execz .LBB199_16
; %bb.15:                               ;   in Loop: Header=BB199_5 Depth=1
	v_add_u32_e32 v22, v1, v93
	v_add_u32_e32 v2, s27, v22
	v_lshl_add_u64 v[88:89], v[2:3], 3, s[8:9]
	global_load_dwordx2 v[90:91], v[88:89], off
	v_mov_b32_e32 v2, v11
	v_pk_mul_f32 v[14:15], v[2:3], v[14:15] op_sel_hi:[0,1]
	v_pk_mul_f32 v[16:17], v[2:3], v[16:17] op_sel_hi:[0,1]
	v_pk_fma_f32 v[6:7], v[6:7], v[10:11], v[14:15] op_sel_hi:[1,0,1] neg_lo:[1,0,0] neg_hi:[1,0,0]
	v_pk_fma_f32 v[14:15], v[4:5], v[10:11], v[16:17] op_sel_hi:[1,0,1]
	v_mov_b32_e32 v87, v86
	v_xor_b32_e32 v16, 0x80000000, v15
	v_mov_b32_e32 v17, v14
	v_mov_b32_e32 v83, v82
	v_pk_mul_f32 v[86:87], v[86:87], v[16:17]
	v_mov_b32_e32 v79, v78
	v_pk_fma_f32 v[82:83], v[14:15], v[82:83], v[86:87]
	v_pk_add_f32 v[86:87], v[6:7], 0 neg_lo:[1,1] neg_hi:[1,1]
	v_mov_b32_e32 v73, v72
	v_pk_mov_b32 v[86:87], v[6:7], v[86:87] op_sel:[1,0]
	v_add_u32_e32 v2, s28, v22
	v_pk_mul_f32 v[78:79], v[86:87], v[78:79]
	v_mov_b32_e32 v47, v46
	v_pk_fma_f32 v[72:73], v[6:7], v[72:73], v[78:79] neg_lo:[1,0,0] neg_hi:[1,0,0]
	v_lshl_add_u64 v[78:79], v[2:3], 3, s[8:9]
	v_pk_add_f32 v[72:73], v[72:73], v[82:83] neg_lo:[0,1] neg_hi:[0,1]
	v_add_u32_e32 v2, s29, v22
	global_load_dwordx2 v[82:83], v[78:79], off
	v_mov_b32_e32 v61, v60
	v_mov_b32_e32 v37, v36
	;; [unrolled: 1-line block ×3, first 2 shown]
	v_pk_mul_f32 v[60:61], v[60:61], v[16:17]
	v_pk_mul_f32 v[46:47], v[86:87], v[46:47]
	v_mov_b32_e32 v75, v74
	v_mov_b32_e32 v85, v84
	v_pk_fma_f32 v[50:51], v[14:15], v[50:51], v[60:61]
	v_pk_fma_f32 v[36:37], v[6:7], v[36:37], v[46:47] neg_lo:[1,0,0] neg_hi:[1,0,0]
	v_mov_b32_e32 v65, v64
	v_mov_b32_e32 v77, v76
	v_pk_mul_f32 v[84:85], v[84:85], v[16:17]
	v_pk_mul_f32 v[60:61], v[86:87], v[74:75]
	v_pk_add_f32 v[36:37], v[36:37], v[50:51] neg_lo:[0,1] neg_hi:[0,1]
	v_pk_fma_f32 v[74:75], v[14:15], v[76:77], v[84:85]
	v_pk_fma_f32 v[46:47], v[6:7], v[64:65], v[60:61] neg_lo:[1,0,0] neg_hi:[1,0,0]
	v_mov_b32_e32 v43, v42
	v_pk_add_f32 v[46:47], v[46:47], v[74:75] neg_lo:[0,1] neg_hi:[0,1]
	v_mov_b32_e32 v53, v52
	v_mov_b32_e32 v33, v32
	;; [unrolled: 1-line block ×5, first 2 shown]
	v_pk_mul_f32 v[50:51], v[52:53], v[16:17]
	v_pk_mul_f32 v[42:43], v[86:87], v[42:43]
	v_mov_b32_e32 v57, v56
	v_mov_b32_e32 v71, v70
	v_pk_mul_f32 v[52:53], v[80:81], v[16:17]
	v_pk_fma_f32 v[44:45], v[14:15], v[44:45], v[50:51]
	v_pk_mul_f32 v[50:51], v[86:87], v[68:69]
	v_pk_fma_f32 v[32:33], v[6:7], v[32:33], v[42:43] neg_lo:[1,0,0] neg_hi:[1,0,0]
	v_pk_fma_f32 v[52:53], v[14:15], v[70:71], v[52:53]
	v_pk_fma_f32 v[42:43], v[6:7], v[56:57], v[50:51] neg_lo:[1,0,0] neg_hi:[1,0,0]
	v_pk_add_f32 v[32:33], v[32:33], v[44:45] neg_lo:[0,1] neg_hi:[0,1]
	v_pk_add_f32 v[42:43], v[42:43], v[52:53] neg_lo:[0,1] neg_hi:[0,1]
	v_mov_b32_e32 v59, v58
	v_mov_b32_e32 v67, v66
	;; [unrolled: 1-line block ×8, first 2 shown]
	v_pk_mul_f32 v[38:39], v[86:87], v[38:39]
	v_ashrrev_i32_e32 v23, 31, v22
	v_pk_fma_f32 v[34:35], v[6:7], v[34:35], v[38:39] neg_lo:[1,0,0] neg_hi:[1,0,0]
	v_mov_b32_e32 v27, v26
	v_mov_b32_e32 v31, v30
	;; [unrolled: 1-line block ×4, first 2 shown]
	s_waitcnt vmcnt(1)
	v_pk_add_f32 v[72:73], v[72:73], v[90:91]
	v_lshl_add_u64 v[90:91], v[2:3], 3, s[8:9]
	global_store_dwordx2 v[88:89], v[72:73], off
	global_load_dwordx2 v[72:73], v[90:91], off
	v_add_u32_e32 v2, s30, v22
	v_lshl_add_u64 v[88:89], v[2:3], 3, s[8:9]
	v_add_u32_e32 v2, s31, v22
	v_lshl_add_u64 v[76:77], v[2:3], 3, s[8:9]
	;; [unrolled: 2-line block ×3, first 2 shown]
	v_add_u32_e32 v2, s34, v22
	s_waitcnt vmcnt(2)
	v_pk_add_f32 v[36:37], v[36:37], v[82:83]
	global_store_dwordx2 v[78:79], v[36:37], off
	global_load_dwordx2 v[36:37], v[88:89], off
	s_waitcnt vmcnt(2)
	v_pk_add_f32 v[46:47], v[46:47], v[72:73]
	global_store_dwordx2 v[90:91], v[46:47], off
	global_load_dwordx2 v[46:47], v[76:77], off
	s_waitcnt vmcnt(2)
	v_pk_add_f32 v[32:33], v[32:33], v[36:37]
	global_store_dwordx2 v[88:89], v[32:33], off
	v_pk_mul_f32 v[36:37], v[66:67], v[16:17]
	s_waitcnt vmcnt(1)
	v_pk_add_f32 v[32:33], v[42:43], v[46:47]
	global_store_dwordx2 v[76:77], v[32:33], off
	global_load_dwordx2 v[32:33], v[50:51], off
	v_pk_mul_f32 v[42:43], v[86:87], v[58:59]
	v_pk_fma_f32 v[36:37], v[14:15], v[62:63], v[36:37]
	v_pk_fma_f32 v[42:43], v[6:7], v[54:55], v[42:43] neg_lo:[1,0,0] neg_hi:[1,0,0]
	s_nop 0
	v_pk_add_f32 v[36:37], v[42:43], v[36:37] neg_lo:[0,1] neg_hi:[0,1]
	v_lshl_add_u64 v[42:43], v[2:3], 3, s[8:9]
	v_add_u32_e32 v2, s35, v22
	v_lshl_add_u64 v[22:23], v[22:23], 3, s[14:15]
	global_load_dwordx2 v[22:23], v[22:23], off
	s_waitcnt vmcnt(1)
	v_pk_add_f32 v[32:33], v[36:37], v[32:33]
	global_store_dwordx2 v[50:51], v[32:33], off
	global_load_dwordx2 v[32:33], v[42:43], off
	v_pk_mul_f32 v[36:37], v[48:49], v[16:17]
	s_nop 0
	v_pk_fma_f32 v[36:37], v[14:15], v[40:41], v[36:37]
	s_nop 0
	v_pk_add_f32 v[34:35], v[34:35], v[36:37] neg_lo:[0,1] neg_hi:[0,1]
	v_lshl_add_u64 v[36:37], v[2:3], 3, s[8:9]
	v_mov_b32_e32 v2, v9
	s_waitcnt vmcnt(0)
	v_pk_add_f32 v[32:33], v[34:35], v[32:33]
	global_store_dwordx2 v[42:43], v[32:33], off
	global_load_dwordx2 v[32:33], v[36:37], off
	v_xor_b32_e32 v34, 0x80000000, v11
	v_mov_b32_e32 v35, v10
	v_pk_mul_f32 v[4:5], v[4:5], v[34:35] op_sel:[1,0]
	s_nop 0
	v_pk_fma_f32 v[4:5], v[10:11], v[12:13], v[4:5]
	v_pk_mul_f32 v[12:13], v[30:31], v[16:17]
	v_xor_b32_e32 v10, 0x80000000, v5
	v_mov_b32_e32 v11, v4
	v_pk_mul_f32 v[10:11], v[2:3], v[10:11] op_sel_hi:[0,1]
	v_pk_fma_f32 v[4:5], v[4:5], v[8:9], v[10:11] op_sel_hi:[1,0,1]
	v_pk_mul_f32 v[16:17], v[86:87], v[26:27]
	v_xor_b32_e32 v8, 0x80000000, v5
	v_mov_b32_e32 v9, v4
	v_pk_fma_f32 v[12:13], v[14:15], v[28:29], v[12:13]
	v_pk_fma_f32 v[6:7], v[6:7], v[24:25], v[16:17] neg_lo:[1,0,0] neg_hi:[1,0,0]
	v_pk_mul_f32 v[8:9], v[20:21], v[8:9] op_sel_hi:[0,1]
	v_pk_add_f32 v[6:7], v[6:7], v[12:13] neg_lo:[0,1] neg_hi:[0,1]
	v_pk_fma_f32 v[4:5], v[4:5], v[18:19], v[8:9] op_sel_hi:[1,0,1]
	s_waitcnt vmcnt(0)
	v_pk_add_f32 v[6:7], v[6:7], v[32:33]
	v_pk_add_f32 v[22:23], v[22:23], v[4:5] neg_lo:[0,1] neg_hi:[0,1]
	global_store_dwordx2 v[36:37], v[6:7], off
.LBB199_16:                             ;   in Loop: Header=BB199_5 Depth=1
	s_or_b64 exec, exec, s[20:21]
	v_mov_b64_e32 v[4:5], v[22:23]
                                        ; implicit-def: $vgpr12_vgpr13
                                        ; implicit-def: $vgpr6
                                        ; implicit-def: $vgpr14_vgpr15
                                        ; implicit-def: $vgpr38
                                        ; implicit-def: $vgpr34
                                        ; implicit-def: $vgpr32
                                        ; implicit-def: $vgpr28
                                        ; implicit-def: $vgpr26
                                        ; implicit-def: $vgpr24
                                        ; implicit-def: $vgpr20
                                        ; implicit-def: $vgpr18
.LBB199_17:                             ;   in Loop: Header=BB199_5 Depth=1
	s_or_saveexec_b64 s[2:3], s[4:5]
	v_mov_b32_e32 v8, s26
	s_xor_b64 exec, exec, s[2:3]
	s_cbranch_execz .LBB199_4
; %bb.18:                               ;   in Loop: Header=BB199_5 Depth=1
	v_mov_b32_e32 v29, v3
	v_lshl_add_u64 v[10:11], v[2:3], 3, s[8:9]
	v_mov_b32_e32 v39, v3
	v_mov_b32_e32 v35, v3
	;; [unrolled: 1-line block ×3, first 2 shown]
	v_lshl_add_u64 v[42:43], v[28:29], 3, s[8:9]
	v_mov_b32_e32 v27, v3
	v_mov_b32_e32 v25, v3
	;; [unrolled: 1-line block ×3, first 2 shown]
	v_lshl_add_u64 v[36:37], v[38:39], 3, s[8:9]
	v_lshl_add_u64 v[34:35], v[34:35], 3, s[8:9]
	;; [unrolled: 1-line block ×3, first 2 shown]
	global_load_dwordx2 v[16:17], v[10:11], off
	global_load_dwordx2 v[22:23], v[36:37], off
	;; [unrolled: 1-line block ×4, first 2 shown]
	v_lshl_add_u64 v[44:45], v[26:27], 3, s[8:9]
	v_lshl_add_u64 v[46:47], v[24:25], 3, s[8:9]
	;; [unrolled: 1-line block ×3, first 2 shown]
	global_load_dwordx2 v[20:21], v[42:43], off
	global_load_dwordx2 v[50:51], v[44:45], off
	;; [unrolled: 1-line block ×4, first 2 shown]
	v_mul_f32_e32 v2, v5, v5
	v_fmac_f32_e32 v2, v4, v4
	v_div_scale_f32 v9, s[4:5], v2, v2, 1.0
	v_rcp_f32_e32 v19, v9
	v_fma_f32 v8, 0, v5, v4
	v_fma_f32 v5, v4, 0, -v5
	v_div_scale_f32 v4, vcc, 1.0, v2, 1.0
	v_fma_f32 v24, -v9, v19, 1.0
	v_fmac_f32_e32 v19, v24, v19
	v_mul_f32_e32 v24, v4, v19
	v_fma_f32 v25, -v9, v24, v4
	v_fmac_f32_e32 v24, v25, v19
	v_fma_f32 v4, -v9, v24, v4
	v_div_fmas_f32 v4, v4, v19, v24
	v_div_fixup_f32 v2, v4, v2, 1.0
	v_mul_f32_e32 v4, v8, v2
	v_mul_f32_e32 v8, v5, v2
	s_waitcnt vmcnt(7)
	v_pk_mul_f32 v[24:25], v[8:9], v[16:17] op_sel:[0,1] op_sel_hi:[0,0] neg_lo:[0,1]
	v_pk_fma_f32 v[26:27], v[16:17], v[4:5], v[24:25] op_sel_hi:[1,0,1]
	s_waitcnt vmcnt(6)
	v_pk_mul_f32 v[16:17], v[8:9], v[22:23] op_sel:[0,1] op_sel_hi:[0,0] neg_lo:[0,1]
	s_waitcnt vmcnt(5)
	v_pk_mul_f32 v[24:25], v[8:9], v[38:39] op_sel:[0,1] op_sel_hi:[0,0] neg_lo:[0,1]
	s_waitcnt vmcnt(4)
	v_pk_mul_f32 v[56:57], v[8:9], v[40:41] op_sel:[0,1] op_sel_hi:[0,0] neg_lo:[0,1]
	s_waitcnt vmcnt(3)
	v_pk_mul_f32 v[58:59], v[8:9], v[20:21] op_sel:[0,1] op_sel_hi:[0,0] neg_lo:[0,1]
	s_waitcnt vmcnt(2)
	v_pk_mul_f32 v[60:61], v[8:9], v[50:51] op_sel:[0,1] op_sel_hi:[0,0] neg_lo:[0,1]
	s_waitcnt vmcnt(1)
	v_pk_mul_f32 v[62:63], v[8:9], v[52:53] op_sel:[0,1] op_sel_hi:[0,0] neg_lo:[0,1]
	s_waitcnt vmcnt(0)
	v_pk_mul_f32 v[64:65], v[8:9], v[54:55] op_sel:[0,1] op_sel_hi:[0,0] neg_lo:[0,1]
	global_store_dwordx2 v[10:11], v[26:27], off
	v_pk_fma_f32 v[30:31], v[22:23], v[4:5], v[16:17] op_sel_hi:[1,0,1]
	v_pk_fma_f32 v[28:29], v[38:39], v[4:5], v[24:25] op_sel_hi:[1,0,1]
	;; [unrolled: 1-line block ×7, first 2 shown]
	global_store_dwordx2 v[36:37], v[30:31], off
	global_store_dwordx2 v[34:35], v[28:29], off
	;; [unrolled: 1-line block ×7, first 2 shown]
	s_and_saveexec_b64 s[4:5], s[0:1]
	s_cbranch_execz .LBB199_3
; %bb.19:                               ;   in Loop: Header=BB199_5 Depth=1
	v_add_u32_e32 v5, v92, v93
	v_add_u32_e32 v2, s27, v5
	v_lshl_add_u64 v[32:33], v[2:3], 3, s[8:9]
	global_load_dwordx2 v[34:35], v[32:33], off
	v_add_u32_e32 v2, s28, v5
	v_xor_b32_e32 v36, 0x80000000, v6
	v_mov_b32_e32 v37, v18
	v_lshl_add_u64 v[40:41], v[2:3], 3, s[8:9]
	v_mov_b32_e32 v38, v7
	v_mov_b32_e32 v39, v36
	global_load_dwordx2 v[42:43], v[40:41], off
	v_add_u32_e32 v2, s29, v5
	v_lshl_add_u64 v[44:45], v[2:3], 3, s[8:9]
	v_add_u32_e32 v2, s30, v5
	s_waitcnt vmcnt(1)
	v_pk_fma_f32 v[34:35], v[36:37], v[26:27], v[34:35] op_sel_hi:[1,0,1]
	s_nop 0
	v_pk_fma_f32 v[26:27], v[38:39], v[26:27], v[34:35] op_sel:[0,1,0]
	global_store_dwordx2 v[32:33], v[26:27], off
	global_load_dwordx2 v[26:27], v[44:45], off
	v_lshl_add_u64 v[32:33], v[2:3], 3, s[8:9]
	v_add_u32_e32 v2, s31, v5
	v_lshl_add_u64 v[34:35], v[2:3], 3, s[8:9]
	s_waitcnt vmcnt(2)
	v_pk_fma_f32 v[42:43], v[36:37], v[30:31], v[42:43] op_sel_hi:[1,0,1]
	v_add_u32_e32 v2, s33, v5
	v_pk_fma_f32 v[30:31], v[38:39], v[30:31], v[42:43] op_sel:[0,1,0]
	global_store_dwordx2 v[40:41], v[30:31], off
	global_load_dwordx2 v[30:31], v[32:33], off
	s_waitcnt vmcnt(2)
	v_pk_fma_f32 v[26:27], v[36:37], v[28:29], v[26:27] op_sel_hi:[1,0,1]
	s_nop 0
	v_pk_fma_f32 v[26:27], v[38:39], v[28:29], v[26:27] op_sel:[0,1,0]
	global_store_dwordx2 v[44:45], v[26:27], off
	global_load_dwordx2 v[26:27], v[34:35], off
	v_lshl_add_u64 v[28:29], v[2:3], 3, s[8:9]
	v_add_u32_e32 v2, s34, v5
	s_waitcnt vmcnt(2)
	v_pk_fma_f32 v[30:31], v[36:37], v[24:25], v[30:31] op_sel_hi:[1,0,1]
	s_nop 0
	v_pk_fma_f32 v[24:25], v[38:39], v[24:25], v[30:31] op_sel:[0,1,0]
	global_store_dwordx2 v[32:33], v[24:25], off
	s_waitcnt vmcnt(1)
	v_pk_fma_f32 v[24:25], v[36:37], v[22:23], v[26:27] op_sel_hi:[1,0,1]
	s_nop 0
	v_pk_fma_f32 v[22:23], v[38:39], v[22:23], v[24:25] op_sel:[0,1,0]
	global_store_dwordx2 v[34:35], v[22:23], off
	global_load_dwordx2 v[22:23], v[28:29], off
	v_lshl_add_u64 v[24:25], v[2:3], 3, s[8:9]
	v_add_u32_e32 v2, s35, v5
	s_waitcnt vmcnt(0)
	v_pk_fma_f32 v[22:23], v[36:37], v[20:21], v[22:23] op_sel_hi:[1,0,1]
	s_nop 0
	v_pk_fma_f32 v[20:21], v[38:39], v[20:21], v[22:23] op_sel:[0,1,0]
	global_store_dwordx2 v[28:29], v[20:21], off
	global_load_dwordx2 v[20:21], v[24:25], off
	s_waitcnt vmcnt(0)
	v_pk_fma_f32 v[20:21], v[36:37], v[16:17], v[20:21] op_sel_hi:[1,0,1]
	s_nop 0
	v_pk_fma_f32 v[16:17], v[38:39], v[16:17], v[20:21] op_sel:[0,1,0]
	global_store_dwordx2 v[24:25], v[16:17], off
	v_lshl_add_u64 v[16:17], v[2:3], 3, s[8:9]
	global_load_dwordx2 v[20:21], v[16:17], off
	s_waitcnt vmcnt(0)
	v_pk_fma_f32 v[20:21], v[36:37], v[10:11], v[20:21] op_sel_hi:[1,0,1]
	s_nop 0
	v_pk_fma_f32 v[10:11], v[38:39], v[10:11], v[20:21] op_sel:[0,1,0]
	global_store_dwordx2 v[16:17], v[10:11], off
	s_branch .LBB199_3
.LBB199_20:
	s_or_b64 exec, exec, s[18:19]
	s_branch .LBB199_22
.LBB199_21:
	v_mov_b32_e32 v93, 0
.LBB199_22:
	v_subrev_u32_e32 v1, s22, v93
	v_add_u32_e32 v2, v1, v0
	v_ashrrev_i32_e32 v3, 31, v2
	s_waitcnt lgkmcnt(0)
	v_lshl_add_u64 v[2:3], v[2:3], 2, s[6:7]
	buffer_wbl2 sc1
	s_waitcnt vmcnt(0)
	buffer_inv sc1
	global_load_dword v2, v[2:3], off
	s_waitcnt vmcnt(0)
	v_mul_lo_u32 v2, v2, s22
	v_sub_u32_e32 v1, v1, v2
	v_cmp_lt_i32_e32 vcc, -1, v1
	s_and_b64 exec, exec, vcc
	s_cbranch_execz .LBB199_29
; %bb.23:
	s_lshl_b32 s4, s24, 3
	s_add_i32 s5, s4, s23
	s_add_i32 s12, s5, s23
	;; [unrolled: 1-line block ×7, first 2 shown]
	s_lshl_b32 s18, s22, 1
	s_mov_b64 s[0:1], 0
	v_mov_b32_e32 v3, 0
	s_branch .LBB199_25
.LBB199_24:                             ;   in Loop: Header=BB199_25 Depth=1
	s_or_b64 exec, exec, s[2:3]
	v_sub_u32_e32 v1, v1, v2
	v_cmp_gt_i32_e32 vcc, 0, v1
	s_or_b64 s[0:1], vcc, s[0:1]
	s_andn2_b64 exec, exec, s[0:1]
	s_cbranch_execz .LBB199_29
.LBB199_25:                             ; =>This Inner Loop Header: Depth=1
	v_add_u32_e32 v4, v1, v0
	v_ashrrev_i32_e32 v5, 31, v4
	s_waitcnt vmcnt(0)
	v_lshl_add_u64 v[6:7], v[4:5], 2, s[6:7]
	global_load_dword v2, v[6:7], off
	v_lshl_add_u64 v[6:7], v[4:5], 3, s[10:11]
	global_load_dwordx2 v[6:7], v[6:7], off
	s_waitcnt vmcnt(1)
	v_cmp_ne_u32_e32 vcc, 1, v2
	s_and_saveexec_b64 s[2:3], vcc
	s_xor_b64 s[2:3], exec, s[2:3]
	s_cbranch_execz .LBB199_27
; %bb.26:                               ;   in Loop: Header=BB199_25 Depth=1
	v_add_u32_e32 v5, v92, v1
	v_add_u32_e32 v2, s4, v5
	v_lshl_add_u64 v[8:9], v[2:3], 3, s[8:9]
	v_add_u32_e32 v2, s5, v5
	v_lshl_add_u64 v[10:11], v[2:3], 3, s[8:9]
	;; [unrolled: 2-line block ×9, first 2 shown]
	global_load_dwordx2 v[8:9], v[8:9], off
	s_waitcnt vmcnt(1)
	v_pk_add_f32 v[28:29], v[6:7], 0 neg_lo:[1,1] neg_hi:[1,1]
	global_load_dwordx2 v[26:27], v[24:25], off
	v_xor_b32_e32 v31, 0x80000000, v7
	v_mov_b32_e32 v30, v28
	v_pk_mov_b32 v[6:7], v[6:7], v[28:29] op_sel:[1,0]
	global_load_dwordx2 v[28:29], v[10:11], off
	global_load_dwordx2 v[32:33], v[12:13], off
	;; [unrolled: 1-line block ×7, first 2 shown]
	v_add_u32_e32 v2, s5, v4
	v_lshl_add_u64 v[10:11], v[2:3], 3, s[8:9]
	v_add_u32_e32 v2, s12, v4
	v_lshl_add_u64 v[14:15], v[2:3], 3, s[8:9]
	v_add_u32_e32 v2, s13, v4
	s_waitcnt vmcnt(7)
	v_pk_fma_f32 v[12:13], v[30:31], v[8:9], v[26:27] op_sel_hi:[1,0,1]
	s_nop 0
	v_pk_fma_f32 v[12:13], v[6:7], v[8:9], v[12:13] op_sel:[0,1,0]
	global_store_dwordx2 v[24:25], v[12:13], off
	global_load_dwordx2 v[12:13], v[10:11], off
	s_waitcnt vmcnt(0)
	v_pk_fma_f32 v[12:13], v[30:31], v[28:29], v[12:13] op_sel_hi:[1,0,1]
	s_nop 0
	v_pk_fma_f32 v[12:13], v[6:7], v[28:29], v[12:13] op_sel:[0,1,0]
	global_store_dwordx2 v[10:11], v[12:13], off
	global_load_dwordx2 v[10:11], v[14:15], off
	v_lshl_add_u64 v[12:13], v[2:3], 3, s[8:9]
	v_add_u32_e32 v2, s14, v4
	s_waitcnt vmcnt(0)
	v_pk_fma_f32 v[10:11], v[30:31], v[32:33], v[10:11] op_sel_hi:[1,0,1]
	s_nop 0
	v_pk_fma_f32 v[10:11], v[6:7], v[32:33], v[10:11] op_sel:[0,1,0]
	global_store_dwordx2 v[14:15], v[10:11], off
	global_load_dwordx2 v[10:11], v[12:13], off
	v_lshl_add_u64 v[14:15], v[2:3], 3, s[8:9]
	v_add_u32_e32 v2, s15, v4
	s_waitcnt vmcnt(0)
	v_pk_fma_f32 v[10:11], v[30:31], v[34:35], v[10:11] op_sel_hi:[1,0,1]
	s_nop 0
	v_pk_fma_f32 v[10:11], v[6:7], v[34:35], v[10:11] op_sel:[0,1,0]
	global_store_dwordx2 v[12:13], v[10:11], off
	global_load_dwordx2 v[10:11], v[14:15], off
	v_lshl_add_u64 v[12:13], v[2:3], 3, s[8:9]
	v_add_u32_e32 v2, s16, v4
	s_waitcnt vmcnt(0)
	v_pk_fma_f32 v[10:11], v[30:31], v[36:37], v[10:11] op_sel_hi:[1,0,1]
	s_nop 0
	v_pk_fma_f32 v[10:11], v[6:7], v[36:37], v[10:11] op_sel:[0,1,0]
	global_store_dwordx2 v[14:15], v[10:11], off
	global_load_dwordx2 v[10:11], v[12:13], off
	v_lshl_add_u64 v[14:15], v[2:3], 3, s[8:9]
	v_add_u32_e32 v2, s17, v4
	v_lshl_add_u64 v[4:5], v[2:3], 3, s[8:9]
	v_subrev_u32_e32 v2, s22, v1
	s_waitcnt vmcnt(0)
	v_pk_fma_f32 v[10:11], v[30:31], v[38:39], v[10:11] op_sel_hi:[1,0,1]
	s_nop 0
	v_pk_fma_f32 v[10:11], v[6:7], v[38:39], v[10:11] op_sel:[0,1,0]
	global_store_dwordx2 v[12:13], v[10:11], off
	global_load_dwordx2 v[10:11], v[14:15], off
	v_add_u32_e32 v12, v2, v0
	v_ashrrev_i32_e32 v13, 31, v12
	v_add_u32_e32 v2, s4, v12
	v_lshl_add_u64 v[16:17], v[2:3], 3, s[8:9]
	v_add_u32_e32 v2, s5, v12
	s_waitcnt vmcnt(0)
	v_pk_fma_f32 v[10:11], v[30:31], v[40:41], v[10:11] op_sel_hi:[1,0,1]
	s_nop 0
	v_pk_fma_f32 v[10:11], v[6:7], v[40:41], v[10:11] op_sel:[0,1,0]
	global_store_dwordx2 v[14:15], v[10:11], off
	global_load_dwordx2 v[10:11], v[4:5], off
	v_lshl_add_u64 v[14:15], v[12:13], 3, s[10:11]
	global_load_dwordx2 v[14:15], v[14:15], off
	s_waitcnt vmcnt(1)
	v_pk_fma_f32 v[10:11], v[30:31], v[42:43], v[10:11] op_sel_hi:[1,0,1]
	s_nop 0
	v_pk_fma_f32 v[6:7], v[6:7], v[42:43], v[10:11] op_sel:[0,1,0]
	global_store_dwordx2 v[4:5], v[6:7], off
	global_load_dwordx2 v[4:5], v[16:17], off
	s_waitcnt vmcnt(2)
	v_pk_add_f32 v[10:11], v[14:15], 0 neg_lo:[1,1] neg_hi:[1,1]
	v_lshl_add_u64 v[6:7], v[2:3], 3, s[8:9]
	v_pk_mov_b32 v[10:11], v[14:15], v[10:11] op_sel:[1,0]
	v_add_u32_e32 v2, s12, v12
	s_waitcnt vmcnt(0)
	v_pk_fma_f32 v[4:5], v[14:15], v[8:9], v[4:5] op_sel_hi:[1,0,1] neg_lo:[1,0,0] neg_hi:[1,0,0]
	s_nop 0
	v_pk_fma_f32 v[4:5], v[10:11], v[8:9], v[4:5] op_sel:[0,1,0]
	global_store_dwordx2 v[16:17], v[4:5], off
	global_load_dwordx2 v[4:5], v[6:7], off
	v_lshl_add_u64 v[8:9], v[2:3], 3, s[8:9]
	v_add_u32_e32 v2, s13, v12
	s_waitcnt vmcnt(0)
	v_pk_fma_f32 v[4:5], v[14:15], v[28:29], v[4:5] op_sel_hi:[1,0,1] neg_lo:[1,0,0] neg_hi:[1,0,0]
	s_nop 0
	v_pk_fma_f32 v[4:5], v[10:11], v[28:29], v[4:5] op_sel:[0,1,0]
	global_store_dwordx2 v[6:7], v[4:5], off
	global_load_dwordx2 v[4:5], v[8:9], off
	v_lshl_add_u64 v[6:7], v[2:3], 3, s[8:9]
	;; [unrolled: 8-line block ×6, first 2 shown]
	s_waitcnt vmcnt(0)
	v_pk_fma_f32 v[4:5], v[14:15], v[40:41], v[4:5] op_sel_hi:[1,0,1] neg_lo:[1,0,0] neg_hi:[1,0,0]
	s_nop 0
	v_pk_fma_f32 v[4:5], v[10:11], v[40:41], v[4:5] op_sel:[0,1,0]
	global_store_dwordx2 v[8:9], v[4:5], off
	global_load_dwordx2 v[4:5], v[6:7], off
	s_waitcnt vmcnt(0)
	v_pk_fma_f32 v[4:5], v[14:15], v[42:43], v[4:5] op_sel_hi:[1,0,1] neg_lo:[1,0,0] neg_hi:[1,0,0]
	s_nop 0
	v_pk_fma_f32 v[4:5], v[10:11], v[42:43], v[4:5] op_sel:[0,1,0]
	global_store_dwordx2 v[6:7], v[4:5], off
                                        ; implicit-def: $vgpr4
                                        ; implicit-def: $vgpr6_vgpr7
.LBB199_27:                             ;   in Loop: Header=BB199_25 Depth=1
	s_or_saveexec_b64 s[2:3], s[2:3]
	v_mov_b32_e32 v2, s18
	s_xor_b64 exec, exec, s[2:3]
	s_cbranch_execz .LBB199_24
; %bb.28:                               ;   in Loop: Header=BB199_25 Depth=1
	v_add_u32_e32 v5, v92, v1
	v_add_u32_e32 v2, s4, v5
	v_lshl_add_u64 v[8:9], v[2:3], 3, s[8:9]
	v_add_u32_e32 v2, s4, v4
	v_lshl_add_u64 v[10:11], v[2:3], 3, s[8:9]
	global_load_dwordx2 v[12:13], v[8:9], off
	global_load_dwordx2 v[14:15], v[10:11], off
	s_waitcnt vmcnt(2)
	v_pk_add_f32 v[8:9], v[6:7], 0 neg_lo:[1,1] neg_hi:[1,1]
	v_xor_b32_e32 v17, 0x80000000, v7
	v_mov_b32_e32 v16, v8
	v_pk_mov_b32 v[8:9], v[6:7], v[8:9] op_sel:[1,0]
	v_add_u32_e32 v2, s5, v5
	v_lshl_add_u64 v[18:19], v[2:3], 3, s[8:9]
	v_add_u32_e32 v2, s5, v4
	v_lshl_add_u64 v[20:21], v[2:3], 3, s[8:9]
	v_add_u32_e32 v2, s12, v5
	s_waitcnt vmcnt(0)
	v_pk_fma_f32 v[14:15], v[16:17], v[12:13], v[14:15] op_sel_hi:[1,0,1]
	s_nop 0
	v_pk_fma_f32 v[12:13], v[8:9], v[12:13], v[14:15] op_sel:[0,1,0]
	global_store_dwordx2 v[10:11], v[12:13], off
	global_load_dwordx2 v[10:11], v[18:19], off
	s_nop 0
	global_load_dwordx2 v[12:13], v[20:21], off
	v_lshl_add_u64 v[14:15], v[2:3], 3, s[8:9]
	v_add_u32_e32 v2, s12, v4
	v_lshl_add_u64 v[18:19], v[2:3], 3, s[8:9]
	v_add_u32_e32 v2, s13, v5
	s_waitcnt vmcnt(0)
	v_pk_fma_f32 v[12:13], v[16:17], v[10:11], v[12:13] op_sel_hi:[1,0,1]
	s_nop 0
	v_pk_fma_f32 v[10:11], v[8:9], v[10:11], v[12:13] op_sel:[0,1,0]
	global_store_dwordx2 v[20:21], v[10:11], off
	global_load_dwordx2 v[10:11], v[14:15], off
	s_nop 0
	global_load_dwordx2 v[12:13], v[18:19], off
	;; [unrolled: 12-line block ×6, first 2 shown]
	v_lshl_add_u64 v[14:15], v[2:3], 3, s[8:9]
	v_add_u32_e32 v2, s17, v4
	v_lshl_add_u64 v[4:5], v[2:3], 3, s[8:9]
	v_mov_b32_e32 v2, s22
	s_waitcnt vmcnt(0)
	v_pk_fma_f32 v[12:13], v[16:17], v[10:11], v[12:13] op_sel_hi:[1,0,1]
	s_nop 0
	v_pk_fma_f32 v[10:11], v[8:9], v[10:11], v[12:13] op_sel:[0,1,0]
	global_store_dwordx2 v[18:19], v[10:11], off
	global_load_dwordx2 v[10:11], v[14:15], off
	s_nop 0
	global_load_dwordx2 v[12:13], v[4:5], off
	s_waitcnt vmcnt(0)
	v_pk_fma_f32 v[6:7], v[6:7], v[10:11], v[12:13] op_sel_hi:[1,0,1] neg_lo:[1,0,0] neg_hi:[1,0,0]
	s_nop 0
	v_pk_fma_f32 v[6:7], v[8:9], v[10:11], v[6:7] op_sel:[0,1,0]
	global_store_dwordx2 v[4:5], v[6:7], off
	s_branch .LBB199_24
.LBB199_29:
	s_endpgm
	.section	.rodata,"a",@progbits
	.p2align	6, 0x0
	.amdhsa_kernel _ZN9rocsparseL19gtsv_LBM_rhs_kernelILj256ELj4ELj8E21rocsparse_complex_numIfEEEviiiPKT2_S5_S5_PS3_S5_PKi
		.amdhsa_group_segment_fixed_size 0
		.amdhsa_private_segment_fixed_size 0
		.amdhsa_kernarg_size 64
		.amdhsa_user_sgpr_count 2
		.amdhsa_user_sgpr_dispatch_ptr 0
		.amdhsa_user_sgpr_queue_ptr 0
		.amdhsa_user_sgpr_kernarg_segment_ptr 1
		.amdhsa_user_sgpr_dispatch_id 0
		.amdhsa_user_sgpr_kernarg_preload_length 0
		.amdhsa_user_sgpr_kernarg_preload_offset 0
		.amdhsa_user_sgpr_private_segment_size 0
		.amdhsa_uses_dynamic_stack 0
		.amdhsa_enable_private_segment 0
		.amdhsa_system_sgpr_workgroup_id_x 1
		.amdhsa_system_sgpr_workgroup_id_y 1
		.amdhsa_system_sgpr_workgroup_id_z 0
		.amdhsa_system_sgpr_workgroup_info 0
		.amdhsa_system_vgpr_workitem_id 0
		.amdhsa_next_free_vgpr 120
		.amdhsa_next_free_sgpr 36
		.amdhsa_accum_offset 120
		.amdhsa_reserve_vcc 1
		.amdhsa_float_round_mode_32 0
		.amdhsa_float_round_mode_16_64 0
		.amdhsa_float_denorm_mode_32 3
		.amdhsa_float_denorm_mode_16_64 3
		.amdhsa_dx10_clamp 1
		.amdhsa_ieee_mode 1
		.amdhsa_fp16_overflow 0
		.amdhsa_tg_split 0
		.amdhsa_exception_fp_ieee_invalid_op 0
		.amdhsa_exception_fp_denorm_src 0
		.amdhsa_exception_fp_ieee_div_zero 0
		.amdhsa_exception_fp_ieee_overflow 0
		.amdhsa_exception_fp_ieee_underflow 0
		.amdhsa_exception_fp_ieee_inexact 0
		.amdhsa_exception_int_div_zero 0
	.end_amdhsa_kernel
	.section	.text._ZN9rocsparseL19gtsv_LBM_rhs_kernelILj256ELj4ELj8E21rocsparse_complex_numIfEEEviiiPKT2_S5_S5_PS3_S5_PKi,"axG",@progbits,_ZN9rocsparseL19gtsv_LBM_rhs_kernelILj256ELj4ELj8E21rocsparse_complex_numIfEEEviiiPKT2_S5_S5_PS3_S5_PKi,comdat
.Lfunc_end199:
	.size	_ZN9rocsparseL19gtsv_LBM_rhs_kernelILj256ELj4ELj8E21rocsparse_complex_numIfEEEviiiPKT2_S5_S5_PS3_S5_PKi, .Lfunc_end199-_ZN9rocsparseL19gtsv_LBM_rhs_kernelILj256ELj4ELj8E21rocsparse_complex_numIfEEEviiiPKT2_S5_S5_PS3_S5_PKi
                                        ; -- End function
	.set _ZN9rocsparseL19gtsv_LBM_rhs_kernelILj256ELj4ELj8E21rocsparse_complex_numIfEEEviiiPKT2_S5_S5_PS3_S5_PKi.num_vgpr, 120
	.set _ZN9rocsparseL19gtsv_LBM_rhs_kernelILj256ELj4ELj8E21rocsparse_complex_numIfEEEviiiPKT2_S5_S5_PS3_S5_PKi.num_agpr, 0
	.set _ZN9rocsparseL19gtsv_LBM_rhs_kernelILj256ELj4ELj8E21rocsparse_complex_numIfEEEviiiPKT2_S5_S5_PS3_S5_PKi.numbered_sgpr, 36
	.set _ZN9rocsparseL19gtsv_LBM_rhs_kernelILj256ELj4ELj8E21rocsparse_complex_numIfEEEviiiPKT2_S5_S5_PS3_S5_PKi.num_named_barrier, 0
	.set _ZN9rocsparseL19gtsv_LBM_rhs_kernelILj256ELj4ELj8E21rocsparse_complex_numIfEEEviiiPKT2_S5_S5_PS3_S5_PKi.private_seg_size, 0
	.set _ZN9rocsparseL19gtsv_LBM_rhs_kernelILj256ELj4ELj8E21rocsparse_complex_numIfEEEviiiPKT2_S5_S5_PS3_S5_PKi.uses_vcc, 1
	.set _ZN9rocsparseL19gtsv_LBM_rhs_kernelILj256ELj4ELj8E21rocsparse_complex_numIfEEEviiiPKT2_S5_S5_PS3_S5_PKi.uses_flat_scratch, 0
	.set _ZN9rocsparseL19gtsv_LBM_rhs_kernelILj256ELj4ELj8E21rocsparse_complex_numIfEEEviiiPKT2_S5_S5_PS3_S5_PKi.has_dyn_sized_stack, 0
	.set _ZN9rocsparseL19gtsv_LBM_rhs_kernelILj256ELj4ELj8E21rocsparse_complex_numIfEEEviiiPKT2_S5_S5_PS3_S5_PKi.has_recursion, 0
	.set _ZN9rocsparseL19gtsv_LBM_rhs_kernelILj256ELj4ELj8E21rocsparse_complex_numIfEEEviiiPKT2_S5_S5_PS3_S5_PKi.has_indirect_call, 0
	.section	.AMDGPU.csdata,"",@progbits
; Kernel info:
; codeLenInByte = 6180
; TotalNumSgprs: 42
; NumVgprs: 120
; NumAgprs: 0
; TotalNumVgprs: 120
; ScratchSize: 0
; MemoryBound: 0
; FloatMode: 240
; IeeeMode: 1
; LDSByteSize: 0 bytes/workgroup (compile time only)
; SGPRBlocks: 5
; VGPRBlocks: 14
; NumSGPRsForWavesPerEU: 42
; NumVGPRsForWavesPerEU: 120
; AccumOffset: 120
; Occupancy: 4
; WaveLimiterHint : 0
; COMPUTE_PGM_RSRC2:SCRATCH_EN: 0
; COMPUTE_PGM_RSRC2:USER_SGPR: 2
; COMPUTE_PGM_RSRC2:TRAP_HANDLER: 0
; COMPUTE_PGM_RSRC2:TGID_X_EN: 1
; COMPUTE_PGM_RSRC2:TGID_Y_EN: 1
; COMPUTE_PGM_RSRC2:TGID_Z_EN: 0
; COMPUTE_PGM_RSRC2:TIDIG_COMP_CNT: 0
; COMPUTE_PGM_RSRC3_GFX90A:ACCUM_OFFSET: 29
; COMPUTE_PGM_RSRC3_GFX90A:TG_SPLIT: 0
	.section	.text._ZN9rocsparseL19gtsv_LBM_rhs_kernelILj256ELj4ELj4E21rocsparse_complex_numIfEEEviiiPKT2_S5_S5_PS3_S5_PKi,"axG",@progbits,_ZN9rocsparseL19gtsv_LBM_rhs_kernelILj256ELj4ELj4E21rocsparse_complex_numIfEEEviiiPKT2_S5_S5_PS3_S5_PKi,comdat
	.globl	_ZN9rocsparseL19gtsv_LBM_rhs_kernelILj256ELj4ELj4E21rocsparse_complex_numIfEEEviiiPKT2_S5_S5_PS3_S5_PKi ; -- Begin function _ZN9rocsparseL19gtsv_LBM_rhs_kernelILj256ELj4ELj4E21rocsparse_complex_numIfEEEviiiPKT2_S5_S5_PS3_S5_PKi
	.p2align	8
	.type	_ZN9rocsparseL19gtsv_LBM_rhs_kernelILj256ELj4ELj4E21rocsparse_complex_numIfEEEviiiPKT2_S5_S5_PS3_S5_PKi,@function
_ZN9rocsparseL19gtsv_LBM_rhs_kernelILj256ELj4ELj4E21rocsparse_complex_numIfEEEviiiPKT2_S5_S5_PS3_S5_PKi: ; @_ZN9rocsparseL19gtsv_LBM_rhs_kernelILj256ELj4ELj4E21rocsparse_complex_numIfEEEviiiPKT2_S5_S5_PS3_S5_PKi
; %bb.0:
	s_load_dword s23, s[0:1], 0x0
	v_lshl_or_b32 v0, s2, 8, v0
	s_waitcnt lgkmcnt(0)
	s_lshr_b32 s22, s23, 2
	v_cmp_gt_i32_e32 vcc, s22, v0
	s_and_saveexec_b64 s[4:5], vcc
	s_cbranch_execz .LBB200_29
; %bb.1:
	s_load_dwordx4 s[8:11], s[0:1], 0x28
	s_load_dwordx2 s[6:7], s[0:1], 0x38
	s_cmp_lt_i32 s23, 1
	v_add_u32_e32 v56, s22, v0
	s_mul_i32 s24, s3, s23
	s_cbranch_scc1 .LBB200_21
; %bb.2:
	s_load_dwordx4 s[12:15], s[0:1], 0x10
	s_load_dwordx2 s[16:17], s[0:1], 0x20
	v_ashrrev_i32_e32 v1, 31, v0
	s_lshl_b32 s27, s24, 2
	s_add_i32 s28, s27, s23
	s_waitcnt lgkmcnt(0)
	v_lshl_add_u64 v[2:3], v[0:1], 3, s[14:15]
	global_load_dwordx2 v[4:5], v[2:3], off
	s_add_i32 s29, s28, s23
	s_mul_i32 s25, s22, 3
	s_lshl_b32 s26, s22, 1
	v_add_u32_e32 v57, s22, v56
	s_add_i32 s30, s29, s23
	v_mov_b32_e32 v3, 0
	s_mov_b64 s[18:19], 0
	v_mov_b32_e32 v1, 0
	s_branch .LBB200_5
.LBB200_3:                              ;   in Loop: Header=BB200_5 Depth=1
	s_or_b64 exec, exec, s[4:5]
	v_mov_b32_e32 v17, v6
	v_pk_mul_f32 v[14:15], v[8:9], v[16:17] op_sel:[1,0]
	s_nop 0
	v_pk_fma_f32 v[6:7], v[6:7], v[8:9], v[14:15] op_sel_hi:[1,0,1]
	s_nop 0
	v_xor_b32_e32 v8, 0x80000000, v7
	v_mov_b32_e32 v9, v6
	v_pk_mul_f32 v[8:9], v[10:11], v[8:9] op_sel_hi:[0,1]
	v_pk_fma_f32 v[4:5], v[6:7], v[4:5], v[8:9] op_sel_hi:[1,0,1]
	v_mov_b32_e32 v10, s22
	v_pk_add_f32 v[4:5], v[12:13], v[4:5] neg_lo:[0,1] neg_hi:[0,1]
.LBB200_4:                              ;   in Loop: Header=BB200_5 Depth=1
	s_or_b64 exec, exec, s[2:3]
	v_add_u32_e32 v1, v10, v1
	v_cmp_le_i32_e32 vcc, s23, v1
	s_or_b64 s[18:19], vcc, s[18:19]
	s_andn2_b64 exec, exec, s[18:19]
	s_cbranch_execz .LBB200_20
.LBB200_5:                              ; =>This Inner Loop Header: Depth=1
	v_add_u32_e32 v16, v1, v0
	v_ashrrev_i32_e32 v17, 31, v16
	v_lshl_add_u64 v[6:7], v[16:17], 3, s[16:17]
	global_load_dwordx2 v[8:9], v[6:7], off
	v_cmp_gt_u32_e64 s[0:1], s25, v1
	v_mov_b32_e32 v6, 0
	v_mov_b32_e32 v7, 0
	s_and_saveexec_b64 s[2:3], s[0:1]
	s_cbranch_execz .LBB200_7
; %bb.6:                                ;   in Loop: Header=BB200_5 Depth=1
	v_add_u32_e32 v6, v56, v1
	v_ashrrev_i32_e32 v7, 31, v6
	v_lshl_add_u64 v[6:7], v[6:7], 3, s[12:13]
	global_load_dwordx2 v[6:7], v[6:7], off
.LBB200_7:                              ;   in Loop: Header=BB200_5 Depth=1
	s_or_b64 exec, exec, s[2:3]
	v_mov_b32_e32 v10, 0
	v_mov_b32_e32 v12, 0
	;; [unrolled: 1-line block ×3, first 2 shown]
	s_and_saveexec_b64 s[2:3], s[0:1]
	s_cbranch_execz .LBB200_9
; %bb.8:                                ;   in Loop: Header=BB200_5 Depth=1
	v_add_u32_e32 v12, v56, v1
	v_ashrrev_i32_e32 v13, 31, v12
	v_lshl_add_u64 v[12:13], v[12:13], 3, s[14:15]
	global_load_dwordx2 v[12:13], v[12:13], off
.LBB200_9:                              ;   in Loop: Header=BB200_5 Depth=1
	s_or_b64 exec, exec, s[2:3]
	v_mov_b32_e32 v11, 0
	s_and_saveexec_b64 s[2:3], s[0:1]
	s_cbranch_execz .LBB200_11
; %bb.10:                               ;   in Loop: Header=BB200_5 Depth=1
	v_add_u32_e32 v10, v56, v1
	v_ashrrev_i32_e32 v11, 31, v10
	v_lshl_add_u64 v[10:11], v[10:11], 3, s[16:17]
	global_load_dwordx2 v[10:11], v[10:11], off
.LBB200_11:                             ;   in Loop: Header=BB200_5 Depth=1
	s_or_b64 exec, exec, s[2:3]
	v_cmp_gt_u32_e64 s[2:3], s26, v1
	v_mov_b32_e32 v14, 0
	v_mov_b32_e32 v15, 0
	s_and_saveexec_b64 s[4:5], s[2:3]
	s_cbranch_execz .LBB200_13
; %bb.12:                               ;   in Loop: Header=BB200_5 Depth=1
	v_add_u32_e32 v14, v57, v1
	v_ashrrev_i32_e32 v15, 31, v14
	v_lshl_add_u64 v[14:15], v[14:15], 3, s[12:13]
	global_load_dwordx2 v[14:15], v[14:15], off
.LBB200_13:                             ;   in Loop: Header=BB200_5 Depth=1
	s_or_b64 exec, exec, s[4:5]
	v_lshl_add_u64 v[18:19], v[16:17], 2, s[6:7]
	global_load_dword v17, v[18:19], off
	v_cmp_ne_u32_e32 vcc, s25, v1
	v_add_u32_e32 v2, s27, v16
	v_add_u32_e32 v22, s28, v16
	;; [unrolled: 1-line block ×4, first 2 shown]
	s_waitcnt vmcnt(1)
	v_xor_b32_e32 v16, 0x80000000, v7
	s_waitcnt vmcnt(0)
	v_cmp_ne_u32_e64 s[4:5], 1, v17
	s_and_b64 s[4:5], vcc, s[4:5]
	s_and_saveexec_b64 s[20:21], s[4:5]
	s_xor_b64 s[4:5], exec, s[20:21]
	s_cbranch_execz .LBB200_17
; %bb.14:                               ;   in Loop: Header=BB200_5 Depth=1
	v_add_u32_e32 v17, v56, v1
	v_lshl_add_u64 v[24:25], v[2:3], 3, s[8:9]
	v_add_u32_e32 v2, s27, v17
	v_lshl_add_u64 v[54:55], v[2:3], 3, s[8:9]
	global_load_dwordx2 v[26:27], v[24:25], off
	global_load_dwordx2 v[28:29], v[54:55], off
	v_mov_b32_e32 v23, v3
	v_add_u32_e32 v2, s28, v17
	v_mov_b32_e32 v21, v3
	v_lshl_add_u64 v[22:23], v[22:23], 3, s[8:9]
	v_lshl_add_u64 v[58:59], v[2:3], 3, s[8:9]
	;; [unrolled: 1-line block ×3, first 2 shown]
	global_load_dwordx2 v[32:33], v[58:59], off
	global_load_dwordx2 v[40:41], v[34:35], off
	;; [unrolled: 1-line block ×3, first 2 shown]
	v_add_u32_e32 v2, s29, v17
	v_lshl_add_u64 v[60:61], v[2:3], 3, s[8:9]
	global_load_dwordx2 v[62:63], v[60:61], off
	v_mov_b32_e32 v19, v3
	v_lshl_add_u64 v[64:65], v[18:19], 3, s[8:9]
	v_add_u32_e32 v2, s30, v17
	global_load_dwordx2 v[66:67], v[64:65], off
	v_lshl_add_u64 v[68:69], v[2:3], 3, s[8:9]
	global_load_dwordx2 v[70:71], v[68:69], off
	v_xor_b32_e32 v18, 0x80000000, v5
	v_mov_b32_e32 v19, v4
	v_mov_b32_e32 v17, v6
	v_pk_mul_f32 v[20:21], v[12:13], v[18:19] op_sel:[1,0]
	v_pk_mul_f32 v[16:17], v[8:9], v[16:17] op_sel:[1,0]
	v_pk_fma_f32 v[20:21], v[4:5], v[12:13], v[20:21] op_sel_hi:[1,0,1]
	v_pk_fma_f32 v[16:17], v[6:7], v[8:9], v[16:17] op_sel_hi:[1,0,1]
	v_xor_b32_e32 v72, 0x80000000, v13
	v_pk_add_f32 v[16:17], v[20:21], v[16:17] neg_lo:[0,1] neg_hi:[0,1]
	v_xor_b32_e32 v74, 0x80000000, v9
	v_mul_f32_e32 v2, v17, v17
	v_fmac_f32_e32 v2, v16, v16
	v_div_scale_f32 v21, s[20:21], v2, v2, 1.0
	v_rcp_f32_e32 v36, v21
	v_fma_f32 v20, 0, v17, v16
	v_fma_f32 v17, v16, 0, -v17
	v_div_scale_f32 v16, vcc, 1.0, v2, 1.0
	v_fma_f32 v37, -v21, v36, 1.0
	v_fmac_f32_e32 v36, v37, v36
	v_mul_f32_e32 v37, v16, v36
	v_fma_f32 v38, -v21, v37, v16
	v_fmac_f32_e32 v37, v38, v36
	v_fma_f32 v16, -v21, v37, v16
	v_div_fmas_f32 v16, v16, v36, v37
	v_div_fixup_f32 v2, v16, v2, 1.0
	v_mul_f32_e32 v16, v20, v2
	v_mul_f32_e32 v20, v17, v2
	v_mov_b32_e32 v73, v12
	v_mov_b32_e32 v75, v8
	;; [unrolled: 1-line block ×3, first 2 shown]
	s_waitcnt vmcnt(7)
	v_mul_f32_e32 v48, v20, v26
	s_waitcnt vmcnt(6)
	v_mul_f32_e32 v44, v20, v28
	v_mul_f32_e64 v46, v20, -v27
	v_fmac_f32_e32 v48, v27, v16
	v_mul_f32_e64 v42, v20, -v29
	v_fmac_f32_e32 v44, v29, v16
	v_fmac_f32_e32 v46, v26, v16
	;; [unrolled: 1-line block ×3, first 2 shown]
	v_pk_mul_f32 v[26:27], v[48:49], v[72:73] op_sel_hi:[0,1]
	v_pk_mul_f32 v[28:29], v[44:45], v[74:75] op_sel_hi:[0,1]
	v_pk_fma_f32 v[26:27], v[12:13], v[46:47], v[26:27] op_sel_hi:[1,0,1]
	v_pk_fma_f32 v[28:29], v[8:9], v[42:43], v[28:29] op_sel_hi:[1,0,1]
	s_waitcnt vmcnt(3)
	v_mul_f32_e32 v38, v20, v30
	v_mul_f32_e32 v52, v20, v32
	v_pk_add_f32 v[26:27], v[26:27], v[28:29] neg_lo:[0,1] neg_hi:[0,1]
	v_mul_f32_e64 v36, v20, -v31
	v_fmac_f32_e32 v38, v31, v16
	v_mul_f32_e64 v50, v20, -v33
	v_fmac_f32_e32 v52, v33, v16
	global_store_dwordx2 v[24:25], v[26:27], off
	v_fmac_f32_e32 v36, v30, v16
	v_fmac_f32_e32 v50, v32, v16
	v_pk_mul_f32 v[24:25], v[38:39], v[72:73] op_sel_hi:[0,1]
	v_pk_mul_f32 v[26:27], v[52:53], v[74:75] op_sel_hi:[0,1]
	v_pk_fma_f32 v[24:25], v[12:13], v[36:37], v[24:25] op_sel_hi:[1,0,1]
	v_pk_fma_f32 v[26:27], v[8:9], v[50:51], v[26:27] op_sel_hi:[1,0,1]
	s_waitcnt vmcnt(3)
	v_mul_f32_e32 v28, v20, v62
	v_pk_add_f32 v[24:25], v[24:25], v[26:27] neg_lo:[0,1] neg_hi:[0,1]
	global_store_dwordx2 v[22:23], v[24:25], off
	v_mul_f32_e32 v24, v20, v40
	v_mul_f32_e64 v22, v20, -v41
	v_fmac_f32_e32 v24, v41, v16
	v_mul_f32_e64 v26, v20, -v63
	v_fmac_f32_e32 v28, v63, v16
	v_fmac_f32_e32 v22, v40, v16
	;; [unrolled: 1-line block ×3, first 2 shown]
	v_pk_mul_f32 v[30:31], v[24:25], v[72:73] op_sel_hi:[0,1]
	v_pk_mul_f32 v[32:33], v[28:29], v[74:75] op_sel_hi:[0,1]
	v_pk_fma_f32 v[30:31], v[12:13], v[22:23], v[30:31] op_sel_hi:[1,0,1]
	v_pk_fma_f32 v[32:33], v[8:9], v[26:27], v[32:33] op_sel_hi:[1,0,1]
	s_waitcnt vmcnt(2)
	v_mul_f32_e32 v40, v20, v70
	v_pk_add_f32 v[30:31], v[30:31], v[32:33] neg_lo:[0,1] neg_hi:[0,1]
	v_mul_f32_e32 v32, v20, v66
	global_store_dwordx2 v[34:35], v[30:31], off
	v_mul_f32_e64 v30, v20, -v67
	v_fmac_f32_e32 v32, v67, v16
	v_fmac_f32_e32 v30, v66, v16
	v_mul_f32_e64 v34, v20, -v71
	v_fmac_f32_e32 v40, v71, v16
	v_pk_mul_f32 v[62:63], v[32:33], v[72:73] op_sel_hi:[0,1]
	v_fmac_f32_e32 v34, v70, v16
	v_pk_fma_f32 v[12:13], v[12:13], v[30:31], v[62:63] op_sel_hi:[1,0,1]
	v_pk_mul_f32 v[62:63], v[40:41], v[74:75] op_sel_hi:[0,1]
	v_pk_fma_f32 v[8:9], v[8:9], v[34:35], v[62:63] op_sel_hi:[1,0,1]
	v_pk_mul_f32 v[62:63], v[44:45], v[18:19] op_sel_hi:[0,1]
	v_pk_add_f32 v[8:9], v[12:13], v[8:9] neg_lo:[0,1] neg_hi:[0,1]
	v_pk_add_f32 v[12:13], v[6:7], 0 neg_lo:[1,1] neg_hi:[1,1]
	global_store_dwordx2 v[64:65], v[8:9], off
	v_pk_mov_b32 v[12:13], v[6:7], v[12:13] op_sel:[1,0]
	v_pk_fma_f32 v[62:63], v[4:5], v[42:43], v[62:63] op_sel_hi:[1,0,1]
	v_pk_mul_f32 v[8:9], v[12:13], v[48:49] op_sel_hi:[1,0]
	s_nop 0
	v_pk_fma_f32 v[8:9], v[6:7], v[46:47], v[8:9] op_sel_hi:[1,0,1] neg_lo:[1,0,0] neg_hi:[1,0,0]
	s_nop 0
	v_pk_add_f32 v[62:63], v[8:9], v[62:63]
	global_store_dwordx2 v[54:55], v[62:63], off
	v_pk_mul_f32 v[54:55], v[12:13], v[38:39] op_sel_hi:[1,0]
	v_pk_mul_f32 v[62:63], v[52:53], v[18:19] op_sel_hi:[0,1]
	v_pk_fma_f32 v[54:55], v[6:7], v[36:37], v[54:55] op_sel_hi:[1,0,1] neg_lo:[1,0,0] neg_hi:[1,0,0]
	v_pk_fma_f32 v[62:63], v[4:5], v[50:51], v[62:63] op_sel_hi:[1,0,1]
	v_mov_b32_e32 v8, v4
	v_pk_add_f32 v[54:55], v[54:55], v[62:63]
	global_store_dwordx2 v[58:59], v[54:55], off
	v_pk_mul_f32 v[54:55], v[12:13], v[24:25] op_sel_hi:[1,0]
	v_pk_mul_f32 v[58:59], v[28:29], v[18:19] op_sel_hi:[0,1]
	v_pk_fma_f32 v[54:55], v[6:7], v[22:23], v[54:55] op_sel_hi:[1,0,1] neg_lo:[1,0,0] neg_hi:[1,0,0]
	v_pk_fma_f32 v[58:59], v[4:5], v[26:27], v[58:59] op_sel_hi:[1,0,1]
	v_mov_b32_e32 v9, v4
	v_pk_add_f32 v[54:55], v[54:55], v[58:59]
	global_store_dwordx2 v[60:61], v[54:55], off
	v_pk_mul_f32 v[54:55], v[12:13], v[32:33] op_sel_hi:[1,0]
	v_pk_mul_f32 v[58:59], v[40:41], v[18:19] op_sel_hi:[0,1]
	v_pk_fma_f32 v[54:55], v[6:7], v[30:31], v[54:55] op_sel_hi:[1,0,1] neg_lo:[1,0,0] neg_hi:[1,0,0]
	v_pk_fma_f32 v[58:59], v[4:5], v[34:35], v[58:59] op_sel_hi:[1,0,1]
	s_nop 0
	v_pk_add_f32 v[54:55], v[54:55], v[58:59]
	global_store_dwordx2 v[68:69], v[54:55], off
	v_mov_b64_e32 v[54:55], v[2:3]
	s_and_saveexec_b64 s[20:21], s[2:3]
	s_cbranch_execz .LBB200_16
; %bb.15:                               ;   in Loop: Header=BB200_5 Depth=1
	v_mov_b32_e32 v60, v15
	v_pk_mul_f32 v[12:13], v[60:61], v[12:13] op_sel_hi:[0,1]
	v_pk_fma_f32 v[6:7], v[6:7], v[14:15], v[12:13] op_sel_hi:[1,0,1] neg_lo:[1,0,0] neg_hi:[1,0,0]
	v_pk_mul_f32 v[18:19], v[60:61], v[18:19] op_sel_hi:[0,1]
	v_pk_add_f32 v[60:61], v[6:7], 0 neg_lo:[1,1] neg_hi:[1,1]
	v_mov_b32_e32 v49, v48
	v_pk_mov_b32 v[60:61], v[6:7], v[60:61] op_sel:[1,0]
	v_mov_b32_e32 v47, v46
	v_add_u32_e32 v54, v57, v1
	v_pk_fma_f32 v[18:19], v[4:5], v[14:15], v[18:19] op_sel_hi:[1,0,1]
	v_pk_mul_f32 v[48:49], v[60:61], v[48:49]
	v_mov_b32_e32 v45, v44
	v_add_u32_e32 v2, s27, v54
	v_pk_fma_f32 v[46:47], v[6:7], v[46:47], v[48:49] neg_lo:[1,0,0] neg_hi:[1,0,0]
	v_xor_b32_e32 v48, 0x80000000, v19
	v_mov_b32_e32 v49, v18
	v_mov_b32_e32 v43, v42
	v_lshl_add_u64 v[58:59], v[2:3], 3, s[8:9]
	v_pk_mul_f32 v[44:45], v[44:45], v[48:49]
	v_mov_b32_e32 v53, v52
	v_add_u32_e32 v2, s28, v54
	v_pk_fma_f32 v[42:43], v[18:19], v[42:43], v[44:45]
	global_load_dwordx2 v[44:45], v[58:59], off
	v_mov_b32_e32 v51, v50
	v_lshl_add_u64 v[12:13], v[2:3], 3, s[8:9]
	v_pk_mul_f32 v[52:53], v[52:53], v[48:49]
	v_mov_b32_e32 v39, v38
	v_pk_fma_f32 v[50:51], v[18:19], v[50:51], v[52:53]
	global_load_dwordx2 v[52:53], v[12:13], off
	v_mov_b32_e32 v37, v36
	v_pk_mul_f32 v[38:39], v[60:61], v[38:39]
	v_pk_add_f32 v[42:43], v[46:47], v[42:43] neg_lo:[0,1] neg_hi:[0,1]
	v_add_u32_e32 v2, s29, v54
	v_pk_fma_f32 v[36:37], v[6:7], v[36:37], v[38:39] neg_lo:[1,0,0] neg_hi:[1,0,0]
	v_lshl_add_u64 v[38:39], v[2:3], 3, s[8:9]
	v_pk_add_f32 v[36:37], v[36:37], v[50:51] neg_lo:[0,1] neg_hi:[0,1]
	v_ashrrev_i32_e32 v55, 31, v54
	v_add_u32_e32 v2, s30, v54
	v_lshl_add_u64 v[46:47], v[2:3], 3, s[8:9]
	v_mov_b32_e32 v2, v11
	v_mov_b32_e32 v29, v28
	;; [unrolled: 1-line block ×9, first 2 shown]
	v_pk_mul_f32 v[24:25], v[60:61], v[24:25]
	s_waitcnt vmcnt(1)
	v_pk_add_f32 v[42:43], v[42:43], v[44:45]
	global_store_dwordx2 v[58:59], v[42:43], off
	global_load_dwordx2 v[42:43], v[38:39], off
	v_xor_b32_e32 v44, 0x80000000, v15
	v_mov_b32_e32 v45, v14
	v_pk_mul_f32 v[4:5], v[4:5], v[44:45] op_sel:[1,0]
	s_waitcnt vmcnt(2)
	v_pk_add_f32 v[36:37], v[36:37], v[52:53]
	global_store_dwordx2 v[12:13], v[36:37], off
	v_lshl_add_u64 v[36:37], v[54:55], 3, s[14:15]
	global_load_dwordx2 v[12:13], v[46:47], off
	v_pk_fma_f32 v[4:5], v[14:15], v[8:9], v[4:5]
	global_load_dwordx2 v[36:37], v[36:37], off
	v_xor_b32_e32 v8, 0x80000000, v5
	v_mov_b32_e32 v9, v4
	v_pk_mul_f32 v[8:9], v[2:3], v[8:9] op_sel_hi:[0,1]
	v_pk_mul_f32 v[14:15], v[28:29], v[48:49]
	v_pk_fma_f32 v[4:5], v[4:5], v[10:11], v[8:9] op_sel_hi:[1,0,1]
	v_pk_mul_f32 v[28:29], v[40:41], v[48:49]
	v_pk_fma_f32 v[14:15], v[18:19], v[26:27], v[14:15]
	v_pk_mul_f32 v[26:27], v[60:61], v[32:33]
	v_xor_b32_e32 v10, 0x80000000, v5
	v_mov_b32_e32 v11, v4
	v_pk_fma_f32 v[18:19], v[18:19], v[34:35], v[28:29]
	v_pk_fma_f32 v[8:9], v[6:7], v[22:23], v[24:25] neg_lo:[1,0,0] neg_hi:[1,0,0]
	v_pk_fma_f32 v[6:7], v[6:7], v[30:31], v[26:27] neg_lo:[1,0,0] neg_hi:[1,0,0]
	v_pk_mul_f32 v[10:11], v[20:21], v[10:11] op_sel_hi:[0,1]
	v_pk_add_f32 v[8:9], v[8:9], v[14:15] neg_lo:[0,1] neg_hi:[0,1]
	v_pk_add_f32 v[6:7], v[6:7], v[18:19] neg_lo:[0,1] neg_hi:[0,1]
	v_pk_fma_f32 v[4:5], v[4:5], v[16:17], v[10:11] op_sel_hi:[1,0,1]
	s_waitcnt vmcnt(3)
	v_pk_add_f32 v[8:9], v[8:9], v[42:43]
	global_store_dwordx2 v[38:39], v[8:9], off
	s_waitcnt vmcnt(2)
	v_pk_add_f32 v[6:7], v[6:7], v[12:13]
	global_store_dwordx2 v[46:47], v[6:7], off
	s_waitcnt vmcnt(2)
	v_pk_add_f32 v[54:55], v[36:37], v[4:5] neg_lo:[0,1] neg_hi:[0,1]
.LBB200_16:                             ;   in Loop: Header=BB200_5 Depth=1
	s_or_b64 exec, exec, s[20:21]
	v_mov_b64_e32 v[4:5], v[54:55]
                                        ; implicit-def: $vgpr8_vgpr9
                                        ; implicit-def: $vgpr6
                                        ; implicit-def: $vgpr12_vgpr13
                                        ; implicit-def: $vgpr22
                                        ; implicit-def: $vgpr20
                                        ; implicit-def: $vgpr18
                                        ; implicit-def: $vgpr16
.LBB200_17:                             ;   in Loop: Header=BB200_5 Depth=1
	s_or_saveexec_b64 s[2:3], s[4:5]
	v_mov_b32_e32 v10, s26
	s_xor_b64 exec, exec, s[2:3]
	s_cbranch_execz .LBB200_4
; %bb.18:                               ;   in Loop: Header=BB200_5 Depth=1
	v_lshl_add_u64 v[24:25], v[2:3], 3, s[8:9]
	v_mov_b32_e32 v23, v3
	global_load_dwordx2 v[14:15], v[24:25], off
	v_lshl_add_u64 v[26:27], v[22:23], 3, s[8:9]
	v_mov_b32_e32 v21, v3
	v_mov_b32_e32 v19, v3
	v_lshl_add_u64 v[28:29], v[20:21], 3, s[8:9]
	v_lshl_add_u64 v[30:31], v[18:19], 3, s[8:9]
	global_load_dwordx2 v[18:19], v[26:27], off
	global_load_dwordx2 v[20:21], v[28:29], off
	;; [unrolled: 1-line block ×3, first 2 shown]
	v_mul_f32_e32 v2, v5, v5
	v_fmac_f32_e32 v2, v4, v4
	v_div_scale_f32 v11, s[4:5], v2, v2, 1.0
	v_rcp_f32_e32 v17, v11
	v_fma_f32 v10, 0, v5, v4
	v_fma_f32 v5, v4, 0, -v5
	v_div_scale_f32 v4, vcc, 1.0, v2, 1.0
	v_fma_f32 v22, -v11, v17, 1.0
	v_fmac_f32_e32 v17, v22, v17
	v_mul_f32_e32 v22, v4, v17
	v_fma_f32 v23, -v11, v22, v4
	v_fmac_f32_e32 v22, v23, v17
	v_fma_f32 v4, -v11, v22, v4
	v_div_fmas_f32 v4, v4, v17, v22
	v_div_fixup_f32 v2, v4, v2, 1.0
	v_mul_f32_e32 v4, v10, v2
	v_mul_f32_e32 v10, v5, v2
	s_waitcnt vmcnt(3)
	v_pk_mul_f32 v[22:23], v[10:11], v[14:15] op_sel:[0,1] op_sel_hi:[0,0] neg_lo:[0,1]
	v_pk_fma_f32 v[14:15], v[14:15], v[4:5], v[22:23] op_sel_hi:[1,0,1]
	global_store_dwordx2 v[24:25], v[14:15], off
	s_waitcnt vmcnt(3)
	v_pk_mul_f32 v[22:23], v[10:11], v[18:19] op_sel:[0,1] op_sel_hi:[0,0] neg_lo:[0,1]
	s_waitcnt vmcnt(2)
	v_pk_mul_f32 v[34:35], v[10:11], v[20:21] op_sel:[0,1] op_sel_hi:[0,0] neg_lo:[0,1]
	s_waitcnt vmcnt(1)
	v_pk_mul_f32 v[36:37], v[10:11], v[32:33] op_sel:[0,1] op_sel_hi:[0,0] neg_lo:[0,1]
	v_pk_fma_f32 v[22:23], v[18:19], v[4:5], v[22:23] op_sel_hi:[1,0,1]
	v_pk_fma_f32 v[20:21], v[20:21], v[4:5], v[34:35] op_sel_hi:[1,0,1]
	;; [unrolled: 1-line block ×3, first 2 shown]
	global_store_dwordx2 v[26:27], v[22:23], off
	global_store_dwordx2 v[28:29], v[20:21], off
	;; [unrolled: 1-line block ×3, first 2 shown]
	s_and_saveexec_b64 s[4:5], s[0:1]
	s_cbranch_execz .LBB200_3
; %bb.19:                               ;   in Loop: Header=BB200_5 Depth=1
	v_add_u32_e32 v5, v56, v1
	v_add_u32_e32 v2, s27, v5
	v_lshl_add_u64 v[24:25], v[2:3], 3, s[8:9]
	v_add_u32_e32 v2, s28, v5
	global_load_dwordx2 v[26:27], v[24:25], off
	v_lshl_add_u64 v[28:29], v[2:3], 3, s[8:9]
	global_load_dwordx2 v[30:31], v[28:29], off
	v_xor_b32_e32 v32, 0x80000000, v6
	v_mov_b32_e32 v33, v16
	v_mov_b32_e32 v34, v7
	;; [unrolled: 1-line block ×3, first 2 shown]
	v_add_u32_e32 v2, s29, v5
	v_lshl_add_u64 v[36:37], v[2:3], 3, s[8:9]
	v_add_u32_e32 v2, s30, v5
	v_lshl_add_u64 v[38:39], v[2:3], 3, s[8:9]
	s_waitcnt vmcnt(1)
	v_pk_fma_f32 v[26:27], v[32:33], v[14:15], v[26:27] op_sel_hi:[1,0,1]
	s_nop 0
	v_pk_fma_f32 v[14:15], v[34:35], v[14:15], v[26:27] op_sel:[0,1,0]
	s_waitcnt vmcnt(0)
	v_pk_fma_f32 v[26:27], v[32:33], v[22:23], v[30:31] op_sel_hi:[1,0,1]
	global_store_dwordx2 v[24:25], v[14:15], off
	v_pk_fma_f32 v[14:15], v[34:35], v[22:23], v[26:27] op_sel:[0,1,0]
	global_store_dwordx2 v[28:29], v[14:15], off
	global_load_dwordx2 v[22:23], v[36:37], off
	s_nop 0
	global_load_dwordx2 v[14:15], v[38:39], off
	s_waitcnt vmcnt(1)
	v_pk_fma_f32 v[22:23], v[32:33], v[20:21], v[22:23] op_sel_hi:[1,0,1]
	s_nop 0
	v_pk_fma_f32 v[20:21], v[34:35], v[20:21], v[22:23] op_sel:[0,1,0]
	s_waitcnt vmcnt(0)
	v_pk_fma_f32 v[14:15], v[32:33], v[18:19], v[14:15] op_sel_hi:[1,0,1]
	global_store_dwordx2 v[36:37], v[20:21], off
	v_pk_fma_f32 v[14:15], v[34:35], v[18:19], v[14:15] op_sel:[0,1,0]
	global_store_dwordx2 v[38:39], v[14:15], off
	s_branch .LBB200_3
.LBB200_20:
	s_or_b64 exec, exec, s[18:19]
	s_branch .LBB200_22
.LBB200_21:
	v_mov_b32_e32 v1, 0
.LBB200_22:
	v_subrev_u32_e32 v1, s22, v1
	v_add_u32_e32 v2, v1, v0
	v_ashrrev_i32_e32 v3, 31, v2
	s_waitcnt lgkmcnt(0)
	v_lshl_add_u64 v[2:3], v[2:3], 2, s[6:7]
	buffer_wbl2 sc1
	s_waitcnt vmcnt(0)
	buffer_inv sc1
	global_load_dword v2, v[2:3], off
	s_waitcnt vmcnt(0)
	v_mul_lo_u32 v2, v2, s22
	v_sub_u32_e32 v1, v1, v2
	v_cmp_lt_i32_e32 vcc, -1, v1
	s_and_b64 exec, exec, vcc
	s_cbranch_execz .LBB200_29
; %bb.23:
	s_lshl_b32 s4, s24, 2
	s_add_i32 s5, s4, s23
	s_add_i32 s12, s5, s23
	;; [unrolled: 1-line block ×3, first 2 shown]
	s_lshl_b32 s14, s22, 1
	s_mov_b64 s[0:1], 0
	v_mov_b32_e32 v3, 0
	s_branch .LBB200_25
.LBB200_24:                             ;   in Loop: Header=BB200_25 Depth=1
	s_or_b64 exec, exec, s[2:3]
	v_sub_u32_e32 v1, v1, v2
	v_cmp_gt_i32_e32 vcc, 0, v1
	s_or_b64 s[0:1], vcc, s[0:1]
	s_andn2_b64 exec, exec, s[0:1]
	s_cbranch_execz .LBB200_29
.LBB200_25:                             ; =>This Inner Loop Header: Depth=1
	v_add_u32_e32 v4, v1, v0
	v_ashrrev_i32_e32 v5, 31, v4
	s_waitcnt vmcnt(0)
	v_lshl_add_u64 v[6:7], v[4:5], 2, s[6:7]
	global_load_dword v2, v[6:7], off
	v_lshl_add_u64 v[6:7], v[4:5], 3, s[10:11]
	global_load_dwordx2 v[6:7], v[6:7], off
	s_waitcnt vmcnt(1)
	v_cmp_ne_u32_e32 vcc, 1, v2
	s_and_saveexec_b64 s[2:3], vcc
	s_xor_b64 s[2:3], exec, s[2:3]
	s_cbranch_execz .LBB200_27
; %bb.26:                               ;   in Loop: Header=BB200_25 Depth=1
	v_add_u32_e32 v5, v56, v1
	v_add_u32_e32 v2, s4, v5
	v_lshl_add_u64 v[8:9], v[2:3], 3, s[8:9]
	v_add_u32_e32 v2, s5, v5
	v_lshl_add_u64 v[10:11], v[2:3], 3, s[8:9]
	;; [unrolled: 2-line block ×5, first 2 shown]
	global_load_dwordx2 v[8:9], v[8:9], off
	s_waitcnt vmcnt(1)
	v_pk_add_f32 v[20:21], v[6:7], 0 neg_lo:[1,1] neg_hi:[1,1]
	global_load_dwordx2 v[18:19], v[16:17], off
	v_xor_b32_e32 v23, 0x80000000, v7
	v_mov_b32_e32 v22, v20
	v_pk_mov_b32 v[6:7], v[6:7], v[20:21] op_sel:[1,0]
	global_load_dwordx2 v[20:21], v[10:11], off
	global_load_dwordx2 v[24:25], v[12:13], off
	;; [unrolled: 1-line block ×3, first 2 shown]
	v_add_u32_e32 v2, s5, v4
	v_lshl_add_u64 v[10:11], v[2:3], 3, s[8:9]
	v_add_u32_e32 v2, s12, v4
	v_lshl_add_u64 v[14:15], v[2:3], 3, s[8:9]
	;; [unrolled: 2-line block ×3, first 2 shown]
	v_subrev_u32_e32 v2, s22, v1
	s_waitcnt vmcnt(3)
	v_pk_fma_f32 v[12:13], v[22:23], v[8:9], v[18:19] op_sel_hi:[1,0,1]
	s_nop 0
	v_pk_fma_f32 v[12:13], v[6:7], v[8:9], v[12:13] op_sel:[0,1,0]
	global_store_dwordx2 v[16:17], v[12:13], off
	global_load_dwordx2 v[12:13], v[10:11], off
	s_waitcnt vmcnt(0)
	v_pk_fma_f32 v[12:13], v[22:23], v[20:21], v[12:13] op_sel_hi:[1,0,1]
	s_nop 0
	v_pk_fma_f32 v[12:13], v[6:7], v[20:21], v[12:13] op_sel:[0,1,0]
	global_store_dwordx2 v[10:11], v[12:13], off
	global_load_dwordx2 v[10:11], v[14:15], off
	v_add_u32_e32 v12, v2, v0
	v_ashrrev_i32_e32 v13, 31, v12
	v_add_u32_e32 v2, s4, v12
	v_lshl_add_u64 v[16:17], v[2:3], 3, s[8:9]
	v_add_u32_e32 v2, s5, v12
	s_waitcnt vmcnt(0)
	v_pk_fma_f32 v[10:11], v[22:23], v[24:25], v[10:11] op_sel_hi:[1,0,1]
	s_nop 0
	v_pk_fma_f32 v[10:11], v[6:7], v[24:25], v[10:11] op_sel:[0,1,0]
	global_store_dwordx2 v[14:15], v[10:11], off
	global_load_dwordx2 v[10:11], v[4:5], off
	v_lshl_add_u64 v[14:15], v[12:13], 3, s[10:11]
	global_load_dwordx2 v[14:15], v[14:15], off
	s_waitcnt vmcnt(1)
	v_pk_fma_f32 v[10:11], v[22:23], v[26:27], v[10:11] op_sel_hi:[1,0,1]
	s_nop 0
	v_pk_fma_f32 v[6:7], v[6:7], v[26:27], v[10:11] op_sel:[0,1,0]
	global_store_dwordx2 v[4:5], v[6:7], off
	global_load_dwordx2 v[4:5], v[16:17], off
	s_waitcnt vmcnt(2)
	v_pk_add_f32 v[10:11], v[14:15], 0 neg_lo:[1,1] neg_hi:[1,1]
	v_lshl_add_u64 v[6:7], v[2:3], 3, s[8:9]
	v_pk_mov_b32 v[10:11], v[14:15], v[10:11] op_sel:[1,0]
	v_add_u32_e32 v2, s12, v12
	s_waitcnt vmcnt(0)
	v_pk_fma_f32 v[4:5], v[14:15], v[8:9], v[4:5] op_sel_hi:[1,0,1] neg_lo:[1,0,0] neg_hi:[1,0,0]
	s_nop 0
	v_pk_fma_f32 v[4:5], v[10:11], v[8:9], v[4:5] op_sel:[0,1,0]
	global_store_dwordx2 v[16:17], v[4:5], off
	global_load_dwordx2 v[4:5], v[6:7], off
	v_lshl_add_u64 v[8:9], v[2:3], 3, s[8:9]
	v_add_u32_e32 v2, s13, v12
	s_waitcnt vmcnt(0)
	v_pk_fma_f32 v[4:5], v[14:15], v[20:21], v[4:5] op_sel_hi:[1,0,1] neg_lo:[1,0,0] neg_hi:[1,0,0]
	s_nop 0
	v_pk_fma_f32 v[4:5], v[10:11], v[20:21], v[4:5] op_sel:[0,1,0]
	global_store_dwordx2 v[6:7], v[4:5], off
	global_load_dwordx2 v[4:5], v[8:9], off
	v_lshl_add_u64 v[6:7], v[2:3], 3, s[8:9]
	s_waitcnt vmcnt(0)
	v_pk_fma_f32 v[4:5], v[14:15], v[24:25], v[4:5] op_sel_hi:[1,0,1] neg_lo:[1,0,0] neg_hi:[1,0,0]
	s_nop 0
	v_pk_fma_f32 v[4:5], v[10:11], v[24:25], v[4:5] op_sel:[0,1,0]
	global_store_dwordx2 v[8:9], v[4:5], off
	global_load_dwordx2 v[4:5], v[6:7], off
	s_waitcnt vmcnt(0)
	v_pk_fma_f32 v[4:5], v[14:15], v[26:27], v[4:5] op_sel_hi:[1,0,1] neg_lo:[1,0,0] neg_hi:[1,0,0]
	s_nop 0
	v_pk_fma_f32 v[4:5], v[10:11], v[26:27], v[4:5] op_sel:[0,1,0]
	global_store_dwordx2 v[6:7], v[4:5], off
                                        ; implicit-def: $vgpr4
                                        ; implicit-def: $vgpr6_vgpr7
.LBB200_27:                             ;   in Loop: Header=BB200_25 Depth=1
	s_or_saveexec_b64 s[2:3], s[2:3]
	v_mov_b32_e32 v2, s14
	s_xor_b64 exec, exec, s[2:3]
	s_cbranch_execz .LBB200_24
; %bb.28:                               ;   in Loop: Header=BB200_25 Depth=1
	v_add_u32_e32 v5, v56, v1
	v_add_u32_e32 v2, s4, v5
	v_lshl_add_u64 v[8:9], v[2:3], 3, s[8:9]
	v_add_u32_e32 v2, s4, v4
	v_lshl_add_u64 v[10:11], v[2:3], 3, s[8:9]
	global_load_dwordx2 v[12:13], v[8:9], off
	global_load_dwordx2 v[14:15], v[10:11], off
	s_waitcnt vmcnt(2)
	v_pk_add_f32 v[8:9], v[6:7], 0 neg_lo:[1,1] neg_hi:[1,1]
	v_xor_b32_e32 v17, 0x80000000, v7
	v_mov_b32_e32 v16, v8
	v_pk_mov_b32 v[8:9], v[6:7], v[8:9] op_sel:[1,0]
	v_add_u32_e32 v2, s5, v5
	v_lshl_add_u64 v[18:19], v[2:3], 3, s[8:9]
	v_add_u32_e32 v2, s5, v4
	v_lshl_add_u64 v[20:21], v[2:3], 3, s[8:9]
	v_add_u32_e32 v2, s12, v5
	s_waitcnt vmcnt(0)
	v_pk_fma_f32 v[14:15], v[16:17], v[12:13], v[14:15] op_sel_hi:[1,0,1]
	s_nop 0
	v_pk_fma_f32 v[12:13], v[8:9], v[12:13], v[14:15] op_sel:[0,1,0]
	global_store_dwordx2 v[10:11], v[12:13], off
	global_load_dwordx2 v[10:11], v[18:19], off
	s_nop 0
	global_load_dwordx2 v[12:13], v[20:21], off
	v_lshl_add_u64 v[14:15], v[2:3], 3, s[8:9]
	v_add_u32_e32 v2, s12, v4
	v_lshl_add_u64 v[18:19], v[2:3], 3, s[8:9]
	v_add_u32_e32 v2, s13, v5
	s_waitcnt vmcnt(0)
	v_pk_fma_f32 v[12:13], v[16:17], v[10:11], v[12:13] op_sel_hi:[1,0,1]
	s_nop 0
	v_pk_fma_f32 v[10:11], v[8:9], v[10:11], v[12:13] op_sel:[0,1,0]
	global_store_dwordx2 v[20:21], v[10:11], off
	global_load_dwordx2 v[10:11], v[14:15], off
	s_nop 0
	global_load_dwordx2 v[12:13], v[18:19], off
	v_lshl_add_u64 v[14:15], v[2:3], 3, s[8:9]
	v_add_u32_e32 v2, s13, v4
	v_lshl_add_u64 v[4:5], v[2:3], 3, s[8:9]
	v_mov_b32_e32 v2, s22
	s_waitcnt vmcnt(0)
	v_pk_fma_f32 v[12:13], v[16:17], v[10:11], v[12:13] op_sel_hi:[1,0,1]
	s_nop 0
	v_pk_fma_f32 v[10:11], v[8:9], v[10:11], v[12:13] op_sel:[0,1,0]
	global_store_dwordx2 v[18:19], v[10:11], off
	global_load_dwordx2 v[10:11], v[14:15], off
	s_nop 0
	global_load_dwordx2 v[12:13], v[4:5], off
	s_waitcnt vmcnt(0)
	v_pk_fma_f32 v[6:7], v[6:7], v[10:11], v[12:13] op_sel_hi:[1,0,1] neg_lo:[1,0,0] neg_hi:[1,0,0]
	s_nop 0
	v_pk_fma_f32 v[6:7], v[8:9], v[10:11], v[6:7] op_sel:[0,1,0]
	global_store_dwordx2 v[4:5], v[6:7], off
	s_branch .LBB200_24
.LBB200_29:
	s_endpgm
	.section	.rodata,"a",@progbits
	.p2align	6, 0x0
	.amdhsa_kernel _ZN9rocsparseL19gtsv_LBM_rhs_kernelILj256ELj4ELj4E21rocsparse_complex_numIfEEEviiiPKT2_S5_S5_PS3_S5_PKi
		.amdhsa_group_segment_fixed_size 0
		.amdhsa_private_segment_fixed_size 0
		.amdhsa_kernarg_size 64
		.amdhsa_user_sgpr_count 2
		.amdhsa_user_sgpr_dispatch_ptr 0
		.amdhsa_user_sgpr_queue_ptr 0
		.amdhsa_user_sgpr_kernarg_segment_ptr 1
		.amdhsa_user_sgpr_dispatch_id 0
		.amdhsa_user_sgpr_kernarg_preload_length 0
		.amdhsa_user_sgpr_kernarg_preload_offset 0
		.amdhsa_user_sgpr_private_segment_size 0
		.amdhsa_uses_dynamic_stack 0
		.amdhsa_enable_private_segment 0
		.amdhsa_system_sgpr_workgroup_id_x 1
		.amdhsa_system_sgpr_workgroup_id_y 1
		.amdhsa_system_sgpr_workgroup_id_z 0
		.amdhsa_system_sgpr_workgroup_info 0
		.amdhsa_system_vgpr_workitem_id 0
		.amdhsa_next_free_vgpr 76
		.amdhsa_next_free_sgpr 31
		.amdhsa_accum_offset 76
		.amdhsa_reserve_vcc 1
		.amdhsa_float_round_mode_32 0
		.amdhsa_float_round_mode_16_64 0
		.amdhsa_float_denorm_mode_32 3
		.amdhsa_float_denorm_mode_16_64 3
		.amdhsa_dx10_clamp 1
		.amdhsa_ieee_mode 1
		.amdhsa_fp16_overflow 0
		.amdhsa_tg_split 0
		.amdhsa_exception_fp_ieee_invalid_op 0
		.amdhsa_exception_fp_denorm_src 0
		.amdhsa_exception_fp_ieee_div_zero 0
		.amdhsa_exception_fp_ieee_overflow 0
		.amdhsa_exception_fp_ieee_underflow 0
		.amdhsa_exception_fp_ieee_inexact 0
		.amdhsa_exception_int_div_zero 0
	.end_amdhsa_kernel
	.section	.text._ZN9rocsparseL19gtsv_LBM_rhs_kernelILj256ELj4ELj4E21rocsparse_complex_numIfEEEviiiPKT2_S5_S5_PS3_S5_PKi,"axG",@progbits,_ZN9rocsparseL19gtsv_LBM_rhs_kernelILj256ELj4ELj4E21rocsparse_complex_numIfEEEviiiPKT2_S5_S5_PS3_S5_PKi,comdat
.Lfunc_end200:
	.size	_ZN9rocsparseL19gtsv_LBM_rhs_kernelILj256ELj4ELj4E21rocsparse_complex_numIfEEEviiiPKT2_S5_S5_PS3_S5_PKi, .Lfunc_end200-_ZN9rocsparseL19gtsv_LBM_rhs_kernelILj256ELj4ELj4E21rocsparse_complex_numIfEEEviiiPKT2_S5_S5_PS3_S5_PKi
                                        ; -- End function
	.set _ZN9rocsparseL19gtsv_LBM_rhs_kernelILj256ELj4ELj4E21rocsparse_complex_numIfEEEviiiPKT2_S5_S5_PS3_S5_PKi.num_vgpr, 76
	.set _ZN9rocsparseL19gtsv_LBM_rhs_kernelILj256ELj4ELj4E21rocsparse_complex_numIfEEEviiiPKT2_S5_S5_PS3_S5_PKi.num_agpr, 0
	.set _ZN9rocsparseL19gtsv_LBM_rhs_kernelILj256ELj4ELj4E21rocsparse_complex_numIfEEEviiiPKT2_S5_S5_PS3_S5_PKi.numbered_sgpr, 31
	.set _ZN9rocsparseL19gtsv_LBM_rhs_kernelILj256ELj4ELj4E21rocsparse_complex_numIfEEEviiiPKT2_S5_S5_PS3_S5_PKi.num_named_barrier, 0
	.set _ZN9rocsparseL19gtsv_LBM_rhs_kernelILj256ELj4ELj4E21rocsparse_complex_numIfEEEviiiPKT2_S5_S5_PS3_S5_PKi.private_seg_size, 0
	.set _ZN9rocsparseL19gtsv_LBM_rhs_kernelILj256ELj4ELj4E21rocsparse_complex_numIfEEEviiiPKT2_S5_S5_PS3_S5_PKi.uses_vcc, 1
	.set _ZN9rocsparseL19gtsv_LBM_rhs_kernelILj256ELj4ELj4E21rocsparse_complex_numIfEEEviiiPKT2_S5_S5_PS3_S5_PKi.uses_flat_scratch, 0
	.set _ZN9rocsparseL19gtsv_LBM_rhs_kernelILj256ELj4ELj4E21rocsparse_complex_numIfEEEviiiPKT2_S5_S5_PS3_S5_PKi.has_dyn_sized_stack, 0
	.set _ZN9rocsparseL19gtsv_LBM_rhs_kernelILj256ELj4ELj4E21rocsparse_complex_numIfEEEviiiPKT2_S5_S5_PS3_S5_PKi.has_recursion, 0
	.set _ZN9rocsparseL19gtsv_LBM_rhs_kernelILj256ELj4ELj4E21rocsparse_complex_numIfEEEviiiPKT2_S5_S5_PS3_S5_PKi.has_indirect_call, 0
	.section	.AMDGPU.csdata,"",@progbits
; Kernel info:
; codeLenInByte = 3784
; TotalNumSgprs: 37
; NumVgprs: 76
; NumAgprs: 0
; TotalNumVgprs: 76
; ScratchSize: 0
; MemoryBound: 0
; FloatMode: 240
; IeeeMode: 1
; LDSByteSize: 0 bytes/workgroup (compile time only)
; SGPRBlocks: 4
; VGPRBlocks: 9
; NumSGPRsForWavesPerEU: 37
; NumVGPRsForWavesPerEU: 76
; AccumOffset: 76
; Occupancy: 6
; WaveLimiterHint : 0
; COMPUTE_PGM_RSRC2:SCRATCH_EN: 0
; COMPUTE_PGM_RSRC2:USER_SGPR: 2
; COMPUTE_PGM_RSRC2:TRAP_HANDLER: 0
; COMPUTE_PGM_RSRC2:TGID_X_EN: 1
; COMPUTE_PGM_RSRC2:TGID_Y_EN: 1
; COMPUTE_PGM_RSRC2:TGID_Z_EN: 0
; COMPUTE_PGM_RSRC2:TIDIG_COMP_CNT: 0
; COMPUTE_PGM_RSRC3_GFX90A:ACCUM_OFFSET: 18
; COMPUTE_PGM_RSRC3_GFX90A:TG_SPLIT: 0
	.section	.text._ZN9rocsparseL19gtsv_LBM_rhs_kernelILj256ELj4ELj2E21rocsparse_complex_numIfEEEviiiPKT2_S5_S5_PS3_S5_PKi,"axG",@progbits,_ZN9rocsparseL19gtsv_LBM_rhs_kernelILj256ELj4ELj2E21rocsparse_complex_numIfEEEviiiPKT2_S5_S5_PS3_S5_PKi,comdat
	.globl	_ZN9rocsparseL19gtsv_LBM_rhs_kernelILj256ELj4ELj2E21rocsparse_complex_numIfEEEviiiPKT2_S5_S5_PS3_S5_PKi ; -- Begin function _ZN9rocsparseL19gtsv_LBM_rhs_kernelILj256ELj4ELj2E21rocsparse_complex_numIfEEEviiiPKT2_S5_S5_PS3_S5_PKi
	.p2align	8
	.type	_ZN9rocsparseL19gtsv_LBM_rhs_kernelILj256ELj4ELj2E21rocsparse_complex_numIfEEEviiiPKT2_S5_S5_PS3_S5_PKi,@function
_ZN9rocsparseL19gtsv_LBM_rhs_kernelILj256ELj4ELj2E21rocsparse_complex_numIfEEEviiiPKT2_S5_S5_PS3_S5_PKi: ; @_ZN9rocsparseL19gtsv_LBM_rhs_kernelILj256ELj4ELj2E21rocsparse_complex_numIfEEEviiiPKT2_S5_S5_PS3_S5_PKi
; %bb.0:
	s_load_dword s23, s[0:1], 0x0
	v_lshl_or_b32 v0, s2, 8, v0
	s_waitcnt lgkmcnt(0)
	s_lshr_b32 s22, s23, 2
	v_cmp_gt_i32_e32 vcc, s22, v0
	s_and_saveexec_b64 s[4:5], vcc
	s_cbranch_execz .LBB201_29
; %bb.1:
	s_load_dwordx4 s[8:11], s[0:1], 0x28
	s_load_dwordx2 s[6:7], s[0:1], 0x38
	s_cmp_lt_i32 s23, 1
	v_add_u32_e32 v25, s22, v0
	s_mul_i32 s24, s3, s23
	s_cbranch_scc1 .LBB201_21
; %bb.2:
	s_load_dwordx4 s[12:15], s[0:1], 0x10
	s_load_dwordx2 s[16:17], s[0:1], 0x20
	v_ashrrev_i32_e32 v1, 31, v0
	s_lshl_b32 s27, s24, 1
	s_mul_i32 s25, s22, 3
	s_waitcnt lgkmcnt(0)
	v_lshl_add_u64 v[2:3], v[0:1], 3, s[14:15]
	global_load_dwordx2 v[6:7], v[2:3], off
	s_lshl_b32 s26, s22, 1
	v_add_u32_e32 v42, s22, v25
	s_add_i32 s28, s27, s23
	v_mov_b32_e32 v3, 0
	s_mov_b64 s[18:19], 0
	v_mov_b32_e32 v1, 0
	s_branch .LBB201_5
.LBB201_3:                              ;   in Loop: Header=BB201_5 Depth=1
	s_or_b64 exec, exec, s[4:5]
	v_mov_b32_e32 v21, v4
	v_pk_mul_f32 v[14:15], v[8:9], v[20:21] op_sel:[1,0]
	s_nop 0
	v_pk_fma_f32 v[4:5], v[4:5], v[8:9], v[14:15] op_sel_hi:[1,0,1]
	s_nop 0
	v_xor_b32_e32 v8, 0x80000000, v5
	v_mov_b32_e32 v9, v4
	v_pk_mul_f32 v[8:9], v[12:13], v[8:9] op_sel_hi:[0,1]
	v_pk_fma_f32 v[4:5], v[4:5], v[6:7], v[8:9] op_sel_hi:[1,0,1]
	v_mov_b32_e32 v12, s22
	v_pk_add_f32 v[6:7], v[10:11], v[4:5] neg_lo:[0,1] neg_hi:[0,1]
.LBB201_4:                              ;   in Loop: Header=BB201_5 Depth=1
	s_or_b64 exec, exec, s[2:3]
	v_add_u32_e32 v1, v12, v1
	v_cmp_le_i32_e32 vcc, s23, v1
	s_or_b64 s[18:19], vcc, s[18:19]
	s_andn2_b64 exec, exec, s[18:19]
	s_cbranch_execz .LBB201_20
.LBB201_5:                              ; =>This Inner Loop Header: Depth=1
	v_add_u32_e32 v16, v1, v0
	v_ashrrev_i32_e32 v17, 31, v16
	v_lshl_add_u64 v[4:5], v[16:17], 3, s[16:17]
	global_load_dwordx2 v[8:9], v[4:5], off
	v_cmp_gt_u32_e64 s[0:1], s25, v1
	v_mov_b32_e32 v4, 0
	v_mov_b32_e32 v5, 0
	s_and_saveexec_b64 s[2:3], s[0:1]
	s_cbranch_execz .LBB201_7
; %bb.6:                                ;   in Loop: Header=BB201_5 Depth=1
	v_add_u32_e32 v4, v25, v1
	v_ashrrev_i32_e32 v5, 31, v4
	v_lshl_add_u64 v[4:5], v[4:5], 3, s[12:13]
	global_load_dwordx2 v[4:5], v[4:5], off
.LBB201_7:                              ;   in Loop: Header=BB201_5 Depth=1
	s_or_b64 exec, exec, s[2:3]
	v_mov_b32_e32 v12, 0
	v_mov_b32_e32 v10, 0
	v_mov_b32_e32 v11, 0
	s_and_saveexec_b64 s[2:3], s[0:1]
	s_cbranch_execz .LBB201_9
; %bb.8:                                ;   in Loop: Header=BB201_5 Depth=1
	v_add_u32_e32 v10, v25, v1
	v_ashrrev_i32_e32 v11, 31, v10
	v_lshl_add_u64 v[10:11], v[10:11], 3, s[14:15]
	global_load_dwordx2 v[10:11], v[10:11], off
.LBB201_9:                              ;   in Loop: Header=BB201_5 Depth=1
	s_or_b64 exec, exec, s[2:3]
	v_mov_b32_e32 v13, 0
	s_and_saveexec_b64 s[2:3], s[0:1]
	s_cbranch_execz .LBB201_11
; %bb.10:                               ;   in Loop: Header=BB201_5 Depth=1
	v_add_u32_e32 v12, v25, v1
	v_ashrrev_i32_e32 v13, 31, v12
	v_lshl_add_u64 v[12:13], v[12:13], 3, s[16:17]
	global_load_dwordx2 v[12:13], v[12:13], off
.LBB201_11:                             ;   in Loop: Header=BB201_5 Depth=1
	s_or_b64 exec, exec, s[2:3]
	v_cmp_gt_u32_e64 s[2:3], s26, v1
	v_mov_b32_e32 v14, 0
	v_mov_b32_e32 v15, 0
	s_and_saveexec_b64 s[4:5], s[2:3]
	s_cbranch_execz .LBB201_13
; %bb.12:                               ;   in Loop: Header=BB201_5 Depth=1
	v_add_u32_e32 v14, v42, v1
	v_ashrrev_i32_e32 v15, 31, v14
	v_lshl_add_u64 v[14:15], v[14:15], 3, s[12:13]
	global_load_dwordx2 v[14:15], v[14:15], off
.LBB201_13:                             ;   in Loop: Header=BB201_5 Depth=1
	s_or_b64 exec, exec, s[4:5]
	v_lshl_add_u64 v[18:19], v[16:17], 2, s[6:7]
	global_load_dword v17, v[18:19], off
	v_cmp_ne_u32_e32 vcc, s25, v1
	v_add_u32_e32 v2, s27, v16
	v_add_u32_e32 v16, s28, v16
	s_waitcnt vmcnt(1)
	v_xor_b32_e32 v20, 0x80000000, v5
	s_waitcnt vmcnt(0)
	v_cmp_ne_u32_e64 s[4:5], 1, v17
	s_and_b64 s[4:5], vcc, s[4:5]
	s_and_saveexec_b64 s[20:21], s[4:5]
	s_xor_b64 s[4:5], exec, s[20:21]
	s_cbranch_execz .LBB201_17
; %bb.14:                               ;   in Loop: Header=BB201_5 Depth=1
	v_mov_b32_e32 v17, v3
	v_lshl_add_u64 v[46:47], v[16:17], 3, s[8:9]
	v_add_u32_e32 v16, v25, v1
	v_lshl_add_u64 v[44:45], v[2:3], 3, s[8:9]
	v_add_u32_e32 v2, s27, v16
	global_load_dwordx2 v[28:29], v[44:45], off
	global_load_dwordx2 v[34:35], v[46:47], off
	v_lshl_add_u64 v[48:49], v[2:3], 3, s[8:9]
	v_add_u32_e32 v2, s28, v16
	v_lshl_add_u64 v[50:51], v[2:3], 3, s[8:9]
	global_load_dwordx2 v[36:37], v[48:49], off
	global_load_dwordx2 v[52:53], v[50:51], off
	v_xor_b32_e32 v16, 0x80000000, v7
	v_mov_b32_e32 v17, v6
	v_mov_b32_e32 v21, v4
	v_pk_mul_f32 v[26:27], v[10:11], v[16:17] op_sel:[1,0]
	v_pk_mul_f32 v[20:21], v[8:9], v[20:21] op_sel:[1,0]
	v_pk_fma_f32 v[26:27], v[6:7], v[10:11], v[26:27] op_sel_hi:[1,0,1]
	v_pk_fma_f32 v[20:21], v[4:5], v[8:9], v[20:21] op_sel_hi:[1,0,1]
	v_xor_b32_e32 v54, 0x80000000, v11
	v_pk_add_f32 v[20:21], v[26:27], v[20:21] neg_lo:[0,1] neg_hi:[0,1]
	v_xor_b32_e32 v56, 0x80000000, v9
	v_mul_f32_e32 v24, v21, v21
	v_fmac_f32_e32 v24, v20, v20
	v_div_scale_f32 v27, s[20:21], v24, v24, 1.0
	v_rcp_f32_e32 v30, v27
	v_fma_f32 v26, 0, v21, v20
	v_fma_f32 v21, v20, 0, -v21
	v_div_scale_f32 v20, vcc, 1.0, v24, 1.0
	v_fma_f32 v31, -v27, v30, 1.0
	v_fmac_f32_e32 v30, v31, v30
	v_mul_f32_e32 v31, v20, v30
	v_fma_f32 v32, -v27, v31, v20
	v_fmac_f32_e32 v31, v32, v30
	v_fma_f32 v20, -v27, v31, v20
	v_div_fmas_f32 v20, v20, v30, v31
	v_div_fixup_f32 v24, v20, v24, 1.0
	v_mul_f32_e32 v20, v26, v24
	v_mul_f32_e32 v24, v21, v24
	v_pk_add_f32 v[22:23], v[4:5], 0 neg_lo:[1,1] neg_hi:[1,1]
	v_mov_b32_e32 v55, v10
	v_mov_b32_e32 v57, v8
	v_pk_mov_b32 v[22:23], v[4:5], v[22:23] op_sel:[1,0]
	v_mov_b32_e32 v2, v3
	v_mov_b32_e32 v18, v6
	;; [unrolled: 1-line block ×3, first 2 shown]
	s_waitcnt vmcnt(3)
	v_mul_f32_e64 v26, v24, -v29
	v_mul_f32_e32 v30, v24, v28
	v_fmac_f32_e32 v26, v28, v20
	s_waitcnt vmcnt(2)
	v_mul_f32_e64 v28, v24, -v35
	v_mul_f32_e32 v32, v24, v34
	v_fmac_f32_e32 v28, v34, v20
	s_waitcnt vmcnt(1)
	v_mul_f32_e64 v34, v24, -v37
	v_mul_f32_e32 v38, v24, v36
	s_waitcnt vmcnt(0)
	v_mul_f32_e32 v40, v24, v52
	v_fmac_f32_e32 v30, v29, v20
	v_fmac_f32_e32 v32, v35, v20
	;; [unrolled: 1-line block ×4, first 2 shown]
	v_mul_f32_e64 v36, v24, -v53
	v_fmac_f32_e32 v40, v53, v20
	v_pk_mul_f32 v[58:59], v[30:31], v[54:55] op_sel_hi:[0,1]
	v_pk_mul_f32 v[54:55], v[32:33], v[54:55] op_sel_hi:[0,1]
	v_fmac_f32_e32 v36, v52, v20
	v_pk_mul_f32 v[52:53], v[38:39], v[56:57] op_sel_hi:[0,1]
	v_pk_mul_f32 v[56:57], v[40:41], v[56:57] op_sel_hi:[0,1]
	v_pk_mul_f32 v[60:61], v[22:23], v[30:31] op_sel_hi:[1,0]
	v_pk_fma_f32 v[58:59], v[10:11], v[26:27], v[58:59] op_sel_hi:[1,0,1]
	v_pk_mul_f32 v[62:63], v[22:23], v[32:33] op_sel_hi:[1,0]
	v_pk_fma_f32 v[10:11], v[10:11], v[28:29], v[54:55] op_sel_hi:[1,0,1]
	v_pk_mul_f32 v[54:55], v[38:39], v[16:17] op_sel_hi:[0,1]
	;; [unrolled: 2-line block ×3, first 2 shown]
	v_pk_fma_f32 v[8:9], v[8:9], v[36:37], v[56:57] op_sel_hi:[1,0,1]
	v_pk_fma_f32 v[60:61], v[4:5], v[26:27], v[60:61] op_sel_hi:[1,0,1] neg_lo:[1,0,0] neg_hi:[1,0,0]
	v_pk_fma_f32 v[62:63], v[4:5], v[28:29], v[62:63] op_sel_hi:[1,0,1] neg_lo:[1,0,0] neg_hi:[1,0,0]
	v_pk_fma_f32 v[54:55], v[6:7], v[34:35], v[54:55] op_sel_hi:[1,0,1]
	v_pk_add_f32 v[52:53], v[58:59], v[52:53] neg_lo:[0,1] neg_hi:[0,1]
	v_pk_fma_f32 v[56:57], v[6:7], v[36:37], v[64:65] op_sel_hi:[1,0,1]
	v_pk_add_f32 v[8:9], v[10:11], v[8:9] neg_lo:[0,1] neg_hi:[0,1]
	v_pk_add_f32 v[54:55], v[60:61], v[54:55]
	global_store_dwordx2 v[44:45], v[52:53], off
	v_pk_add_f32 v[10:11], v[62:63], v[56:57]
	global_store_dwordx2 v[46:47], v[8:9], off
	global_store_dwordx2 v[48:49], v[54:55], off
	global_store_dwordx2 v[50:51], v[10:11], off
	v_mov_b64_e32 v[8:9], v[2:3]
	s_and_saveexec_b64 s[20:21], s[2:3]
	s_cbranch_execz .LBB201_16
; %bb.15:                               ;   in Loop: Header=BB201_5 Depth=1
	v_add_u32_e32 v8, v42, v1
	v_add_u32_e32 v2, s27, v8
	v_ashrrev_i32_e32 v9, 31, v8
	v_lshl_add_u64 v[10:11], v[2:3], 3, s[8:9]
	v_add_u32_e32 v2, s28, v8
	v_lshl_add_u64 v[8:9], v[8:9], 3, s[14:15]
	v_lshl_add_u64 v[44:45], v[2:3], 3, s[8:9]
	global_load_dwordx2 v[46:47], v[10:11], off
	global_load_dwordx2 v[48:49], v[44:45], off
	v_mov_b32_e32 v2, v15
	global_load_dwordx2 v[8:9], v[8:9], off
	v_xor_b32_e32 v50, 0x80000000, v15
	v_mov_b32_e32 v51, v14
	v_pk_mul_f32 v[22:23], v[2:3], v[22:23] op_sel_hi:[0,1]
	v_pk_mul_f32 v[16:17], v[2:3], v[16:17] op_sel_hi:[0,1]
	v_pk_mul_f32 v[50:51], v[6:7], v[50:51] op_sel:[1,0]
	v_pk_fma_f32 v[4:5], v[4:5], v[14:15], v[22:23] op_sel_hi:[1,0,1] neg_lo:[1,0,0] neg_hi:[1,0,0]
	v_pk_fma_f32 v[6:7], v[6:7], v[14:15], v[16:17] op_sel_hi:[1,0,1]
	v_pk_fma_f32 v[14:15], v[14:15], v[18:19], v[50:51]
	v_mov_b32_e32 v52, v13
	v_pk_add_f32 v[16:17], v[4:5], 0 neg_lo:[1,1] neg_hi:[1,1]
	v_xor_b32_e32 v22, 0x80000000, v15
	v_mov_b32_e32 v23, v14
	v_mov_b32_e32 v31, v30
	;; [unrolled: 1-line block ×5, first 2 shown]
	v_xor_b32_e32 v18, 0x80000000, v7
	v_mov_b32_e32 v19, v6
	v_pk_mov_b32 v[16:17], v[4:5], v[16:17] op_sel:[1,0]
	v_pk_mul_f32 v[22:23], v[52:53], v[22:23] op_sel_hi:[0,1]
	v_mov_b32_e32 v27, v26
	v_mov_b32_e32 v35, v34
	;; [unrolled: 1-line block ×4, first 2 shown]
	v_pk_mul_f32 v[38:39], v[38:39], v[18:19]
	v_pk_mul_f32 v[18:19], v[40:41], v[18:19]
	;; [unrolled: 1-line block ×4, first 2 shown]
	v_pk_fma_f32 v[12:13], v[14:15], v[12:13], v[22:23] op_sel_hi:[1,0,1]
	v_pk_fma_f32 v[34:35], v[6:7], v[34:35], v[38:39]
	v_pk_fma_f32 v[6:7], v[6:7], v[36:37], v[18:19]
	v_pk_fma_f32 v[14:15], v[4:5], v[26:27], v[30:31] neg_lo:[1,0,0] neg_hi:[1,0,0]
	v_pk_fma_f32 v[4:5], v[4:5], v[28:29], v[16:17] neg_lo:[1,0,0] neg_hi:[1,0,0]
	v_xor_b32_e32 v16, 0x80000000, v13
	v_mov_b32_e32 v17, v12
	v_pk_add_f32 v[4:5], v[4:5], v[6:7] neg_lo:[0,1] neg_hi:[0,1]
	v_pk_mul_f32 v[6:7], v[24:25], v[16:17] op_sel_hi:[0,1]
	v_pk_add_f32 v[14:15], v[14:15], v[34:35] neg_lo:[0,1] neg_hi:[0,1]
	v_pk_fma_f32 v[6:7], v[12:13], v[20:21], v[6:7] op_sel_hi:[1,0,1]
	s_waitcnt vmcnt(2)
	v_pk_add_f32 v[12:13], v[14:15], v[46:47]
	s_waitcnt vmcnt(1)
	v_pk_add_f32 v[4:5], v[4:5], v[48:49]
	global_store_dwordx2 v[10:11], v[12:13], off
	s_waitcnt vmcnt(1)
	v_pk_add_f32 v[8:9], v[8:9], v[6:7] neg_lo:[0,1] neg_hi:[0,1]
	global_store_dwordx2 v[44:45], v[4:5], off
.LBB201_16:                             ;   in Loop: Header=BB201_5 Depth=1
	s_or_b64 exec, exec, s[20:21]
	v_mov_b64_e32 v[6:7], v[8:9]
                                        ; implicit-def: $vgpr8_vgpr9
                                        ; implicit-def: $vgpr4
                                        ; implicit-def: $vgpr10_vgpr11
                                        ; implicit-def: $vgpr16
                                        ; implicit-def: $vgpr20
.LBB201_17:                             ;   in Loop: Header=BB201_5 Depth=1
	s_or_saveexec_b64 s[2:3], s[4:5]
	v_mov_b32_e32 v12, s26
	s_xor_b64 exec, exec, s[2:3]
	s_cbranch_execz .LBB201_4
; %bb.18:                               ;   in Loop: Header=BB201_5 Depth=1
	v_lshl_add_u64 v[18:19], v[2:3], 3, s[8:9]
	v_mov_b32_e32 v17, v3
	global_load_dwordx2 v[14:15], v[18:19], off
	v_lshl_add_u64 v[22:23], v[16:17], 3, s[8:9]
	global_load_dwordx2 v[16:17], v[22:23], off
	v_mul_f32_e32 v2, v7, v7
	v_fmac_f32_e32 v2, v6, v6
	v_div_scale_f32 v13, s[4:5], v2, v2, 1.0
	v_rcp_f32_e32 v21, v13
	v_fma_f32 v12, 0, v7, v6
	v_fma_f32 v7, v6, 0, -v7
	v_div_scale_f32 v6, vcc, 1.0, v2, 1.0
	v_fma_f32 v24, -v13, v21, 1.0
	v_fmac_f32_e32 v21, v24, v21
	v_mul_f32_e32 v24, v6, v21
	v_fma_f32 v26, -v13, v24, v6
	v_fmac_f32_e32 v24, v26, v21
	v_fma_f32 v6, -v13, v24, v6
	v_div_fmas_f32 v6, v6, v21, v24
	v_div_fixup_f32 v2, v6, v2, 1.0
	v_mul_f32_e32 v6, v12, v2
	v_mul_f32_e32 v12, v7, v2
	s_waitcnt vmcnt(1)
	v_pk_mul_f32 v[26:27], v[12:13], v[14:15] op_sel:[0,1] op_sel_hi:[0,0] neg_lo:[0,1]
	v_pk_fma_f32 v[14:15], v[14:15], v[6:7], v[26:27] op_sel_hi:[1,0,1]
	s_waitcnt vmcnt(0)
	v_pk_mul_f32 v[26:27], v[12:13], v[16:17] op_sel:[0,1] op_sel_hi:[0,0] neg_lo:[0,1]
	v_pk_fma_f32 v[16:17], v[16:17], v[6:7], v[26:27] op_sel_hi:[1,0,1]
	global_store_dwordx2 v[18:19], v[14:15], off
	global_store_dwordx2 v[22:23], v[16:17], off
	s_and_saveexec_b64 s[4:5], s[0:1]
	s_cbranch_execz .LBB201_3
; %bb.19:                               ;   in Loop: Header=BB201_5 Depth=1
	v_add_u32_e32 v7, v25, v1
	v_add_u32_e32 v2, s27, v7
	v_lshl_add_u64 v[18:19], v[2:3], 3, s[8:9]
	v_add_u32_e32 v2, s28, v7
	global_load_dwordx2 v[22:23], v[18:19], off
	v_lshl_add_u64 v[26:27], v[2:3], 3, s[8:9]
	global_load_dwordx2 v[28:29], v[26:27], off
	v_xor_b32_e32 v30, 0x80000000, v4
	v_mov_b32_e32 v31, v20
	v_mov_b32_e32 v32, v5
	;; [unrolled: 1-line block ×3, first 2 shown]
	s_waitcnt vmcnt(1)
	v_pk_fma_f32 v[22:23], v[30:31], v[14:15], v[22:23] op_sel_hi:[1,0,1]
	s_nop 0
	v_pk_fma_f32 v[14:15], v[32:33], v[14:15], v[22:23] op_sel:[0,1,0]
	s_waitcnt vmcnt(0)
	v_pk_fma_f32 v[22:23], v[30:31], v[16:17], v[28:29] op_sel_hi:[1,0,1]
	global_store_dwordx2 v[18:19], v[14:15], off
	v_pk_fma_f32 v[14:15], v[32:33], v[16:17], v[22:23] op_sel:[0,1,0]
	global_store_dwordx2 v[26:27], v[14:15], off
	s_branch .LBB201_3
.LBB201_20:
	s_or_b64 exec, exec, s[18:19]
	s_branch .LBB201_22
.LBB201_21:
	v_mov_b32_e32 v1, 0
.LBB201_22:
	v_subrev_u32_e32 v1, s22, v1
	v_add_u32_e32 v2, v1, v0
	v_ashrrev_i32_e32 v3, 31, v2
	s_waitcnt lgkmcnt(0)
	v_lshl_add_u64 v[2:3], v[2:3], 2, s[6:7]
	buffer_wbl2 sc1
	s_waitcnt vmcnt(0)
	buffer_inv sc1
	global_load_dword v2, v[2:3], off
	s_waitcnt vmcnt(0)
	v_mul_lo_u32 v2, v2, s22
	v_sub_u32_e32 v1, v1, v2
	v_cmp_lt_i32_e32 vcc, -1, v1
	s_and_b64 exec, exec, vcc
	s_cbranch_execz .LBB201_29
; %bb.23:
	s_lshl_b32 s4, s24, 1
	s_add_i32 s5, s4, s23
	s_lshl_b32 s12, s22, 1
	s_mov_b64 s[0:1], 0
	v_mov_b32_e32 v3, 0
	s_branch .LBB201_25
.LBB201_24:                             ;   in Loop: Header=BB201_25 Depth=1
	s_or_b64 exec, exec, s[2:3]
	v_sub_u32_e32 v1, v1, v2
	v_cmp_gt_i32_e32 vcc, 0, v1
	s_or_b64 s[0:1], vcc, s[0:1]
	s_andn2_b64 exec, exec, s[0:1]
	s_cbranch_execz .LBB201_29
.LBB201_25:                             ; =>This Inner Loop Header: Depth=1
	v_add_u32_e32 v4, v1, v0
	v_ashrrev_i32_e32 v5, 31, v4
	s_waitcnt vmcnt(0)
	v_lshl_add_u64 v[6:7], v[4:5], 2, s[6:7]
	global_load_dword v2, v[6:7], off
	v_lshl_add_u64 v[6:7], v[4:5], 3, s[10:11]
	global_load_dwordx2 v[6:7], v[6:7], off
	s_waitcnt vmcnt(1)
	v_cmp_ne_u32_e32 vcc, 1, v2
	s_and_saveexec_b64 s[2:3], vcc
	s_xor_b64 s[2:3], exec, s[2:3]
	s_cbranch_execz .LBB201_27
; %bb.26:                               ;   in Loop: Header=BB201_25 Depth=1
	v_add_u32_e32 v5, v25, v1
	v_add_u32_e32 v2, s4, v5
	v_lshl_add_u64 v[8:9], v[2:3], 3, s[8:9]
	v_add_u32_e32 v2, s5, v5
	v_lshl_add_u64 v[10:11], v[2:3], 3, s[8:9]
	;; [unrolled: 2-line block ×3, first 2 shown]
	global_load_dwordx2 v[14:15], v[8:9], off
	global_load_dwordx2 v[16:17], v[12:13], off
	;; [unrolled: 1-line block ×3, first 2 shown]
	s_waitcnt vmcnt(3)
	v_pk_add_f32 v[8:9], v[6:7], 0 neg_lo:[1,1] neg_hi:[1,1]
	v_xor_b32_e32 v11, 0x80000000, v7
	v_mov_b32_e32 v10, v8
	v_pk_mov_b32 v[6:7], v[6:7], v[8:9] op_sel:[1,0]
	v_add_u32_e32 v2, s5, v4
	v_lshl_add_u64 v[4:5], v[2:3], 3, s[8:9]
	v_subrev_u32_e32 v2, s22, v1
	s_waitcnt vmcnt(1)
	v_pk_fma_f32 v[8:9], v[10:11], v[14:15], v[16:17] op_sel_hi:[1,0,1]
	s_nop 0
	v_pk_fma_f32 v[8:9], v[6:7], v[14:15], v[8:9] op_sel:[0,1,0]
	global_store_dwordx2 v[12:13], v[8:9], off
	global_load_dwordx2 v[8:9], v[4:5], off
	v_add_u32_e32 v12, v2, v0
	v_ashrrev_i32_e32 v13, 31, v12
	v_lshl_add_u64 v[16:17], v[12:13], 3, s[10:11]
	v_add_u32_e32 v2, s4, v12
	global_load_dwordx2 v[16:17], v[16:17], off
	v_lshl_add_u64 v[20:21], v[2:3], 3, s[8:9]
	v_add_u32_e32 v2, s5, v12
	s_waitcnt vmcnt(1)
	v_pk_fma_f32 v[8:9], v[10:11], v[18:19], v[8:9] op_sel_hi:[1,0,1]
	s_nop 0
	v_pk_fma_f32 v[6:7], v[6:7], v[18:19], v[8:9] op_sel:[0,1,0]
	global_store_dwordx2 v[4:5], v[6:7], off
	global_load_dwordx2 v[4:5], v[20:21], off
	v_lshl_add_u64 v[6:7], v[2:3], 3, s[8:9]
	s_waitcnt vmcnt(2)
	v_pk_add_f32 v[8:9], v[16:17], 0 neg_lo:[1,1] neg_hi:[1,1]
	s_waitcnt vmcnt(0)
	v_pk_fma_f32 v[4:5], v[16:17], v[14:15], v[4:5] op_sel_hi:[1,0,1] neg_lo:[1,0,0] neg_hi:[1,0,0]
	v_pk_mov_b32 v[8:9], v[16:17], v[8:9] op_sel:[1,0]
	s_nop 0
	v_pk_fma_f32 v[4:5], v[8:9], v[14:15], v[4:5] op_sel:[0,1,0]
	global_store_dwordx2 v[20:21], v[4:5], off
	global_load_dwordx2 v[4:5], v[6:7], off
	s_waitcnt vmcnt(0)
	v_pk_fma_f32 v[4:5], v[16:17], v[18:19], v[4:5] op_sel_hi:[1,0,1] neg_lo:[1,0,0] neg_hi:[1,0,0]
	s_nop 0
	v_pk_fma_f32 v[4:5], v[8:9], v[18:19], v[4:5] op_sel:[0,1,0]
	global_store_dwordx2 v[6:7], v[4:5], off
                                        ; implicit-def: $vgpr4
                                        ; implicit-def: $vgpr6_vgpr7
.LBB201_27:                             ;   in Loop: Header=BB201_25 Depth=1
	s_or_saveexec_b64 s[2:3], s[2:3]
	v_mov_b32_e32 v2, s12
	s_xor_b64 exec, exec, s[2:3]
	s_cbranch_execz .LBB201_24
; %bb.28:                               ;   in Loop: Header=BB201_25 Depth=1
	v_add_u32_e32 v5, v25, v1
	v_add_u32_e32 v2, s4, v5
	v_lshl_add_u64 v[8:9], v[2:3], 3, s[8:9]
	v_add_u32_e32 v2, s4, v4
	v_lshl_add_u64 v[10:11], v[2:3], 3, s[8:9]
	global_load_dwordx2 v[12:13], v[8:9], off
	global_load_dwordx2 v[14:15], v[10:11], off
	s_waitcnt vmcnt(2)
	v_pk_add_f32 v[8:9], v[6:7], 0 neg_lo:[1,1] neg_hi:[1,1]
	v_xor_b32_e32 v17, 0x80000000, v7
	v_mov_b32_e32 v16, v8
	v_pk_mov_b32 v[8:9], v[6:7], v[8:9] op_sel:[1,0]
	v_add_u32_e32 v2, s5, v5
	v_lshl_add_u64 v[18:19], v[2:3], 3, s[8:9]
	v_add_u32_e32 v2, s5, v4
	v_lshl_add_u64 v[4:5], v[2:3], 3, s[8:9]
	v_mov_b32_e32 v2, s22
	s_waitcnt vmcnt(0)
	v_pk_fma_f32 v[14:15], v[16:17], v[12:13], v[14:15] op_sel_hi:[1,0,1]
	s_nop 0
	v_pk_fma_f32 v[12:13], v[8:9], v[12:13], v[14:15] op_sel:[0,1,0]
	global_store_dwordx2 v[10:11], v[12:13], off
	global_load_dwordx2 v[10:11], v[18:19], off
	s_nop 0
	global_load_dwordx2 v[12:13], v[4:5], off
	s_waitcnt vmcnt(0)
	v_pk_fma_f32 v[6:7], v[6:7], v[10:11], v[12:13] op_sel_hi:[1,0,1] neg_lo:[1,0,0] neg_hi:[1,0,0]
	s_nop 0
	v_pk_fma_f32 v[6:7], v[8:9], v[10:11], v[6:7] op_sel:[0,1,0]
	global_store_dwordx2 v[4:5], v[6:7], off
	s_branch .LBB201_24
.LBB201_29:
	s_endpgm
	.section	.rodata,"a",@progbits
	.p2align	6, 0x0
	.amdhsa_kernel _ZN9rocsparseL19gtsv_LBM_rhs_kernelILj256ELj4ELj2E21rocsparse_complex_numIfEEEviiiPKT2_S5_S5_PS3_S5_PKi
		.amdhsa_group_segment_fixed_size 0
		.amdhsa_private_segment_fixed_size 0
		.amdhsa_kernarg_size 64
		.amdhsa_user_sgpr_count 2
		.amdhsa_user_sgpr_dispatch_ptr 0
		.amdhsa_user_sgpr_queue_ptr 0
		.amdhsa_user_sgpr_kernarg_segment_ptr 1
		.amdhsa_user_sgpr_dispatch_id 0
		.amdhsa_user_sgpr_kernarg_preload_length 0
		.amdhsa_user_sgpr_kernarg_preload_offset 0
		.amdhsa_user_sgpr_private_segment_size 0
		.amdhsa_uses_dynamic_stack 0
		.amdhsa_enable_private_segment 0
		.amdhsa_system_sgpr_workgroup_id_x 1
		.amdhsa_system_sgpr_workgroup_id_y 1
		.amdhsa_system_sgpr_workgroup_id_z 0
		.amdhsa_system_sgpr_workgroup_info 0
		.amdhsa_system_vgpr_workitem_id 0
		.amdhsa_next_free_vgpr 66
		.amdhsa_next_free_sgpr 29
		.amdhsa_accum_offset 68
		.amdhsa_reserve_vcc 1
		.amdhsa_float_round_mode_32 0
		.amdhsa_float_round_mode_16_64 0
		.amdhsa_float_denorm_mode_32 3
		.amdhsa_float_denorm_mode_16_64 3
		.amdhsa_dx10_clamp 1
		.amdhsa_ieee_mode 1
		.amdhsa_fp16_overflow 0
		.amdhsa_tg_split 0
		.amdhsa_exception_fp_ieee_invalid_op 0
		.amdhsa_exception_fp_denorm_src 0
		.amdhsa_exception_fp_ieee_div_zero 0
		.amdhsa_exception_fp_ieee_overflow 0
		.amdhsa_exception_fp_ieee_underflow 0
		.amdhsa_exception_fp_ieee_inexact 0
		.amdhsa_exception_int_div_zero 0
	.end_amdhsa_kernel
	.section	.text._ZN9rocsparseL19gtsv_LBM_rhs_kernelILj256ELj4ELj2E21rocsparse_complex_numIfEEEviiiPKT2_S5_S5_PS3_S5_PKi,"axG",@progbits,_ZN9rocsparseL19gtsv_LBM_rhs_kernelILj256ELj4ELj2E21rocsparse_complex_numIfEEEviiiPKT2_S5_S5_PS3_S5_PKi,comdat
.Lfunc_end201:
	.size	_ZN9rocsparseL19gtsv_LBM_rhs_kernelILj256ELj4ELj2E21rocsparse_complex_numIfEEEviiiPKT2_S5_S5_PS3_S5_PKi, .Lfunc_end201-_ZN9rocsparseL19gtsv_LBM_rhs_kernelILj256ELj4ELj2E21rocsparse_complex_numIfEEEviiiPKT2_S5_S5_PS3_S5_PKi
                                        ; -- End function
	.set _ZN9rocsparseL19gtsv_LBM_rhs_kernelILj256ELj4ELj2E21rocsparse_complex_numIfEEEviiiPKT2_S5_S5_PS3_S5_PKi.num_vgpr, 66
	.set _ZN9rocsparseL19gtsv_LBM_rhs_kernelILj256ELj4ELj2E21rocsparse_complex_numIfEEEviiiPKT2_S5_S5_PS3_S5_PKi.num_agpr, 0
	.set _ZN9rocsparseL19gtsv_LBM_rhs_kernelILj256ELj4ELj2E21rocsparse_complex_numIfEEEviiiPKT2_S5_S5_PS3_S5_PKi.numbered_sgpr, 29
	.set _ZN9rocsparseL19gtsv_LBM_rhs_kernelILj256ELj4ELj2E21rocsparse_complex_numIfEEEviiiPKT2_S5_S5_PS3_S5_PKi.num_named_barrier, 0
	.set _ZN9rocsparseL19gtsv_LBM_rhs_kernelILj256ELj4ELj2E21rocsparse_complex_numIfEEEviiiPKT2_S5_S5_PS3_S5_PKi.private_seg_size, 0
	.set _ZN9rocsparseL19gtsv_LBM_rhs_kernelILj256ELj4ELj2E21rocsparse_complex_numIfEEEviiiPKT2_S5_S5_PS3_S5_PKi.uses_vcc, 1
	.set _ZN9rocsparseL19gtsv_LBM_rhs_kernelILj256ELj4ELj2E21rocsparse_complex_numIfEEEviiiPKT2_S5_S5_PS3_S5_PKi.uses_flat_scratch, 0
	.set _ZN9rocsparseL19gtsv_LBM_rhs_kernelILj256ELj4ELj2E21rocsparse_complex_numIfEEEviiiPKT2_S5_S5_PS3_S5_PKi.has_dyn_sized_stack, 0
	.set _ZN9rocsparseL19gtsv_LBM_rhs_kernelILj256ELj4ELj2E21rocsparse_complex_numIfEEEviiiPKT2_S5_S5_PS3_S5_PKi.has_recursion, 0
	.set _ZN9rocsparseL19gtsv_LBM_rhs_kernelILj256ELj4ELj2E21rocsparse_complex_numIfEEEviiiPKT2_S5_S5_PS3_S5_PKi.has_indirect_call, 0
	.section	.AMDGPU.csdata,"",@progbits
; Kernel info:
; codeLenInByte = 2600
; TotalNumSgprs: 35
; NumVgprs: 66
; NumAgprs: 0
; TotalNumVgprs: 66
; ScratchSize: 0
; MemoryBound: 0
; FloatMode: 240
; IeeeMode: 1
; LDSByteSize: 0 bytes/workgroup (compile time only)
; SGPRBlocks: 4
; VGPRBlocks: 8
; NumSGPRsForWavesPerEU: 35
; NumVGPRsForWavesPerEU: 66
; AccumOffset: 68
; Occupancy: 7
; WaveLimiterHint : 0
; COMPUTE_PGM_RSRC2:SCRATCH_EN: 0
; COMPUTE_PGM_RSRC2:USER_SGPR: 2
; COMPUTE_PGM_RSRC2:TRAP_HANDLER: 0
; COMPUTE_PGM_RSRC2:TGID_X_EN: 1
; COMPUTE_PGM_RSRC2:TGID_Y_EN: 1
; COMPUTE_PGM_RSRC2:TGID_Z_EN: 0
; COMPUTE_PGM_RSRC2:TIDIG_COMP_CNT: 0
; COMPUTE_PGM_RSRC3_GFX90A:ACCUM_OFFSET: 16
; COMPUTE_PGM_RSRC3_GFX90A:TG_SPLIT: 0
	.section	.text._ZN9rocsparseL19gtsv_LBM_rhs_kernelILj256ELj4ELj1E21rocsparse_complex_numIfEEEviiiPKT2_S5_S5_PS3_S5_PKi,"axG",@progbits,_ZN9rocsparseL19gtsv_LBM_rhs_kernelILj256ELj4ELj1E21rocsparse_complex_numIfEEEviiiPKT2_S5_S5_PS3_S5_PKi,comdat
	.globl	_ZN9rocsparseL19gtsv_LBM_rhs_kernelILj256ELj4ELj1E21rocsparse_complex_numIfEEEviiiPKT2_S5_S5_PS3_S5_PKi ; -- Begin function _ZN9rocsparseL19gtsv_LBM_rhs_kernelILj256ELj4ELj1E21rocsparse_complex_numIfEEEviiiPKT2_S5_S5_PS3_S5_PKi
	.p2align	8
	.type	_ZN9rocsparseL19gtsv_LBM_rhs_kernelILj256ELj4ELj1E21rocsparse_complex_numIfEEEviiiPKT2_S5_S5_PS3_S5_PKi,@function
_ZN9rocsparseL19gtsv_LBM_rhs_kernelILj256ELj4ELj1E21rocsparse_complex_numIfEEEviiiPKT2_S5_S5_PS3_S5_PKi: ; @_ZN9rocsparseL19gtsv_LBM_rhs_kernelILj256ELj4ELj1E21rocsparse_complex_numIfEEEviiiPKT2_S5_S5_PS3_S5_PKi
; %bb.0:
	s_load_dword s24, s[0:1], 0x0
	v_lshl_or_b32 v0, s2, 8, v0
	s_waitcnt lgkmcnt(0)
	s_lshr_b32 s22, s24, 2
	v_cmp_gt_i32_e32 vcc, s22, v0
	s_and_saveexec_b64 s[4:5], vcc
	s_cbranch_execz .LBB202_29
; %bb.1:
	s_load_dwordx4 s[8:11], s[0:1], 0x28
	s_load_dwordx2 s[6:7], s[0:1], 0x38
	s_cmp_lt_i32 s24, 1
	s_mul_i32 s23, s24, s3
	s_cbranch_scc1 .LBB202_21
; %bb.2:
	s_load_dwordx4 s[12:15], s[0:1], 0x10
	s_load_dwordx2 s[16:17], s[0:1], 0x20
	v_ashrrev_i32_e32 v1, 31, v0
	v_add_u32_e32 v25, s22, v0
	s_mul_i32 s25, s22, 3
	s_waitcnt lgkmcnt(0)
	v_lshl_add_u64 v[2:3], v[0:1], 3, s[14:15]
	global_load_dwordx2 v[4:5], v[2:3], off
	s_lshl_b32 s26, s22, 1
	v_add_u32_e32 v34, s22, v25
	v_add_u32_e32 v35, s23, v25
	v_mov_b32_e32 v3, 0
	s_mov_b64 s[18:19], 0
	v_mov_b32_e32 v1, 0
	s_branch .LBB202_5
.LBB202_3:                              ;   in Loop: Header=BB202_5 Depth=1
	s_or_b64 exec, exec, s[4:5]
	v_mov_b32_e32 v17, v6
	v_pk_mul_f32 v[14:15], v[8:9], v[16:17] op_sel:[1,0]
	s_nop 0
	v_pk_fma_f32 v[6:7], v[6:7], v[8:9], v[14:15] op_sel_hi:[1,0,1]
	s_nop 0
	v_xor_b32_e32 v8, 0x80000000, v7
	v_mov_b32_e32 v9, v6
	v_pk_mul_f32 v[4:5], v[4:5], v[8:9] op_sel_hi:[0,1]
	v_pk_fma_f32 v[4:5], v[6:7], v[12:13], v[4:5] op_sel_hi:[1,0,1]
	v_mov_b32_e32 v12, s22
	v_pk_add_f32 v[4:5], v[10:11], v[4:5] neg_lo:[0,1] neg_hi:[0,1]
.LBB202_4:                              ;   in Loop: Header=BB202_5 Depth=1
	s_or_b64 exec, exec, s[2:3]
	v_add_u32_e32 v1, v12, v1
	v_cmp_le_i32_e32 vcc, s24, v1
	s_or_b64 s[18:19], vcc, s[18:19]
	s_andn2_b64 exec, exec, s[18:19]
	s_cbranch_execz .LBB202_20
.LBB202_5:                              ; =>This Inner Loop Header: Depth=1
	v_add_u32_e32 v16, v1, v0
	v_ashrrev_i32_e32 v17, 31, v16
	v_lshl_add_u64 v[6:7], v[16:17], 3, s[16:17]
	global_load_dwordx2 v[8:9], v[6:7], off
	v_cmp_gt_u32_e64 s[0:1], s25, v1
	v_add_u32_e32 v14, v25, v1
	v_mov_b32_e32 v6, 0
	v_mov_b32_e32 v7, 0
	s_and_saveexec_b64 s[2:3], s[0:1]
	s_cbranch_execz .LBB202_7
; %bb.6:                                ;   in Loop: Header=BB202_5 Depth=1
	v_ashrrev_i32_e32 v15, 31, v14
	v_lshl_add_u64 v[6:7], v[14:15], 3, s[12:13]
	global_load_dwordx2 v[6:7], v[6:7], off
.LBB202_7:                              ;   in Loop: Header=BB202_5 Depth=1
	s_or_b64 exec, exec, s[2:3]
	v_mov_b32_e32 v12, 0
	v_mov_b32_e32 v10, 0
	;; [unrolled: 1-line block ×3, first 2 shown]
	s_and_saveexec_b64 s[2:3], s[0:1]
	s_cbranch_execz .LBB202_9
; %bb.8:                                ;   in Loop: Header=BB202_5 Depth=1
	v_ashrrev_i32_e32 v15, 31, v14
	v_lshl_add_u64 v[10:11], v[14:15], 3, s[14:15]
	global_load_dwordx2 v[10:11], v[10:11], off
.LBB202_9:                              ;   in Loop: Header=BB202_5 Depth=1
	s_or_b64 exec, exec, s[2:3]
	v_mov_b32_e32 v13, 0
	s_and_saveexec_b64 s[2:3], s[0:1]
	s_cbranch_execz .LBB202_11
; %bb.10:                               ;   in Loop: Header=BB202_5 Depth=1
	v_ashrrev_i32_e32 v15, 31, v14
	v_lshl_add_u64 v[12:13], v[14:15], 3, s[16:17]
	global_load_dwordx2 v[12:13], v[12:13], off
.LBB202_11:                             ;   in Loop: Header=BB202_5 Depth=1
	s_or_b64 exec, exec, s[2:3]
	v_cmp_gt_u32_e64 s[2:3], s26, v1
	v_mov_b32_e32 v14, 0
	v_mov_b32_e32 v15, 0
	s_and_saveexec_b64 s[4:5], s[2:3]
	s_cbranch_execz .LBB202_13
; %bb.12:                               ;   in Loop: Header=BB202_5 Depth=1
	v_add_u32_e32 v14, v34, v1
	v_ashrrev_i32_e32 v15, 31, v14
	v_lshl_add_u64 v[14:15], v[14:15], 3, s[12:13]
	global_load_dwordx2 v[14:15], v[14:15], off
.LBB202_13:                             ;   in Loop: Header=BB202_5 Depth=1
	s_or_b64 exec, exec, s[4:5]
	v_lshl_add_u64 v[18:19], v[16:17], 2, s[6:7]
	global_load_dword v17, v[18:19], off
	v_cmp_ne_u32_e32 vcc, s25, v1
	v_add_u32_e32 v2, s23, v16
	s_waitcnt vmcnt(1)
	v_xor_b32_e32 v16, 0x80000000, v7
	s_waitcnt vmcnt(0)
	v_cmp_ne_u32_e64 s[4:5], 1, v17
	s_and_b64 s[4:5], vcc, s[4:5]
	s_and_saveexec_b64 s[20:21], s[4:5]
	s_xor_b64 s[4:5], exec, s[20:21]
	s_cbranch_execz .LBB202_17
; %bb.14:                               ;   in Loop: Header=BB202_5 Depth=1
	v_lshl_add_u64 v[36:37], v[2:3], 3, s[8:9]
	v_add_u32_e32 v2, v35, v1
	global_load_dwordx2 v[30:31], v[36:37], off
	v_lshl_add_u64 v[38:39], v[2:3], 3, s[8:9]
	global_load_dwordx2 v[40:41], v[38:39], off
	v_xor_b32_e32 v18, 0x80000000, v5
	v_mov_b32_e32 v19, v4
	v_mov_b32_e32 v17, v6
	v_pk_mul_f32 v[26:27], v[10:11], v[18:19] op_sel:[1,0]
	v_pk_mul_f32 v[16:17], v[8:9], v[16:17] op_sel:[1,0]
	v_pk_fma_f32 v[26:27], v[4:5], v[10:11], v[26:27] op_sel_hi:[1,0,1]
	v_pk_fma_f32 v[16:17], v[6:7], v[8:9], v[16:17] op_sel_hi:[1,0,1]
	v_xor_b32_e32 v42, 0x80000000, v11
	v_pk_add_f32 v[16:17], v[26:27], v[16:17] neg_lo:[0,1] neg_hi:[0,1]
	v_mov_b32_e32 v43, v10
	v_mul_f32_e32 v24, v17, v17
	v_fmac_f32_e32 v24, v16, v16
	v_div_scale_f32 v27, s[20:21], v24, v24, 1.0
	v_rcp_f32_e32 v28, v27
	v_fma_f32 v26, 0, v17, v16
	v_fma_f32 v17, v16, 0, -v17
	v_div_scale_f32 v16, vcc, 1.0, v24, 1.0
	v_fma_f32 v29, -v27, v28, 1.0
	v_fmac_f32_e32 v28, v29, v28
	v_mul_f32_e32 v29, v16, v28
	v_fma_f32 v32, -v27, v29, v16
	v_fmac_f32_e32 v29, v32, v28
	v_fma_f32 v16, -v27, v29, v16
	v_div_fmas_f32 v16, v16, v28, v29
	v_div_fixup_f32 v24, v16, v24, 1.0
	v_mul_f32_e32 v16, v26, v24
	v_mul_f32_e32 v24, v17, v24
	v_xor_b32_e32 v44, 0x80000000, v9
	v_pk_add_f32 v[22:23], v[6:7], 0 neg_lo:[1,1] neg_hi:[1,1]
	v_mov_b32_e32 v45, v8
	v_pk_mov_b32 v[22:23], v[6:7], v[22:23] op_sel:[1,0]
	v_mov_b32_e32 v2, v3
	v_mov_b32_e32 v20, v4
	;; [unrolled: 1-line block ×3, first 2 shown]
	s_waitcnt vmcnt(1)
	v_mul_f32_e64 v26, v24, -v31
	v_mul_f32_e32 v28, v24, v30
	v_fmac_f32_e32 v26, v30, v16
	v_fmac_f32_e32 v28, v31, v16
	s_waitcnt vmcnt(0)
	v_mul_f32_e64 v30, v24, -v41
	v_mul_f32_e32 v32, v24, v40
	v_fmac_f32_e32 v30, v40, v16
	v_fmac_f32_e32 v32, v41, v16
	v_pk_mul_f32 v[40:41], v[28:29], v[42:43] op_sel_hi:[0,1]
	v_pk_fma_f32 v[10:11], v[10:11], v[26:27], v[40:41] op_sel_hi:[1,0,1]
	v_pk_mul_f32 v[40:41], v[32:33], v[44:45] op_sel_hi:[0,1]
	v_pk_mul_f32 v[42:43], v[22:23], v[28:29] op_sel_hi:[1,0]
	;; [unrolled: 1-line block ×3, first 2 shown]
	v_pk_fma_f32 v[8:9], v[8:9], v[30:31], v[40:41] op_sel_hi:[1,0,1]
	v_pk_fma_f32 v[42:43], v[6:7], v[26:27], v[42:43] op_sel_hi:[1,0,1] neg_lo:[1,0,0] neg_hi:[1,0,0]
	v_pk_fma_f32 v[40:41], v[4:5], v[30:31], v[44:45] op_sel_hi:[1,0,1]
	v_pk_add_f32 v[8:9], v[10:11], v[8:9] neg_lo:[0,1] neg_hi:[0,1]
	v_pk_add_f32 v[10:11], v[42:43], v[40:41]
	global_store_dwordx2 v[36:37], v[8:9], off
	global_store_dwordx2 v[38:39], v[10:11], off
	v_mov_b64_e32 v[8:9], v[2:3]
	s_and_saveexec_b64 s[20:21], s[2:3]
	s_cbranch_execz .LBB202_16
; %bb.15:                               ;   in Loop: Header=BB202_5 Depth=1
	v_add_u32_e32 v8, v34, v1
	v_add_u32_e32 v2, s23, v8
	v_ashrrev_i32_e32 v9, 31, v8
	v_lshl_add_u64 v[10:11], v[2:3], 3, s[8:9]
	v_lshl_add_u64 v[8:9], v[8:9], 3, s[14:15]
	global_load_dwordx2 v[36:37], v[10:11], off
	v_mov_b32_e32 v2, v15
	global_load_dwordx2 v[8:9], v[8:9], off
	v_xor_b32_e32 v38, 0x80000000, v15
	v_mov_b32_e32 v39, v14
	v_pk_mul_f32 v[22:23], v[2:3], v[22:23] op_sel_hi:[0,1]
	v_pk_mul_f32 v[18:19], v[2:3], v[18:19] op_sel_hi:[0,1]
	v_pk_mul_f32 v[38:39], v[4:5], v[38:39] op_sel:[1,0]
	v_pk_fma_f32 v[6:7], v[6:7], v[14:15], v[22:23] op_sel_hi:[1,0,1] neg_lo:[1,0,0] neg_hi:[1,0,0]
	v_pk_fma_f32 v[4:5], v[4:5], v[14:15], v[18:19] op_sel_hi:[1,0,1]
	v_pk_fma_f32 v[14:15], v[14:15], v[20:21], v[38:39]
	v_mov_b32_e32 v40, v13
	v_pk_add_f32 v[18:19], v[6:7], 0 neg_lo:[1,1] neg_hi:[1,1]
	v_xor_b32_e32 v22, 0x80000000, v15
	v_mov_b32_e32 v23, v14
	v_mov_b32_e32 v29, v28
	;; [unrolled: 1-line block ×3, first 2 shown]
	v_xor_b32_e32 v20, 0x80000000, v5
	v_mov_b32_e32 v21, v4
	v_pk_mov_b32 v[18:19], v[6:7], v[18:19] op_sel:[1,0]
	v_pk_mul_f32 v[22:23], v[40:41], v[22:23] op_sel_hi:[0,1]
	v_mov_b32_e32 v27, v26
	v_mov_b32_e32 v31, v30
	v_pk_mul_f32 v[20:21], v[32:33], v[20:21]
	v_pk_mul_f32 v[18:19], v[18:19], v[28:29]
	v_pk_fma_f32 v[12:13], v[14:15], v[12:13], v[22:23] op_sel_hi:[1,0,1]
	v_pk_fma_f32 v[4:5], v[4:5], v[30:31], v[20:21]
	v_pk_fma_f32 v[6:7], v[6:7], v[26:27], v[18:19] neg_lo:[1,0,0] neg_hi:[1,0,0]
	v_xor_b32_e32 v14, 0x80000000, v13
	v_mov_b32_e32 v15, v12
	v_pk_add_f32 v[4:5], v[6:7], v[4:5] neg_lo:[0,1] neg_hi:[0,1]
	v_pk_mul_f32 v[6:7], v[24:25], v[14:15] op_sel_hi:[0,1]
	v_pk_fma_f32 v[6:7], v[12:13], v[16:17], v[6:7] op_sel_hi:[1,0,1]
	s_waitcnt vmcnt(1)
	v_pk_add_f32 v[4:5], v[4:5], v[36:37]
	global_store_dwordx2 v[10:11], v[4:5], off
	s_waitcnt vmcnt(1)
	v_pk_add_f32 v[8:9], v[8:9], v[6:7] neg_lo:[0,1] neg_hi:[0,1]
.LBB202_16:                             ;   in Loop: Header=BB202_5 Depth=1
	s_or_b64 exec, exec, s[20:21]
	v_mov_b64_e32 v[4:5], v[8:9]
                                        ; implicit-def: $vgpr16
                                        ; implicit-def: $vgpr6
                                        ; implicit-def: $vgpr8_vgpr9
                                        ; implicit-def: $vgpr10_vgpr11
.LBB202_17:                             ;   in Loop: Header=BB202_5 Depth=1
	s_or_saveexec_b64 s[2:3], s[4:5]
	v_mov_b32_e32 v12, s26
	s_xor_b64 exec, exec, s[2:3]
	s_cbranch_execz .LBB202_4
; %bb.18:                               ;   in Loop: Header=BB202_5 Depth=1
	v_lshl_add_u64 v[18:19], v[2:3], 3, s[8:9]
	global_load_dwordx2 v[14:15], v[18:19], off
	v_mul_f32_e32 v2, v5, v5
	v_fmac_f32_e32 v2, v4, v4
	v_div_scale_f32 v12, s[4:5], v2, v2, 1.0
	v_rcp_f32_e32 v13, v12
	s_nop 0
	v_fma_f32 v17, -v12, v13, 1.0
	v_fmac_f32_e32 v13, v17, v13
	v_div_scale_f32 v17, vcc, 1.0, v2, 1.0
	v_mul_f32_e32 v20, v17, v13
	v_fma_f32 v21, -v12, v20, v17
	v_fmac_f32_e32 v20, v21, v13
	v_fma_f32 v12, -v12, v20, v17
	v_div_fmas_f32 v12, v12, v13, v20
	v_div_fixup_f32 v2, v12, v2, 1.0
	v_fma_f32 v12, 0, v5, v4
	v_fma_f32 v4, v4, 0, -v5
	v_mul_f32_e32 v4, v4, v2
	v_mul_f32_e32 v12, v12, v2
	s_waitcnt vmcnt(0)
	v_pk_mul_f32 v[20:21], v[4:5], v[14:15] op_sel:[0,1] op_sel_hi:[0,0] neg_lo:[0,1]
	v_pk_fma_f32 v[14:15], v[14:15], v[12:13], v[20:21] op_sel_hi:[1,0,1]
	global_store_dwordx2 v[18:19], v[14:15], off
	s_and_saveexec_b64 s[4:5], s[0:1]
	s_cbranch_execz .LBB202_3
; %bb.19:                               ;   in Loop: Header=BB202_5 Depth=1
	v_add_u32_e32 v2, v35, v1
	v_lshl_add_u64 v[18:19], v[2:3], 3, s[8:9]
	global_load_dwordx2 v[20:21], v[18:19], off
	v_xor_b32_e32 v22, 0x80000000, v6
	v_mov_b32_e32 v23, v16
	v_mov_b32_e32 v26, v7
	;; [unrolled: 1-line block ×3, first 2 shown]
	s_waitcnt vmcnt(0)
	v_pk_fma_f32 v[20:21], v[22:23], v[14:15], v[20:21] op_sel_hi:[1,0,1]
	s_nop 0
	v_pk_fma_f32 v[14:15], v[26:27], v[14:15], v[20:21] op_sel:[0,1,0]
	global_store_dwordx2 v[18:19], v[14:15], off
	s_branch .LBB202_3
.LBB202_20:
	s_or_b64 exec, exec, s[18:19]
	s_branch .LBB202_22
.LBB202_21:
	v_mov_b32_e32 v1, 0
.LBB202_22:
	v_subrev_u32_e32 v1, s22, v1
	v_add_u32_e32 v2, v1, v0
	v_ashrrev_i32_e32 v3, 31, v2
	s_waitcnt lgkmcnt(0)
	v_lshl_add_u64 v[2:3], v[2:3], 2, s[6:7]
	buffer_wbl2 sc1
	s_waitcnt vmcnt(0)
	buffer_inv sc1
	global_load_dword v2, v[2:3], off
	s_waitcnt vmcnt(0)
	v_mul_lo_u32 v2, v2, s22
	v_sub_u32_e32 v1, v1, v2
	v_cmp_lt_i32_e32 vcc, -1, v1
	s_and_b64 exec, exec, vcc
	s_cbranch_execz .LBB202_29
; %bb.23:
	s_add_i32 s0, s23, s22
	v_add_u32_e32 v8, s0, v0
	s_lshl_b32 s4, s22, 1
	s_mov_b64 s[0:1], 0
	v_mov_b32_e32 v3, 0
	s_branch .LBB202_25
.LBB202_24:                             ;   in Loop: Header=BB202_25 Depth=1
	s_or_b64 exec, exec, s[2:3]
	v_sub_u32_e32 v1, v1, v2
	v_cmp_gt_i32_e32 vcc, 0, v1
	s_or_b64 s[0:1], vcc, s[0:1]
	s_andn2_b64 exec, exec, s[0:1]
	s_cbranch_execz .LBB202_29
.LBB202_25:                             ; =>This Inner Loop Header: Depth=1
	v_add_u32_e32 v6, v1, v0
	v_ashrrev_i32_e32 v7, 31, v6
	s_waitcnt vmcnt(0)
	v_lshl_add_u64 v[4:5], v[6:7], 2, s[6:7]
	global_load_dword v2, v[4:5], off
	v_lshl_add_u64 v[4:5], v[6:7], 3, s[10:11]
	global_load_dwordx2 v[4:5], v[4:5], off
	s_waitcnt vmcnt(1)
	v_cmp_ne_u32_e32 vcc, 1, v2
	s_and_saveexec_b64 s[2:3], vcc
	s_xor_b64 s[2:3], exec, s[2:3]
	s_cbranch_execz .LBB202_27
; %bb.26:                               ;   in Loop: Header=BB202_25 Depth=1
	v_add_u32_e32 v2, v8, v1
	v_lshl_add_u64 v[10:11], v[2:3], 3, s[8:9]
	v_add_u32_e32 v2, s23, v6
	v_lshl_add_u64 v[6:7], v[2:3], 3, s[8:9]
	global_load_dwordx2 v[12:13], v[10:11], off
	global_load_dwordx2 v[14:15], v[6:7], off
	v_subrev_u32_e32 v2, s22, v1
	s_waitcnt vmcnt(2)
	v_pk_add_f32 v[10:11], v[4:5], 0 neg_lo:[1,1] neg_hi:[1,1]
	v_add_u32_e32 v16, v2, v0
	v_pk_mov_b32 v[10:11], v[4:5], v[10:11] op_sel:[1,0]
	v_ashrrev_i32_e32 v17, 31, v16
	v_add_u32_e32 v2, s23, v16
	v_lshl_add_u64 v[16:17], v[16:17], 3, s[10:11]
	v_lshl_add_u64 v[18:19], v[2:3], 3, s[8:9]
	global_load_dwordx2 v[16:17], v[16:17], off
	s_waitcnt vmcnt(1)
	v_pk_fma_f32 v[4:5], v[4:5], v[12:13], v[14:15] op_sel_hi:[1,0,1] neg_lo:[1,0,0] neg_hi:[1,0,0]
	s_nop 0
	v_pk_fma_f32 v[4:5], v[10:11], v[12:13], v[4:5] op_sel:[0,1,0]
	global_store_dwordx2 v[6:7], v[4:5], off
	global_load_dwordx2 v[4:5], v[18:19], off
	s_waitcnt vmcnt(2)
	v_pk_add_f32 v[6:7], v[16:17], 0 neg_lo:[1,1] neg_hi:[1,1]
	s_nop 0
	v_pk_mov_b32 v[6:7], v[16:17], v[6:7] op_sel:[1,0]
	s_waitcnt vmcnt(0)
	v_pk_fma_f32 v[4:5], v[16:17], v[12:13], v[4:5] op_sel_hi:[1,0,1] neg_lo:[1,0,0] neg_hi:[1,0,0]
	s_nop 0
	v_pk_fma_f32 v[4:5], v[6:7], v[12:13], v[4:5] op_sel:[0,1,0]
	global_store_dwordx2 v[18:19], v[4:5], off
                                        ; implicit-def: $vgpr6
                                        ; implicit-def: $vgpr4_vgpr5
.LBB202_27:                             ;   in Loop: Header=BB202_25 Depth=1
	s_or_saveexec_b64 s[2:3], s[2:3]
	v_mov_b32_e32 v2, s4
	s_xor_b64 exec, exec, s[2:3]
	s_cbranch_execz .LBB202_24
; %bb.28:                               ;   in Loop: Header=BB202_25 Depth=1
	v_add_u32_e32 v2, v8, v1
	v_lshl_add_u64 v[10:11], v[2:3], 3, s[8:9]
	v_add_u32_e32 v2, s23, v6
	v_lshl_add_u64 v[6:7], v[2:3], 3, s[8:9]
	global_load_dwordx2 v[12:13], v[10:11], off
	global_load_dwordx2 v[14:15], v[6:7], off
	s_waitcnt vmcnt(2)
	v_pk_add_f32 v[10:11], v[4:5], 0 neg_lo:[1,1] neg_hi:[1,1]
	v_mov_b32_e32 v2, s22
	v_pk_mov_b32 v[10:11], v[4:5], v[10:11] op_sel:[1,0]
	s_waitcnt vmcnt(0)
	v_pk_fma_f32 v[4:5], v[4:5], v[12:13], v[14:15] op_sel_hi:[1,0,1] neg_lo:[1,0,0] neg_hi:[1,0,0]
	s_nop 0
	v_pk_fma_f32 v[4:5], v[10:11], v[12:13], v[4:5] op_sel:[0,1,0]
	global_store_dwordx2 v[6:7], v[4:5], off
	s_branch .LBB202_24
.LBB202_29:
	s_endpgm
	.section	.rodata,"a",@progbits
	.p2align	6, 0x0
	.amdhsa_kernel _ZN9rocsparseL19gtsv_LBM_rhs_kernelILj256ELj4ELj1E21rocsparse_complex_numIfEEEviiiPKT2_S5_S5_PS3_S5_PKi
		.amdhsa_group_segment_fixed_size 0
		.amdhsa_private_segment_fixed_size 0
		.amdhsa_kernarg_size 64
		.amdhsa_user_sgpr_count 2
		.amdhsa_user_sgpr_dispatch_ptr 0
		.amdhsa_user_sgpr_queue_ptr 0
		.amdhsa_user_sgpr_kernarg_segment_ptr 1
		.amdhsa_user_sgpr_dispatch_id 0
		.amdhsa_user_sgpr_kernarg_preload_length 0
		.amdhsa_user_sgpr_kernarg_preload_offset 0
		.amdhsa_user_sgpr_private_segment_size 0
		.amdhsa_uses_dynamic_stack 0
		.amdhsa_enable_private_segment 0
		.amdhsa_system_sgpr_workgroup_id_x 1
		.amdhsa_system_sgpr_workgroup_id_y 1
		.amdhsa_system_sgpr_workgroup_id_z 0
		.amdhsa_system_sgpr_workgroup_info 0
		.amdhsa_system_vgpr_workitem_id 0
		.amdhsa_next_free_vgpr 46
		.amdhsa_next_free_sgpr 27
		.amdhsa_accum_offset 48
		.amdhsa_reserve_vcc 1
		.amdhsa_float_round_mode_32 0
		.amdhsa_float_round_mode_16_64 0
		.amdhsa_float_denorm_mode_32 3
		.amdhsa_float_denorm_mode_16_64 3
		.amdhsa_dx10_clamp 1
		.amdhsa_ieee_mode 1
		.amdhsa_fp16_overflow 0
		.amdhsa_tg_split 0
		.amdhsa_exception_fp_ieee_invalid_op 0
		.amdhsa_exception_fp_denorm_src 0
		.amdhsa_exception_fp_ieee_div_zero 0
		.amdhsa_exception_fp_ieee_overflow 0
		.amdhsa_exception_fp_ieee_underflow 0
		.amdhsa_exception_fp_ieee_inexact 0
		.amdhsa_exception_int_div_zero 0
	.end_amdhsa_kernel
	.section	.text._ZN9rocsparseL19gtsv_LBM_rhs_kernelILj256ELj4ELj1E21rocsparse_complex_numIfEEEviiiPKT2_S5_S5_PS3_S5_PKi,"axG",@progbits,_ZN9rocsparseL19gtsv_LBM_rhs_kernelILj256ELj4ELj1E21rocsparse_complex_numIfEEEviiiPKT2_S5_S5_PS3_S5_PKi,comdat
.Lfunc_end202:
	.size	_ZN9rocsparseL19gtsv_LBM_rhs_kernelILj256ELj4ELj1E21rocsparse_complex_numIfEEEviiiPKT2_S5_S5_PS3_S5_PKi, .Lfunc_end202-_ZN9rocsparseL19gtsv_LBM_rhs_kernelILj256ELj4ELj1E21rocsparse_complex_numIfEEEviiiPKT2_S5_S5_PS3_S5_PKi
                                        ; -- End function
	.set _ZN9rocsparseL19gtsv_LBM_rhs_kernelILj256ELj4ELj1E21rocsparse_complex_numIfEEEviiiPKT2_S5_S5_PS3_S5_PKi.num_vgpr, 46
	.set _ZN9rocsparseL19gtsv_LBM_rhs_kernelILj256ELj4ELj1E21rocsparse_complex_numIfEEEviiiPKT2_S5_S5_PS3_S5_PKi.num_agpr, 0
	.set _ZN9rocsparseL19gtsv_LBM_rhs_kernelILj256ELj4ELj1E21rocsparse_complex_numIfEEEviiiPKT2_S5_S5_PS3_S5_PKi.numbered_sgpr, 27
	.set _ZN9rocsparseL19gtsv_LBM_rhs_kernelILj256ELj4ELj1E21rocsparse_complex_numIfEEEviiiPKT2_S5_S5_PS3_S5_PKi.num_named_barrier, 0
	.set _ZN9rocsparseL19gtsv_LBM_rhs_kernelILj256ELj4ELj1E21rocsparse_complex_numIfEEEviiiPKT2_S5_S5_PS3_S5_PKi.private_seg_size, 0
	.set _ZN9rocsparseL19gtsv_LBM_rhs_kernelILj256ELj4ELj1E21rocsparse_complex_numIfEEEviiiPKT2_S5_S5_PS3_S5_PKi.uses_vcc, 1
	.set _ZN9rocsparseL19gtsv_LBM_rhs_kernelILj256ELj4ELj1E21rocsparse_complex_numIfEEEviiiPKT2_S5_S5_PS3_S5_PKi.uses_flat_scratch, 0
	.set _ZN9rocsparseL19gtsv_LBM_rhs_kernelILj256ELj4ELj1E21rocsparse_complex_numIfEEEviiiPKT2_S5_S5_PS3_S5_PKi.has_dyn_sized_stack, 0
	.set _ZN9rocsparseL19gtsv_LBM_rhs_kernelILj256ELj4ELj1E21rocsparse_complex_numIfEEEviiiPKT2_S5_S5_PS3_S5_PKi.has_recursion, 0
	.set _ZN9rocsparseL19gtsv_LBM_rhs_kernelILj256ELj4ELj1E21rocsparse_complex_numIfEEEviiiPKT2_S5_S5_PS3_S5_PKi.has_indirect_call, 0
	.section	.AMDGPU.csdata,"",@progbits
; Kernel info:
; codeLenInByte = 1976
; TotalNumSgprs: 33
; NumVgprs: 46
; NumAgprs: 0
; TotalNumVgprs: 46
; ScratchSize: 0
; MemoryBound: 0
; FloatMode: 240
; IeeeMode: 1
; LDSByteSize: 0 bytes/workgroup (compile time only)
; SGPRBlocks: 4
; VGPRBlocks: 5
; NumSGPRsForWavesPerEU: 33
; NumVGPRsForWavesPerEU: 46
; AccumOffset: 48
; Occupancy: 8
; WaveLimiterHint : 0
; COMPUTE_PGM_RSRC2:SCRATCH_EN: 0
; COMPUTE_PGM_RSRC2:USER_SGPR: 2
; COMPUTE_PGM_RSRC2:TRAP_HANDLER: 0
; COMPUTE_PGM_RSRC2:TGID_X_EN: 1
; COMPUTE_PGM_RSRC2:TGID_Y_EN: 1
; COMPUTE_PGM_RSRC2:TGID_Z_EN: 0
; COMPUTE_PGM_RSRC2:TIDIG_COMP_CNT: 0
; COMPUTE_PGM_RSRC3_GFX90A:ACCUM_OFFSET: 11
; COMPUTE_PGM_RSRC3_GFX90A:TG_SPLIT: 0
	.section	.text._ZN9rocsparseL29gtsv_spike_block_level_kernelILj256ELj4E21rocsparse_complex_numIfEEEviiiPT1_PKS3_S6_S4_S4_S4_S4_S4_,"axG",@progbits,_ZN9rocsparseL29gtsv_spike_block_level_kernelILj256ELj4E21rocsparse_complex_numIfEEEviiiPT1_PKS3_S6_S4_S4_S4_S4_S4_,comdat
	.globl	_ZN9rocsparseL29gtsv_spike_block_level_kernelILj256ELj4E21rocsparse_complex_numIfEEEviiiPT1_PKS3_S6_S4_S4_S4_S4_S4_ ; -- Begin function _ZN9rocsparseL29gtsv_spike_block_level_kernelILj256ELj4E21rocsparse_complex_numIfEEEviiiPT1_PKS3_S6_S4_S4_S4_S4_S4_
	.p2align	8
	.type	_ZN9rocsparseL29gtsv_spike_block_level_kernelILj256ELj4E21rocsparse_complex_numIfEEEviiiPT1_PKS3_S6_S4_S4_S4_S4_S4_,@function
_ZN9rocsparseL29gtsv_spike_block_level_kernelILj256ELj4E21rocsparse_complex_numIfEEEviiiPT1_PKS3_S6_S4_S4_S4_S4_S4_: ; @_ZN9rocsparseL29gtsv_spike_block_level_kernelILj256ELj4E21rocsparse_complex_numIfEEEviiiPT1_PKS3_S6_S4_S4_S4_S4_S4_
; %bb.0:
	s_load_dword s14, s[0:1], 0x0
	s_load_dwordx2 s[8:9], s[0:1], 0x18
	v_lshl_or_b32 v2, s2, 8, v0
	v_mov_b32_e32 v4, 0
	v_mov_b32_e32 v8, 0
	s_waitcnt lgkmcnt(0)
	s_lshr_b32 s18, s14, 2
	v_cmp_gt_i32_e64 s[4:5], s18, v2
	v_mov_b32_e32 v9, 0
	s_and_saveexec_b64 s[6:7], s[4:5]
	s_cbranch_execz .LBB203_2
; %bb.1:
	v_ashrrev_i32_e32 v3, 31, v2
	v_lshl_add_u64 v[6:7], v[2:3], 3, s[8:9]
	global_load_dwordx2 v[8:9], v[6:7], off
.LBB203_2:
	s_or_b64 exec, exec, s[6:7]
	s_load_dwordx2 s[6:7], s[0:1], 0x20
	v_lshlrev_b32_e32 v1, 3, v0
	v_or_b32_e32 v6, 0x1000, v1
	v_mov_b32_e32 v5, 0
	s_waitcnt vmcnt(0)
	ds_write_b64 v1, v[8:9] offset:4096
	s_and_saveexec_b64 s[10:11], s[4:5]
	s_cbranch_execz .LBB203_4
; %bb.3:
	v_mad_u64_u32 v[4:5], s[12:13], s18, 3, v[2:3]
	v_mov_b32_e32 v5, 0
	v_lshl_add_u64 v[4:5], v[4:5], 3, s[8:9]
	global_load_dwordx2 v[4:5], v[4:5], off
.LBB203_4:
	s_or_b64 exec, exec, s[10:11]
	s_waitcnt vmcnt(0)
	ds_write_b64 v6, v[4:5] offset:2048
	v_mov_b32_e32 v4, 0
	v_mov_b32_e32 v8, 0
	;; [unrolled: 1-line block ×3, first 2 shown]
	s_and_saveexec_b64 s[8:9], s[4:5]
	s_cbranch_execz .LBB203_6
; %bb.5:
	v_ashrrev_i32_e32 v3, 31, v2
	s_waitcnt lgkmcnt(0)
	v_lshl_add_u64 v[8:9], v[2:3], 3, s[6:7]
	global_load_dwordx2 v[8:9], v[8:9], off
.LBB203_6:
	s_or_b64 exec, exec, s[8:9]
	s_load_dwordx2 s[12:13], s[0:1], 0x10
	v_mov_b32_e32 v5, 0
	s_waitcnt vmcnt(0)
	ds_write_b64 v1, v[8:9]
	s_and_saveexec_b64 s[8:9], s[4:5]
	s_cbranch_execz .LBB203_8
; %bb.7:
	v_mad_u64_u32 v[4:5], s[10:11], s18, 3, v[2:3]
	v_mov_b32_e32 v5, 0
	s_waitcnt lgkmcnt(0)
	v_lshl_add_u64 v[4:5], v[4:5], 3, s[6:7]
	global_load_dwordx2 v[4:5], v[4:5], off
.LBB203_8:
	s_or_b64 exec, exec, s[8:9]
	s_mul_i32 s14, s14, s3
	s_waitcnt vmcnt(0)
	ds_write_b64 v1, v[4:5] offset:2048
	v_mov_b32_e32 v8, 0
	v_add_u32_e32 v4, s14, v2
	v_mov_b32_e32 v10, 0
	v_mov_b32_e32 v11, 0
	s_waitcnt lgkmcnt(0)
	s_and_saveexec_b64 s[6:7], s[4:5]
	s_cbranch_execz .LBB203_10
; %bb.9:
	v_ashrrev_i32_e32 v5, 31, v4
	v_lshl_add_u64 v[10:11], v[4:5], 3, s[12:13]
	global_load_dwordx2 v[10:11], v[10:11], off
.LBB203_10:
	s_or_b64 exec, exec, s[6:7]
	v_or_b32_e32 v5, 0x2000, v1
	s_mul_i32 s19, s18, 3
	v_mov_b32_e32 v9, 0
	s_waitcnt vmcnt(0)
	ds_write_b64 v1, v[10:11] offset:8192
	s_and_saveexec_b64 s[6:7], s[4:5]
	s_cbranch_execz .LBB203_12
; %bb.11:
	s_mul_i32 s8, s18, 3
	s_add_i32 s8, s8, s14
	v_add_u32_e32 v8, s8, v2
	v_mov_b32_e32 v9, 0
	v_lshl_add_u64 v[8:9], v[8:9], 3, s[12:13]
	global_load_dwordx2 v[8:9], v[8:9], off
.LBB203_12:
	s_or_b64 exec, exec, s[6:7]
	s_movk_i32 s6, 0x80
	v_cmp_gt_u32_e32 vcc, s6, v0
	s_waitcnt vmcnt(0)
	ds_write_b64 v5, v[8:9] offset:2048
	s_waitcnt lgkmcnt(0)
	s_barrier
	s_and_saveexec_b64 s[6:7], vcc
	s_cbranch_execz .LBB203_14
; %bb.13:
	v_add_u32_e32 v3, v6, v1
	ds_read2_b64 v[8:11], v3 offset1:1
	v_add_u32_e32 v7, v1, v1
	ds_read_b128 v[12:15], v7 offset:2048
	ds_read_b64 v[36:37], v3 offset:2056
	s_mov_b64 s[8:9], 0x3f800000
	v_add_u32_e32 v47, v5, v1
	s_waitcnt lgkmcnt(2)
	v_xor_b32_e32 v20, 0x80000000, v11
	v_mov_b32_e32 v21, v10
	s_waitcnt lgkmcnt(1)
	v_pk_mul_f32 v[20:21], v[12:13], v[20:21] op_sel:[1,0]
	ds_read_b128 v[16:19], v7
	v_pk_fma_f32 v[12:13], v[10:11], v[12:13], v[20:21] op_sel_hi:[1,0,1]
	v_add_u32_e32 v28, 0x800, v47
	v_pk_add_f32 v[12:13], v[12:13], s[8:9] neg_lo:[1,0] neg_hi:[1,0]
	s_nop 0
	v_mul_f32_e32 v20, v13, v13
	v_fmac_f32_e32 v20, v12, v12
	v_div_scale_f32 v21, s[8:9], v20, v20, 1.0
	v_rcp_f32_e32 v22, v21
	v_fma_f32 v39, v12, 0, -v13
	v_fmac_f32_e32 v12, 0, v13
	v_add_u32_e32 v13, 0x800, v3
	v_fma_f32 v23, -v21, v22, 1.0
	v_fmac_f32_e32 v22, v23, v22
	v_div_scale_f32 v23, vcc, 1.0, v20, 1.0
	v_mul_f32_e32 v24, v23, v22
	v_fma_f32 v25, -v21, v24, v23
	v_fmac_f32_e32 v24, v25, v22
	v_fma_f32 v21, -v21, v24, v23
	v_div_fmas_f32 v21, v21, v22, v24
	v_div_fixup_f32 v38, v21, v20, 1.0
	ds_read_b128 v[20:23], v47
	ds_read2st64_b64 v[24:27], v7 offset1:4
	ds_read2_b64 v[28:31], v28 offset1:1
	s_waitcnt lgkmcnt(2)
	v_mov_b32_e32 v32, v23
	s_waitcnt lgkmcnt(1)
	v_pk_mul_f32 v[32:33], v[32:33], v[26:27] op_sel:[0,1] op_sel_hi:[0,0] neg_lo:[0,1]
	v_pk_fma_f32 v[32:33], v[26:27], v[22:23], v[32:33] op_sel_hi:[1,0,1]
	s_waitcnt lgkmcnt(0)
	v_pk_mul_f32 v[44:45], v[10:11], v[28:29] op_sel:[1,1] op_sel_hi:[1,0] neg_lo:[0,1]
	v_pk_add_f32 v[40:41], v[28:29], v[32:33] neg_lo:[0,1] neg_hi:[0,1]
	ds_read2_b64 v[32:35], v13 offset1:1
	v_pk_fma_f32 v[28:29], v[28:29], v[10:11], v[44:45] op_sel_hi:[1,0,1]
	v_mov_b32_e32 v13, v39
	v_xor_b32_e32 v42, 0x80000000, v41
	v_mov_b32_e32 v43, v40
	v_pk_add_f32 v[22:23], v[22:23], v[28:29] neg_lo:[0,1] neg_hi:[0,1]
	v_pk_mul_f32 v[38:39], v[12:13], v[38:39] op_sel_hi:[1,0]
	v_xor_b32_e32 v28, 0x80000000, v23
	v_mov_b32_e32 v29, v22
	v_mul_f32_e64 v46, v19, -v27
	v_mul_f32_e32 v48, v19, v26
	v_pk_mul_f32 v[12:13], v[38:39], v[42:43] op_sel:[1,0]
	v_fmac_f32_e32 v46, v26, v18
	v_fmac_f32_e32 v48, v27, v18
	v_pk_fma_f32 v[26:27], v[40:41], v[38:39], v[12:13] op_sel_hi:[1,0,1]
	v_pk_mul_f32 v[12:13], v[38:39], v[28:29] op_sel:[1,0]
	s_waitcnt lgkmcnt(0)
	v_xor_b32_e32 v44, 0x80000000, v35
	v_pk_fma_f32 v[22:23], v[22:23], v[38:39], v[12:13] op_sel_hi:[1,0,1]
	v_mov_b32_e32 v45, v34
	v_pk_mul_f32 v[12:13], v[22:23], v[16:17] op_sel:[1,1] op_sel_hi:[1,0] neg_lo:[0,1]
	s_nop 0
	v_pk_fma_f32 v[12:13], v[16:17], v[22:23], v[12:13] op_sel_hi:[1,0,1]
	v_pk_add_f32 v[16:17], v[38:39], 0 neg_lo:[1,1] neg_hi:[1,1]
	v_pk_add_f32 v[20:21], v[20:21], v[12:13] neg_lo:[0,1] neg_hi:[0,1]
	ds_write_b128 v47, v[20:23]
	v_pk_mov_b32 v[20:21], v[38:39], v[16:17] op_sel:[1,0]
	v_mov_b32_e32 v22, v19
	v_pk_mov_b32 v[16:17], v[16:17], v[38:39] op_sel:[1,0]
	v_pk_mul_f32 v[12:13], v[26:27], v[44:45] op_sel:[1,0]
	v_pk_mul_f32 v[16:17], v[22:23], v[16:17] op_sel_hi:[0,1]
	v_mul_f32_e32 v22, v11, v32
	v_pk_fma_f32 v[18:19], v[38:39], v[18:19], v[16:17] op_sel_hi:[1,0,1]
	v_mul_f32_e64 v16, v11, -v33
	v_fmac_f32_e32 v22, v33, v10
	v_pk_fma_f32 v[12:13], v[34:35], v[26:27], v[12:13] op_sel_hi:[1,0,1]
	v_fmac_f32_e32 v16, v32, v10
	v_pk_mul_f32 v[10:11], v[20:21], v[22:23] op_sel_hi:[1,0]
	v_pk_add_f32 v[28:29], v[30:31], v[12:13] neg_lo:[0,1] neg_hi:[0,1]
	v_pk_fma_f32 v[10:11], v[38:39], v[16:17], v[10:11] op_sel_hi:[1,0,1] neg_lo:[1,0,0] neg_hi:[1,0,0]
	ds_write_b128 v47, v[26:29] offset:2048
	v_xor_b32_e32 v26, 0x80000000, v39
	v_mov_b32_e32 v27, v38
	v_pk_mul_f32 v[22:23], v[10:11], v[24:25] op_sel:[1,1] op_sel_hi:[1,0] neg_lo:[0,1]
	v_pk_mul_f32 v[16:17], v[32:33], v[26:27] op_sel:[1,0]
	v_pk_fma_f32 v[22:23], v[24:25], v[10:11], v[22:23] op_sel_hi:[1,0,1]
	v_pk_mul_f32 v[12:13], v[20:21], v[48:49] op_sel_hi:[1,0]
	v_pk_fma_f32 v[20:21], v[38:39], v[32:33], v[16:17] op_sel_hi:[1,0,1]
	v_pk_add_f32 v[16:17], v[24:25], 0 neg_lo:[1,1] neg_hi:[1,1]
	v_pk_add_f32 v[8:9], v[8:9], v[22:23] neg_lo:[0,1] neg_hi:[0,1]
	ds_write_b128 v3, v[8:11]
	v_pk_mov_b32 v[8:9], v[24:25], v[16:17] op_sel:[1,0]
	v_pk_fma_f32 v[12:13], v[38:39], v[46:47], v[12:13] op_sel_hi:[1,0,1] neg_lo:[1,0,0] neg_hi:[1,0,0]
	v_pk_mul_f32 v[8:9], v[18:19], v[8:9] op_sel:[1,0]
	s_nop 0
	v_pk_fma_f32 v[16:17], v[24:25], v[18:19], v[8:9] op_sel_hi:[1,0,1] neg_lo:[1,0,0] neg_hi:[1,0,0]
	v_xor_b32_e32 v8, 0x80000000, v13
	v_mov_b32_e32 v9, v12
	v_pk_mul_f32 v[8:9], v[36:37], v[8:9] op_sel:[1,0]
	ds_write_b128 v7, v[16:19]
	v_pk_fma_f32 v[8:9], v[12:13], v[36:37], v[8:9] op_sel_hi:[1,0,1]
	s_nop 0
	v_pk_add_f32 v[14:15], v[14:15], v[8:9] neg_lo:[0,1] neg_hi:[0,1]
	v_pk_add_f32 v[8:9], v[36:37], 0 neg_lo:[1,1] neg_hi:[1,1]
	ds_write_b128 v7, v[12:15] offset:2048
	v_pk_mov_b32 v[8:9], v[36:37], v[8:9] op_sel:[1,0]
	s_nop 0
	v_pk_mul_f32 v[8:9], v[20:21], v[8:9] op_sel:[1,0]
	s_nop 0
	v_pk_fma_f32 v[22:23], v[36:37], v[20:21], v[8:9] op_sel_hi:[1,0,1] neg_lo:[1,0,0] neg_hi:[1,0,0]
	ds_write_b128 v3, v[20:23] offset:2048
.LBB203_14:
	s_or_b64 exec, exec, s[6:7]
	v_cmp_gt_u32_e32 vcc, 64, v0
	s_waitcnt lgkmcnt(0)
	s_barrier
	s_and_saveexec_b64 s[6:7], vcc
	s_cbranch_execz .LBB203_16
; %bb.15:
	v_lshlrev_b32_e32 v3, 5, v0
	v_add_u32_e32 v7, 0x1000, v3
	ds_read2_b64 v[8:11], v7 offset1:2
	v_add_u32_e32 v45, 0x800, v3
	ds_read2_b64 v[12:15], v45 offset0:1 offset1:3
	s_mov_b64 s[8:9], 0x3f800000
	v_add_u32_e32 v48, 0x1800, v3
	s_waitcnt lgkmcnt(1)
	v_xor_b32_e32 v16, 0x80000000, v11
	v_mov_b32_e32 v17, v10
	s_waitcnt lgkmcnt(0)
	v_pk_mul_f32 v[16:17], v[12:13], v[16:17] op_sel:[1,0]
	ds_read_b64 v[36:37], v3
	v_pk_fma_f32 v[16:17], v[10:11], v[12:13], v[16:17] op_sel_hi:[1,0,1]
	s_waitcnt lgkmcnt(0)
	v_xor_b32_e32 v40, 0x80000000, v37
	v_pk_add_f32 v[24:25], v[16:17], s[8:9] neg_lo:[1,0] neg_hi:[1,0]
	v_mov_b32_e32 v41, v36
	v_mul_f32_e32 v20, v25, v25
	v_fmac_f32_e32 v20, v24, v24
	v_div_scale_f32 v16, s[8:9], v20, v20, 1.0
	v_rcp_f32_e32 v21, v16
	v_fma_f32 v27, v24, 0, -v25
	v_fmac_f32_e32 v24, 0, v25
	v_mov_b32_e32 v25, v27
	v_fma_f32 v17, -v16, v21, 1.0
	v_fmac_f32_e32 v21, v17, v21
	v_div_scale_f32 v17, vcc, 1.0, v20, 1.0
	v_mul_f32_e32 v22, v17, v21
	v_fma_f32 v18, -v16, v22, v17
	v_fmac_f32_e32 v22, v18, v21
	v_fma_f32 v23, -v16, v22, v17
	v_add_u32_e32 v16, 0x2010, v3
	ds_read2_b64 v[16:19], v16 offset1:255
	v_div_fmas_f32 v21, v23, v21, v22
	v_div_fixup_f32 v26, v21, v20, 1.0
	v_pk_mul_f32 v[46:47], v[24:25], v[26:27] op_sel_hi:[1,0]
	s_waitcnt lgkmcnt(0)
	v_pk_mul_f32 v[20:21], v[16:17], v[12:13] op_sel:[1,1] op_sel_hi:[1,0] neg_lo:[0,1]
	s_nop 0
	v_pk_fma_f32 v[20:21], v[12:13], v[16:17], v[20:21] op_sel_hi:[1,0,1]
	s_nop 0
	v_pk_add_f32 v[28:29], v[18:19], v[20:21] neg_lo:[0,1] neg_hi:[0,1]
	v_pk_mul_f32 v[20:21], v[10:11], v[18:19] op_sel:[1,1] op_sel_hi:[1,0] neg_lo:[0,1]
	v_xor_b32_e32 v30, 0x80000000, v29
	v_pk_fma_f32 v[18:19], v[18:19], v[10:11], v[20:21] op_sel_hi:[1,0,1]
	v_mov_b32_e32 v31, v28
	v_pk_add_f32 v[32:33], v[16:17], v[18:19] neg_lo:[0,1] neg_hi:[0,1]
	ds_read2_b64 v[16:19], v48 offset0:1 offset1:3
	ds_read2_b64 v[20:23], v3 offset1:2
	ds_read_b64 v[38:39], v3 offset:10264
	v_pk_mul_f32 v[24:25], v[46:47], v[30:31] op_sel:[1,0]
	v_xor_b32_e32 v34, 0x80000000, v33
	v_mov_b32_e32 v35, v32
	s_waitcnt lgkmcnt(1)
	v_mul_f32_e64 v44, v23, -v13
	v_fmac_f32_e32 v44, v12, v22
	v_mul_f32_e32 v12, v23, v12
	v_fmac_f32_e32 v12, v13, v22
	v_add_u32_e32 v13, 0x1810, v3
	v_pk_fma_f32 v[28:29], v[28:29], v[46:47], v[24:25] op_sel_hi:[1,0,1]
	ds_read2_b64 v[24:27], v13 offset0:1 offset1:254
	v_pk_mul_f32 v[30:31], v[46:47], v[34:35] op_sel:[1,0]
	v_xor_b32_e32 v42, 0x80000000, v19
	v_pk_fma_f32 v[30:31], v[32:33], v[46:47], v[30:31] op_sel_hi:[1,0,1]
	v_mov_b32_e32 v43, v18
	v_pk_mul_f32 v[32:33], v[30:31], v[40:41] op_sel:[1,0]
	v_add_u32_e32 v13, 0x2000, v3
	v_pk_fma_f32 v[32:33], v[36:37], v[30:31], v[32:33] op_sel_hi:[1,0,1]
	s_waitcnt lgkmcnt(0)
	v_pk_add_f32 v[26:27], v[26:27], v[32:33] neg_lo:[0,1] neg_hi:[0,1]
	ds_write2_b64 v13, v[26:27], v[30:31] offset1:2
	v_pk_mul_f32 v[26:27], v[28:29], v[42:43] op_sel:[1,0]
	v_add_u32_e32 v13, 0x2800, v3
	v_pk_fma_f32 v[18:19], v[18:19], v[28:29], v[26:27] op_sel_hi:[1,0,1]
	s_nop 0
	v_pk_add_f32 v[18:19], v[38:39], v[18:19] neg_lo:[0,1] neg_hi:[0,1]
	ds_write2_b64 v13, v[28:29], v[18:19] offset0:1 offset1:3
	v_pk_add_f32 v[18:19], v[46:47], 0 neg_lo:[1,1] neg_hi:[1,1]
	v_mul_f32_e32 v28, v11, v16
	v_pk_mov_b32 v[26:27], v[46:47], v[18:19] op_sel:[1,0]
	v_pk_mov_b32 v[18:19], v[18:19], v[46:47] op_sel:[1,0]
	v_fmac_f32_e32 v28, v17, v10
	v_pk_mul_f32 v[18:19], v[22:23], v[18:19] op_sel:[1,0]
	v_pk_mul_f32 v[12:13], v[26:27], v[12:13] op_sel_hi:[1,0]
	v_pk_fma_f32 v[18:19], v[46:47], v[22:23], v[18:19] op_sel_hi:[1,0,1]
	v_mul_f32_e64 v22, v11, -v17
	v_fmac_f32_e32 v22, v16, v10
	v_pk_mul_f32 v[26:27], v[26:27], v[28:29] op_sel_hi:[1,0]
	v_xor_b32_e32 v10, 0x80000000, v47
	v_pk_fma_f32 v[22:23], v[46:47], v[22:23], v[26:27] op_sel_hi:[1,0,1] neg_lo:[1,0,0] neg_hi:[1,0,0]
	v_mov_b32_e32 v11, v46
	v_pk_mul_f32 v[26:27], v[22:23], v[20:21] op_sel:[1,1] op_sel_hi:[1,0] neg_lo:[0,1]
	v_pk_mul_f32 v[10:11], v[16:17], v[10:11] op_sel:[1,0]
	v_pk_fma_f32 v[26:27], v[20:21], v[22:23], v[26:27] op_sel_hi:[1,0,1]
	v_pk_fma_f32 v[10:11], v[46:47], v[16:17], v[10:11] op_sel_hi:[1,0,1]
	v_pk_add_f32 v[16:17], v[20:21], 0 neg_lo:[1,1] neg_hi:[1,1]
	v_pk_add_f32 v[8:9], v[8:9], v[26:27] neg_lo:[0,1] neg_hi:[0,1]
	ds_write2_b64 v7, v[8:9], v[22:23] offset1:2
	v_pk_mov_b32 v[8:9], v[20:21], v[16:17] op_sel:[1,0]
	v_pk_fma_f32 v[12:13], v[46:47], v[44:45], v[12:13] op_sel_hi:[1,0,1] neg_lo:[1,0,0] neg_hi:[1,0,0]
	v_pk_mul_f32 v[8:9], v[18:19], v[8:9] op_sel:[1,0]
	s_nop 0
	v_pk_fma_f32 v[8:9], v[20:21], v[18:19], v[8:9] op_sel_hi:[1,0,1] neg_lo:[1,0,0] neg_hi:[1,0,0]
	ds_write2_b64 v3, v[8:9], v[18:19] offset1:2
	v_xor_b32_e32 v8, 0x80000000, v13
	v_mov_b32_e32 v9, v12
	v_pk_mul_f32 v[8:9], v[24:25], v[8:9] op_sel:[1,0]
	s_nop 0
	v_pk_fma_f32 v[8:9], v[12:13], v[24:25], v[8:9] op_sel_hi:[1,0,1]
	s_nop 0
	v_pk_add_f32 v[8:9], v[14:15], v[8:9] neg_lo:[0,1] neg_hi:[0,1]
	ds_write2_b64 v45, v[12:13], v[8:9] offset0:1 offset1:3
	v_pk_add_f32 v[8:9], v[24:25], 0 neg_lo:[1,1] neg_hi:[1,1]
	s_nop 0
	v_pk_mov_b32 v[8:9], v[24:25], v[8:9] op_sel:[1,0]
	s_nop 0
	v_pk_mul_f32 v[8:9], v[10:11], v[8:9] op_sel:[1,0]
	s_nop 0
	v_pk_fma_f32 v[8:9], v[24:25], v[10:11], v[8:9] op_sel_hi:[1,0,1] neg_lo:[1,0,0] neg_hi:[1,0,0]
	ds_write2_b64 v48, v[10:11], v[8:9] offset0:1 offset1:3
.LBB203_16:
	s_or_b64 exec, exec, s[6:7]
	v_cmp_gt_u32_e32 vcc, 32, v0
	s_waitcnt lgkmcnt(0)
	s_barrier
	s_and_saveexec_b64 s[6:7], vcc
	s_cbranch_execz .LBB203_18
; %bb.17:
	v_lshlrev_b32_e32 v3, 6, v0
	v_add_u32_e32 v7, 0x1000, v3
	ds_read2_b64 v[8:11], v7 offset1:4
	v_add_u32_e32 v45, 0x800, v3
	ds_read2_b64 v[12:15], v45 offset0:3 offset1:7
	s_mov_b64 s[8:9], 0x3f800000
	v_add_u32_e32 v48, 0x1800, v3
	s_waitcnt lgkmcnt(1)
	v_xor_b32_e32 v16, 0x80000000, v11
	v_mov_b32_e32 v17, v10
	s_waitcnt lgkmcnt(0)
	v_pk_mul_f32 v[16:17], v[12:13], v[16:17] op_sel:[1,0]
	ds_read_b64 v[36:37], v3
	v_pk_fma_f32 v[16:17], v[10:11], v[12:13], v[16:17] op_sel_hi:[1,0,1]
	s_waitcnt lgkmcnt(0)
	v_xor_b32_e32 v40, 0x80000000, v37
	v_pk_add_f32 v[24:25], v[16:17], s[8:9] neg_lo:[1,0] neg_hi:[1,0]
	v_mov_b32_e32 v41, v36
	v_mul_f32_e32 v20, v25, v25
	v_fmac_f32_e32 v20, v24, v24
	v_div_scale_f32 v16, s[8:9], v20, v20, 1.0
	v_rcp_f32_e32 v21, v16
	v_fma_f32 v27, v24, 0, -v25
	v_fmac_f32_e32 v24, 0, v25
	v_mov_b32_e32 v25, v27
	v_fma_f32 v17, -v16, v21, 1.0
	v_fmac_f32_e32 v21, v17, v21
	v_div_scale_f32 v17, vcc, 1.0, v20, 1.0
	v_mul_f32_e32 v22, v17, v21
	v_fma_f32 v18, -v16, v22, v17
	v_fmac_f32_e32 v22, v18, v21
	v_fma_f32 v23, -v16, v22, v17
	v_add_u32_e32 v16, 0x2020, v3
	ds_read2_b64 v[16:19], v16 offset1:255
	v_div_fmas_f32 v21, v23, v21, v22
	v_div_fixup_f32 v26, v21, v20, 1.0
	v_pk_mul_f32 v[46:47], v[24:25], v[26:27] op_sel_hi:[1,0]
	s_waitcnt lgkmcnt(0)
	v_pk_mul_f32 v[20:21], v[16:17], v[12:13] op_sel:[1,1] op_sel_hi:[1,0] neg_lo:[0,1]
	s_nop 0
	v_pk_fma_f32 v[20:21], v[12:13], v[16:17], v[20:21] op_sel_hi:[1,0,1]
	s_nop 0
	v_pk_add_f32 v[28:29], v[18:19], v[20:21] neg_lo:[0,1] neg_hi:[0,1]
	v_pk_mul_f32 v[20:21], v[10:11], v[18:19] op_sel:[1,1] op_sel_hi:[1,0] neg_lo:[0,1]
	v_xor_b32_e32 v30, 0x80000000, v29
	v_pk_fma_f32 v[18:19], v[18:19], v[10:11], v[20:21] op_sel_hi:[1,0,1]
	v_mov_b32_e32 v31, v28
	v_pk_add_f32 v[32:33], v[16:17], v[18:19] neg_lo:[0,1] neg_hi:[0,1]
	ds_read2_b64 v[16:19], v48 offset0:3 offset1:7
	ds_read2_b64 v[20:23], v3 offset1:4
	ds_read_b64 v[38:39], v3 offset:10296
	v_pk_mul_f32 v[24:25], v[46:47], v[30:31] op_sel:[1,0]
	v_xor_b32_e32 v34, 0x80000000, v33
	v_mov_b32_e32 v35, v32
	s_waitcnt lgkmcnt(1)
	v_mul_f32_e64 v44, v23, -v13
	v_fmac_f32_e32 v44, v12, v22
	v_mul_f32_e32 v12, v23, v12
	v_fmac_f32_e32 v12, v13, v22
	v_add_u32_e32 v13, 0x1820, v3
	v_pk_fma_f32 v[28:29], v[28:29], v[46:47], v[24:25] op_sel_hi:[1,0,1]
	ds_read2_b64 v[24:27], v13 offset0:3 offset1:252
	v_pk_mul_f32 v[30:31], v[46:47], v[34:35] op_sel:[1,0]
	v_xor_b32_e32 v42, 0x80000000, v19
	v_pk_fma_f32 v[30:31], v[32:33], v[46:47], v[30:31] op_sel_hi:[1,0,1]
	v_mov_b32_e32 v43, v18
	v_pk_mul_f32 v[32:33], v[30:31], v[40:41] op_sel:[1,0]
	v_add_u32_e32 v13, 0x2000, v3
	v_pk_fma_f32 v[32:33], v[36:37], v[30:31], v[32:33] op_sel_hi:[1,0,1]
	s_waitcnt lgkmcnt(0)
	v_pk_add_f32 v[26:27], v[26:27], v[32:33] neg_lo:[0,1] neg_hi:[0,1]
	ds_write2_b64 v13, v[26:27], v[30:31] offset1:4
	v_pk_mul_f32 v[26:27], v[28:29], v[42:43] op_sel:[1,0]
	v_add_u32_e32 v13, 0x2800, v3
	v_pk_fma_f32 v[18:19], v[18:19], v[28:29], v[26:27] op_sel_hi:[1,0,1]
	s_nop 0
	v_pk_add_f32 v[18:19], v[38:39], v[18:19] neg_lo:[0,1] neg_hi:[0,1]
	ds_write2_b64 v13, v[28:29], v[18:19] offset0:3 offset1:7
	v_pk_add_f32 v[18:19], v[46:47], 0 neg_lo:[1,1] neg_hi:[1,1]
	v_mul_f32_e32 v28, v11, v16
	v_pk_mov_b32 v[26:27], v[46:47], v[18:19] op_sel:[1,0]
	v_pk_mov_b32 v[18:19], v[18:19], v[46:47] op_sel:[1,0]
	v_fmac_f32_e32 v28, v17, v10
	v_pk_mul_f32 v[18:19], v[22:23], v[18:19] op_sel:[1,0]
	v_pk_mul_f32 v[12:13], v[26:27], v[12:13] op_sel_hi:[1,0]
	v_pk_fma_f32 v[18:19], v[46:47], v[22:23], v[18:19] op_sel_hi:[1,0,1]
	v_mul_f32_e64 v22, v11, -v17
	v_fmac_f32_e32 v22, v16, v10
	v_pk_mul_f32 v[26:27], v[26:27], v[28:29] op_sel_hi:[1,0]
	v_xor_b32_e32 v10, 0x80000000, v47
	v_pk_fma_f32 v[22:23], v[46:47], v[22:23], v[26:27] op_sel_hi:[1,0,1] neg_lo:[1,0,0] neg_hi:[1,0,0]
	v_mov_b32_e32 v11, v46
	v_pk_mul_f32 v[26:27], v[22:23], v[20:21] op_sel:[1,1] op_sel_hi:[1,0] neg_lo:[0,1]
	v_pk_mul_f32 v[10:11], v[16:17], v[10:11] op_sel:[1,0]
	v_pk_fma_f32 v[26:27], v[20:21], v[22:23], v[26:27] op_sel_hi:[1,0,1]
	v_pk_fma_f32 v[10:11], v[46:47], v[16:17], v[10:11] op_sel_hi:[1,0,1]
	v_pk_add_f32 v[16:17], v[20:21], 0 neg_lo:[1,1] neg_hi:[1,1]
	v_pk_add_f32 v[8:9], v[8:9], v[26:27] neg_lo:[0,1] neg_hi:[0,1]
	ds_write2_b64 v7, v[8:9], v[22:23] offset1:4
	v_pk_mov_b32 v[8:9], v[20:21], v[16:17] op_sel:[1,0]
	v_pk_fma_f32 v[12:13], v[46:47], v[44:45], v[12:13] op_sel_hi:[1,0,1] neg_lo:[1,0,0] neg_hi:[1,0,0]
	v_pk_mul_f32 v[8:9], v[18:19], v[8:9] op_sel:[1,0]
	s_nop 0
	v_pk_fma_f32 v[8:9], v[20:21], v[18:19], v[8:9] op_sel_hi:[1,0,1] neg_lo:[1,0,0] neg_hi:[1,0,0]
	ds_write2_b64 v3, v[8:9], v[18:19] offset1:4
	v_xor_b32_e32 v8, 0x80000000, v13
	v_mov_b32_e32 v9, v12
	v_pk_mul_f32 v[8:9], v[24:25], v[8:9] op_sel:[1,0]
	s_nop 0
	v_pk_fma_f32 v[8:9], v[12:13], v[24:25], v[8:9] op_sel_hi:[1,0,1]
	s_nop 0
	v_pk_add_f32 v[8:9], v[14:15], v[8:9] neg_lo:[0,1] neg_hi:[0,1]
	ds_write2_b64 v45, v[12:13], v[8:9] offset0:3 offset1:7
	v_pk_add_f32 v[8:9], v[24:25], 0 neg_lo:[1,1] neg_hi:[1,1]
	s_nop 0
	v_pk_mov_b32 v[8:9], v[24:25], v[8:9] op_sel:[1,0]
	s_nop 0
	v_pk_mul_f32 v[8:9], v[10:11], v[8:9] op_sel:[1,0]
	s_nop 0
	v_pk_fma_f32 v[8:9], v[24:25], v[10:11], v[8:9] op_sel_hi:[1,0,1] neg_lo:[1,0,0] neg_hi:[1,0,0]
	ds_write2_b64 v48, v[10:11], v[8:9] offset0:3 offset1:7
.LBB203_18:
	s_or_b64 exec, exec, s[6:7]
	v_cmp_gt_u32_e32 vcc, 16, v0
	s_waitcnt lgkmcnt(0)
	s_barrier
	s_and_saveexec_b64 s[6:7], vcc
	s_cbranch_execz .LBB203_20
; %bb.19:
	v_lshlrev_b32_e32 v3, 7, v0
	v_add_u32_e32 v7, 0x1000, v3
	ds_read2_b64 v[8:11], v7 offset1:8
	v_add_u32_e32 v45, 0x800, v3
	ds_read2_b64 v[12:15], v45 offset0:7 offset1:15
	s_mov_b64 s[8:9], 0x3f800000
	v_add_u32_e32 v48, 0x1800, v3
	s_waitcnt lgkmcnt(1)
	v_xor_b32_e32 v16, 0x80000000, v11
	v_mov_b32_e32 v17, v10
	s_waitcnt lgkmcnt(0)
	v_pk_mul_f32 v[16:17], v[12:13], v[16:17] op_sel:[1,0]
	ds_read_b64 v[36:37], v3
	v_pk_fma_f32 v[16:17], v[10:11], v[12:13], v[16:17] op_sel_hi:[1,0,1]
	s_waitcnt lgkmcnt(0)
	v_xor_b32_e32 v40, 0x80000000, v37
	v_pk_add_f32 v[24:25], v[16:17], s[8:9] neg_lo:[1,0] neg_hi:[1,0]
	v_mov_b32_e32 v41, v36
	v_mul_f32_e32 v20, v25, v25
	v_fmac_f32_e32 v20, v24, v24
	v_div_scale_f32 v16, s[8:9], v20, v20, 1.0
	v_rcp_f32_e32 v21, v16
	v_fma_f32 v27, v24, 0, -v25
	v_fmac_f32_e32 v24, 0, v25
	v_mov_b32_e32 v25, v27
	v_fma_f32 v17, -v16, v21, 1.0
	v_fmac_f32_e32 v21, v17, v21
	v_div_scale_f32 v17, vcc, 1.0, v20, 1.0
	v_mul_f32_e32 v22, v17, v21
	v_fma_f32 v18, -v16, v22, v17
	v_fmac_f32_e32 v22, v18, v21
	v_fma_f32 v23, -v16, v22, v17
	v_add_u32_e32 v16, 0x2040, v3
	ds_read2_b64 v[16:19], v16 offset1:255
	v_div_fmas_f32 v21, v23, v21, v22
	v_div_fixup_f32 v26, v21, v20, 1.0
	v_pk_mul_f32 v[46:47], v[24:25], v[26:27] op_sel_hi:[1,0]
	s_waitcnt lgkmcnt(0)
	v_pk_mul_f32 v[20:21], v[16:17], v[12:13] op_sel:[1,1] op_sel_hi:[1,0] neg_lo:[0,1]
	s_nop 0
	v_pk_fma_f32 v[20:21], v[12:13], v[16:17], v[20:21] op_sel_hi:[1,0,1]
	s_nop 0
	v_pk_add_f32 v[28:29], v[18:19], v[20:21] neg_lo:[0,1] neg_hi:[0,1]
	v_pk_mul_f32 v[20:21], v[10:11], v[18:19] op_sel:[1,1] op_sel_hi:[1,0] neg_lo:[0,1]
	v_xor_b32_e32 v30, 0x80000000, v29
	v_pk_fma_f32 v[18:19], v[18:19], v[10:11], v[20:21] op_sel_hi:[1,0,1]
	v_mov_b32_e32 v31, v28
	v_pk_add_f32 v[32:33], v[16:17], v[18:19] neg_lo:[0,1] neg_hi:[0,1]
	ds_read2_b64 v[16:19], v48 offset0:7 offset1:15
	ds_read2_b64 v[20:23], v3 offset1:8
	ds_read_b64 v[38:39], v3 offset:10360
	v_pk_mul_f32 v[24:25], v[46:47], v[30:31] op_sel:[1,0]
	v_xor_b32_e32 v34, 0x80000000, v33
	v_mov_b32_e32 v35, v32
	s_waitcnt lgkmcnt(1)
	v_mul_f32_e64 v44, v23, -v13
	v_fmac_f32_e32 v44, v12, v22
	v_mul_f32_e32 v12, v23, v12
	v_fmac_f32_e32 v12, v13, v22
	v_add_u32_e32 v13, 0x1840, v3
	v_pk_fma_f32 v[28:29], v[28:29], v[46:47], v[24:25] op_sel_hi:[1,0,1]
	ds_read2_b64 v[24:27], v13 offset0:7 offset1:248
	v_pk_mul_f32 v[30:31], v[46:47], v[34:35] op_sel:[1,0]
	v_xor_b32_e32 v42, 0x80000000, v19
	v_pk_fma_f32 v[30:31], v[32:33], v[46:47], v[30:31] op_sel_hi:[1,0,1]
	v_mov_b32_e32 v43, v18
	v_pk_mul_f32 v[32:33], v[30:31], v[40:41] op_sel:[1,0]
	v_add_u32_e32 v13, 0x2000, v3
	v_pk_fma_f32 v[32:33], v[36:37], v[30:31], v[32:33] op_sel_hi:[1,0,1]
	s_waitcnt lgkmcnt(0)
	v_pk_add_f32 v[26:27], v[26:27], v[32:33] neg_lo:[0,1] neg_hi:[0,1]
	ds_write2_b64 v13, v[26:27], v[30:31] offset1:8
	v_pk_mul_f32 v[26:27], v[28:29], v[42:43] op_sel:[1,0]
	v_add_u32_e32 v13, 0x2800, v3
	v_pk_fma_f32 v[18:19], v[18:19], v[28:29], v[26:27] op_sel_hi:[1,0,1]
	s_nop 0
	v_pk_add_f32 v[18:19], v[38:39], v[18:19] neg_lo:[0,1] neg_hi:[0,1]
	ds_write2_b64 v13, v[28:29], v[18:19] offset0:7 offset1:15
	v_pk_add_f32 v[18:19], v[46:47], 0 neg_lo:[1,1] neg_hi:[1,1]
	v_mul_f32_e32 v28, v11, v16
	v_pk_mov_b32 v[26:27], v[46:47], v[18:19] op_sel:[1,0]
	v_pk_mov_b32 v[18:19], v[18:19], v[46:47] op_sel:[1,0]
	v_fmac_f32_e32 v28, v17, v10
	v_pk_mul_f32 v[18:19], v[22:23], v[18:19] op_sel:[1,0]
	v_pk_mul_f32 v[12:13], v[26:27], v[12:13] op_sel_hi:[1,0]
	v_pk_fma_f32 v[18:19], v[46:47], v[22:23], v[18:19] op_sel_hi:[1,0,1]
	v_mul_f32_e64 v22, v11, -v17
	v_fmac_f32_e32 v22, v16, v10
	v_pk_mul_f32 v[26:27], v[26:27], v[28:29] op_sel_hi:[1,0]
	v_xor_b32_e32 v10, 0x80000000, v47
	v_pk_fma_f32 v[22:23], v[46:47], v[22:23], v[26:27] op_sel_hi:[1,0,1] neg_lo:[1,0,0] neg_hi:[1,0,0]
	v_mov_b32_e32 v11, v46
	v_pk_mul_f32 v[26:27], v[22:23], v[20:21] op_sel:[1,1] op_sel_hi:[1,0] neg_lo:[0,1]
	v_pk_mul_f32 v[10:11], v[16:17], v[10:11] op_sel:[1,0]
	v_pk_fma_f32 v[26:27], v[20:21], v[22:23], v[26:27] op_sel_hi:[1,0,1]
	v_pk_fma_f32 v[10:11], v[46:47], v[16:17], v[10:11] op_sel_hi:[1,0,1]
	v_pk_add_f32 v[16:17], v[20:21], 0 neg_lo:[1,1] neg_hi:[1,1]
	v_pk_add_f32 v[8:9], v[8:9], v[26:27] neg_lo:[0,1] neg_hi:[0,1]
	ds_write2_b64 v7, v[8:9], v[22:23] offset1:8
	v_pk_mov_b32 v[8:9], v[20:21], v[16:17] op_sel:[1,0]
	v_pk_fma_f32 v[12:13], v[46:47], v[44:45], v[12:13] op_sel_hi:[1,0,1] neg_lo:[1,0,0] neg_hi:[1,0,0]
	v_pk_mul_f32 v[8:9], v[18:19], v[8:9] op_sel:[1,0]
	s_nop 0
	v_pk_fma_f32 v[8:9], v[20:21], v[18:19], v[8:9] op_sel_hi:[1,0,1] neg_lo:[1,0,0] neg_hi:[1,0,0]
	ds_write2_b64 v3, v[8:9], v[18:19] offset1:8
	v_xor_b32_e32 v8, 0x80000000, v13
	v_mov_b32_e32 v9, v12
	v_pk_mul_f32 v[8:9], v[24:25], v[8:9] op_sel:[1,0]
	s_nop 0
	v_pk_fma_f32 v[8:9], v[12:13], v[24:25], v[8:9] op_sel_hi:[1,0,1]
	s_nop 0
	v_pk_add_f32 v[8:9], v[14:15], v[8:9] neg_lo:[0,1] neg_hi:[0,1]
	ds_write2_b64 v45, v[12:13], v[8:9] offset0:7 offset1:15
	v_pk_add_f32 v[8:9], v[24:25], 0 neg_lo:[1,1] neg_hi:[1,1]
	s_nop 0
	v_pk_mov_b32 v[8:9], v[24:25], v[8:9] op_sel:[1,0]
	s_nop 0
	v_pk_mul_f32 v[8:9], v[10:11], v[8:9] op_sel:[1,0]
	s_nop 0
	v_pk_fma_f32 v[8:9], v[24:25], v[10:11], v[8:9] op_sel_hi:[1,0,1] neg_lo:[1,0,0] neg_hi:[1,0,0]
	ds_write2_b64 v48, v[10:11], v[8:9] offset0:7 offset1:15
.LBB203_20:
	s_or_b64 exec, exec, s[6:7]
	v_cmp_gt_u32_e32 vcc, 8, v0
	s_waitcnt lgkmcnt(0)
	s_barrier
	s_and_saveexec_b64 s[6:7], vcc
	s_cbranch_execz .LBB203_22
; %bb.21:
	v_lshlrev_b32_e32 v3, 8, v0
	v_add_u32_e32 v7, 0x1000, v3
	ds_read2_b64 v[8:11], v7 offset1:16
	v_add_u32_e32 v45, 0x800, v3
	ds_read2_b64 v[12:15], v45 offset0:15 offset1:31
	s_mov_b64 s[8:9], 0x3f800000
	v_add_u32_e32 v48, 0x1800, v3
	s_waitcnt lgkmcnt(1)
	v_xor_b32_e32 v16, 0x80000000, v11
	v_mov_b32_e32 v17, v10
	s_waitcnt lgkmcnt(0)
	v_pk_mul_f32 v[16:17], v[12:13], v[16:17] op_sel:[1,0]
	ds_read_b64 v[36:37], v3
	v_pk_fma_f32 v[16:17], v[10:11], v[12:13], v[16:17] op_sel_hi:[1,0,1]
	s_waitcnt lgkmcnt(0)
	v_xor_b32_e32 v40, 0x80000000, v37
	v_pk_add_f32 v[24:25], v[16:17], s[8:9] neg_lo:[1,0] neg_hi:[1,0]
	v_mov_b32_e32 v41, v36
	v_mul_f32_e32 v20, v25, v25
	v_fmac_f32_e32 v20, v24, v24
	v_div_scale_f32 v16, s[8:9], v20, v20, 1.0
	v_rcp_f32_e32 v21, v16
	v_fma_f32 v27, v24, 0, -v25
	v_fmac_f32_e32 v24, 0, v25
	v_mov_b32_e32 v25, v27
	v_fma_f32 v17, -v16, v21, 1.0
	v_fmac_f32_e32 v21, v17, v21
	v_div_scale_f32 v17, vcc, 1.0, v20, 1.0
	v_mul_f32_e32 v22, v17, v21
	v_fma_f32 v18, -v16, v22, v17
	v_fmac_f32_e32 v22, v18, v21
	v_fma_f32 v23, -v16, v22, v17
	v_add_u32_e32 v16, 0x2080, v3
	ds_read2_b64 v[16:19], v16 offset1:255
	v_div_fmas_f32 v21, v23, v21, v22
	v_div_fixup_f32 v26, v21, v20, 1.0
	v_pk_mul_f32 v[46:47], v[24:25], v[26:27] op_sel_hi:[1,0]
	s_waitcnt lgkmcnt(0)
	v_pk_mul_f32 v[20:21], v[16:17], v[12:13] op_sel:[1,1] op_sel_hi:[1,0] neg_lo:[0,1]
	s_nop 0
	v_pk_fma_f32 v[20:21], v[12:13], v[16:17], v[20:21] op_sel_hi:[1,0,1]
	s_nop 0
	v_pk_add_f32 v[28:29], v[18:19], v[20:21] neg_lo:[0,1] neg_hi:[0,1]
	v_pk_mul_f32 v[20:21], v[10:11], v[18:19] op_sel:[1,1] op_sel_hi:[1,0] neg_lo:[0,1]
	v_xor_b32_e32 v30, 0x80000000, v29
	v_pk_fma_f32 v[18:19], v[18:19], v[10:11], v[20:21] op_sel_hi:[1,0,1]
	v_mov_b32_e32 v31, v28
	v_pk_add_f32 v[32:33], v[16:17], v[18:19] neg_lo:[0,1] neg_hi:[0,1]
	ds_read2_b64 v[16:19], v48 offset0:15 offset1:31
	ds_read2_b64 v[20:23], v3 offset1:16
	ds_read_b64 v[38:39], v3 offset:10488
	v_pk_mul_f32 v[24:25], v[46:47], v[30:31] op_sel:[1,0]
	v_xor_b32_e32 v34, 0x80000000, v33
	v_mov_b32_e32 v35, v32
	s_waitcnt lgkmcnt(1)
	v_mul_f32_e64 v44, v23, -v13
	v_fmac_f32_e32 v44, v12, v22
	v_mul_f32_e32 v12, v23, v12
	v_fmac_f32_e32 v12, v13, v22
	v_add_u32_e32 v13, 0x1880, v3
	v_pk_fma_f32 v[28:29], v[28:29], v[46:47], v[24:25] op_sel_hi:[1,0,1]
	ds_read2_b64 v[24:27], v13 offset0:15 offset1:240
	v_pk_mul_f32 v[30:31], v[46:47], v[34:35] op_sel:[1,0]
	v_xor_b32_e32 v42, 0x80000000, v19
	v_pk_fma_f32 v[30:31], v[32:33], v[46:47], v[30:31] op_sel_hi:[1,0,1]
	v_mov_b32_e32 v43, v18
	v_pk_mul_f32 v[32:33], v[30:31], v[40:41] op_sel:[1,0]
	v_add_u32_e32 v13, 0x2000, v3
	v_pk_fma_f32 v[32:33], v[36:37], v[30:31], v[32:33] op_sel_hi:[1,0,1]
	s_waitcnt lgkmcnt(0)
	v_pk_add_f32 v[26:27], v[26:27], v[32:33] neg_lo:[0,1] neg_hi:[0,1]
	ds_write2_b64 v13, v[26:27], v[30:31] offset1:16
	v_pk_mul_f32 v[26:27], v[28:29], v[42:43] op_sel:[1,0]
	v_add_u32_e32 v13, 0x2800, v3
	v_pk_fma_f32 v[18:19], v[18:19], v[28:29], v[26:27] op_sel_hi:[1,0,1]
	s_nop 0
	v_pk_add_f32 v[18:19], v[38:39], v[18:19] neg_lo:[0,1] neg_hi:[0,1]
	ds_write2_b64 v13, v[28:29], v[18:19] offset0:15 offset1:31
	v_pk_add_f32 v[18:19], v[46:47], 0 neg_lo:[1,1] neg_hi:[1,1]
	v_mul_f32_e32 v28, v11, v16
	v_pk_mov_b32 v[26:27], v[46:47], v[18:19] op_sel:[1,0]
	v_pk_mov_b32 v[18:19], v[18:19], v[46:47] op_sel:[1,0]
	v_fmac_f32_e32 v28, v17, v10
	v_pk_mul_f32 v[18:19], v[22:23], v[18:19] op_sel:[1,0]
	v_pk_mul_f32 v[12:13], v[26:27], v[12:13] op_sel_hi:[1,0]
	v_pk_fma_f32 v[18:19], v[46:47], v[22:23], v[18:19] op_sel_hi:[1,0,1]
	v_mul_f32_e64 v22, v11, -v17
	v_fmac_f32_e32 v22, v16, v10
	v_pk_mul_f32 v[26:27], v[26:27], v[28:29] op_sel_hi:[1,0]
	v_xor_b32_e32 v10, 0x80000000, v47
	v_pk_fma_f32 v[22:23], v[46:47], v[22:23], v[26:27] op_sel_hi:[1,0,1] neg_lo:[1,0,0] neg_hi:[1,0,0]
	v_mov_b32_e32 v11, v46
	v_pk_mul_f32 v[26:27], v[22:23], v[20:21] op_sel:[1,1] op_sel_hi:[1,0] neg_lo:[0,1]
	v_pk_mul_f32 v[10:11], v[16:17], v[10:11] op_sel:[1,0]
	v_pk_fma_f32 v[26:27], v[20:21], v[22:23], v[26:27] op_sel_hi:[1,0,1]
	v_pk_fma_f32 v[10:11], v[46:47], v[16:17], v[10:11] op_sel_hi:[1,0,1]
	v_pk_add_f32 v[16:17], v[20:21], 0 neg_lo:[1,1] neg_hi:[1,1]
	v_pk_add_f32 v[8:9], v[8:9], v[26:27] neg_lo:[0,1] neg_hi:[0,1]
	ds_write2_b64 v7, v[8:9], v[22:23] offset1:16
	v_pk_mov_b32 v[8:9], v[20:21], v[16:17] op_sel:[1,0]
	v_pk_fma_f32 v[12:13], v[46:47], v[44:45], v[12:13] op_sel_hi:[1,0,1] neg_lo:[1,0,0] neg_hi:[1,0,0]
	v_pk_mul_f32 v[8:9], v[18:19], v[8:9] op_sel:[1,0]
	s_nop 0
	v_pk_fma_f32 v[8:9], v[20:21], v[18:19], v[8:9] op_sel_hi:[1,0,1] neg_lo:[1,0,0] neg_hi:[1,0,0]
	ds_write2_b64 v3, v[8:9], v[18:19] offset1:16
	v_xor_b32_e32 v8, 0x80000000, v13
	v_mov_b32_e32 v9, v12
	v_pk_mul_f32 v[8:9], v[24:25], v[8:9] op_sel:[1,0]
	s_nop 0
	v_pk_fma_f32 v[8:9], v[12:13], v[24:25], v[8:9] op_sel_hi:[1,0,1]
	s_nop 0
	v_pk_add_f32 v[8:9], v[14:15], v[8:9] neg_lo:[0,1] neg_hi:[0,1]
	ds_write2_b64 v45, v[12:13], v[8:9] offset0:15 offset1:31
	v_pk_add_f32 v[8:9], v[24:25], 0 neg_lo:[1,1] neg_hi:[1,1]
	s_nop 0
	v_pk_mov_b32 v[8:9], v[24:25], v[8:9] op_sel:[1,0]
	s_nop 0
	v_pk_mul_f32 v[8:9], v[10:11], v[8:9] op_sel:[1,0]
	s_nop 0
	v_pk_fma_f32 v[8:9], v[24:25], v[10:11], v[8:9] op_sel_hi:[1,0,1] neg_lo:[1,0,0] neg_hi:[1,0,0]
	ds_write2_b64 v48, v[10:11], v[8:9] offset0:15 offset1:31
.LBB203_22:
	s_or_b64 exec, exec, s[6:7]
	v_cmp_gt_u32_e32 vcc, 4, v0
	s_waitcnt lgkmcnt(0)
	s_barrier
	s_and_saveexec_b64 s[6:7], vcc
	s_cbranch_execz .LBB203_24
; %bb.23:
	v_lshlrev_b32_e32 v3, 9, v0
	v_add_u32_e32 v7, 0x1000, v3
	ds_read2_b64 v[8:11], v7 offset1:32
	v_add_u32_e32 v45, 0x800, v3
	ds_read2_b64 v[12:15], v45 offset0:31 offset1:63
	s_mov_b64 s[8:9], 0x3f800000
	v_add_u32_e32 v48, 0x1800, v3
	s_waitcnt lgkmcnt(1)
	v_xor_b32_e32 v16, 0x80000000, v11
	v_mov_b32_e32 v17, v10
	s_waitcnt lgkmcnt(0)
	v_pk_mul_f32 v[16:17], v[12:13], v[16:17] op_sel:[1,0]
	ds_read_b64 v[36:37], v3
	v_pk_fma_f32 v[16:17], v[10:11], v[12:13], v[16:17] op_sel_hi:[1,0,1]
	s_waitcnt lgkmcnt(0)
	v_xor_b32_e32 v40, 0x80000000, v37
	v_pk_add_f32 v[24:25], v[16:17], s[8:9] neg_lo:[1,0] neg_hi:[1,0]
	v_mov_b32_e32 v41, v36
	v_mul_f32_e32 v20, v25, v25
	v_fmac_f32_e32 v20, v24, v24
	v_div_scale_f32 v16, s[8:9], v20, v20, 1.0
	v_rcp_f32_e32 v21, v16
	v_fma_f32 v27, v24, 0, -v25
	v_fmac_f32_e32 v24, 0, v25
	v_mov_b32_e32 v25, v27
	v_fma_f32 v17, -v16, v21, 1.0
	v_fmac_f32_e32 v21, v17, v21
	v_div_scale_f32 v17, vcc, 1.0, v20, 1.0
	v_mul_f32_e32 v22, v17, v21
	v_fma_f32 v18, -v16, v22, v17
	v_fmac_f32_e32 v22, v18, v21
	v_fma_f32 v23, -v16, v22, v17
	v_add_u32_e32 v16, 0x2100, v3
	ds_read2_b64 v[16:19], v16 offset1:255
	v_div_fmas_f32 v21, v23, v21, v22
	v_div_fixup_f32 v26, v21, v20, 1.0
	v_pk_mul_f32 v[46:47], v[24:25], v[26:27] op_sel_hi:[1,0]
	s_waitcnt lgkmcnt(0)
	v_pk_mul_f32 v[20:21], v[16:17], v[12:13] op_sel:[1,1] op_sel_hi:[1,0] neg_lo:[0,1]
	s_nop 0
	v_pk_fma_f32 v[20:21], v[12:13], v[16:17], v[20:21] op_sel_hi:[1,0,1]
	s_nop 0
	v_pk_add_f32 v[28:29], v[18:19], v[20:21] neg_lo:[0,1] neg_hi:[0,1]
	v_pk_mul_f32 v[20:21], v[10:11], v[18:19] op_sel:[1,1] op_sel_hi:[1,0] neg_lo:[0,1]
	v_xor_b32_e32 v30, 0x80000000, v29
	v_pk_fma_f32 v[18:19], v[18:19], v[10:11], v[20:21] op_sel_hi:[1,0,1]
	v_mov_b32_e32 v31, v28
	v_pk_add_f32 v[32:33], v[16:17], v[18:19] neg_lo:[0,1] neg_hi:[0,1]
	ds_read2_b64 v[16:19], v48 offset0:31 offset1:63
	ds_read2_b64 v[20:23], v3 offset1:32
	ds_read_b64 v[38:39], v3 offset:10744
	v_pk_mul_f32 v[24:25], v[46:47], v[30:31] op_sel:[1,0]
	v_xor_b32_e32 v34, 0x80000000, v33
	v_mov_b32_e32 v35, v32
	s_waitcnt lgkmcnt(1)
	v_mul_f32_e64 v44, v23, -v13
	v_fmac_f32_e32 v44, v12, v22
	v_mul_f32_e32 v12, v23, v12
	v_fmac_f32_e32 v12, v13, v22
	v_add_u32_e32 v13, 0x1900, v3
	v_pk_fma_f32 v[28:29], v[28:29], v[46:47], v[24:25] op_sel_hi:[1,0,1]
	ds_read2_b64 v[24:27], v13 offset0:31 offset1:224
	v_pk_mul_f32 v[30:31], v[46:47], v[34:35] op_sel:[1,0]
	v_xor_b32_e32 v42, 0x80000000, v19
	v_pk_fma_f32 v[30:31], v[32:33], v[46:47], v[30:31] op_sel_hi:[1,0,1]
	v_mov_b32_e32 v43, v18
	v_pk_mul_f32 v[32:33], v[30:31], v[40:41] op_sel:[1,0]
	v_add_u32_e32 v13, 0x2000, v3
	v_pk_fma_f32 v[32:33], v[36:37], v[30:31], v[32:33] op_sel_hi:[1,0,1]
	s_waitcnt lgkmcnt(0)
	v_pk_add_f32 v[26:27], v[26:27], v[32:33] neg_lo:[0,1] neg_hi:[0,1]
	ds_write2_b64 v13, v[26:27], v[30:31] offset1:32
	v_pk_mul_f32 v[26:27], v[28:29], v[42:43] op_sel:[1,0]
	v_add_u32_e32 v13, 0x2800, v3
	v_pk_fma_f32 v[18:19], v[18:19], v[28:29], v[26:27] op_sel_hi:[1,0,1]
	s_nop 0
	v_pk_add_f32 v[18:19], v[38:39], v[18:19] neg_lo:[0,1] neg_hi:[0,1]
	ds_write2_b64 v13, v[28:29], v[18:19] offset0:31 offset1:63
	v_pk_add_f32 v[18:19], v[46:47], 0 neg_lo:[1,1] neg_hi:[1,1]
	v_mul_f32_e32 v28, v11, v16
	v_pk_mov_b32 v[26:27], v[46:47], v[18:19] op_sel:[1,0]
	v_pk_mov_b32 v[18:19], v[18:19], v[46:47] op_sel:[1,0]
	v_fmac_f32_e32 v28, v17, v10
	v_pk_mul_f32 v[18:19], v[22:23], v[18:19] op_sel:[1,0]
	v_pk_mul_f32 v[12:13], v[26:27], v[12:13] op_sel_hi:[1,0]
	v_pk_fma_f32 v[18:19], v[46:47], v[22:23], v[18:19] op_sel_hi:[1,0,1]
	v_mul_f32_e64 v22, v11, -v17
	v_fmac_f32_e32 v22, v16, v10
	v_pk_mul_f32 v[26:27], v[26:27], v[28:29] op_sel_hi:[1,0]
	v_xor_b32_e32 v10, 0x80000000, v47
	v_pk_fma_f32 v[22:23], v[46:47], v[22:23], v[26:27] op_sel_hi:[1,0,1] neg_lo:[1,0,0] neg_hi:[1,0,0]
	v_mov_b32_e32 v11, v46
	v_pk_mul_f32 v[26:27], v[22:23], v[20:21] op_sel:[1,1] op_sel_hi:[1,0] neg_lo:[0,1]
	v_pk_mul_f32 v[10:11], v[16:17], v[10:11] op_sel:[1,0]
	v_pk_fma_f32 v[26:27], v[20:21], v[22:23], v[26:27] op_sel_hi:[1,0,1]
	v_pk_fma_f32 v[10:11], v[46:47], v[16:17], v[10:11] op_sel_hi:[1,0,1]
	v_pk_add_f32 v[16:17], v[20:21], 0 neg_lo:[1,1] neg_hi:[1,1]
	v_pk_add_f32 v[8:9], v[8:9], v[26:27] neg_lo:[0,1] neg_hi:[0,1]
	ds_write2_b64 v7, v[8:9], v[22:23] offset1:32
	v_pk_mov_b32 v[8:9], v[20:21], v[16:17] op_sel:[1,0]
	v_pk_fma_f32 v[12:13], v[46:47], v[44:45], v[12:13] op_sel_hi:[1,0,1] neg_lo:[1,0,0] neg_hi:[1,0,0]
	v_pk_mul_f32 v[8:9], v[18:19], v[8:9] op_sel:[1,0]
	s_nop 0
	v_pk_fma_f32 v[8:9], v[20:21], v[18:19], v[8:9] op_sel_hi:[1,0,1] neg_lo:[1,0,0] neg_hi:[1,0,0]
	ds_write2_b64 v3, v[8:9], v[18:19] offset1:32
	v_xor_b32_e32 v8, 0x80000000, v13
	v_mov_b32_e32 v9, v12
	v_pk_mul_f32 v[8:9], v[24:25], v[8:9] op_sel:[1,0]
	s_nop 0
	v_pk_fma_f32 v[8:9], v[12:13], v[24:25], v[8:9] op_sel_hi:[1,0,1]
	s_nop 0
	v_pk_add_f32 v[8:9], v[14:15], v[8:9] neg_lo:[0,1] neg_hi:[0,1]
	ds_write2_b64 v45, v[12:13], v[8:9] offset0:31 offset1:63
	v_pk_add_f32 v[8:9], v[24:25], 0 neg_lo:[1,1] neg_hi:[1,1]
	s_nop 0
	v_pk_mov_b32 v[8:9], v[24:25], v[8:9] op_sel:[1,0]
	s_nop 0
	v_pk_mul_f32 v[8:9], v[10:11], v[8:9] op_sel:[1,0]
	s_nop 0
	v_pk_fma_f32 v[8:9], v[24:25], v[10:11], v[8:9] op_sel_hi:[1,0,1] neg_lo:[1,0,0] neg_hi:[1,0,0]
	ds_write2_b64 v48, v[10:11], v[8:9] offset0:31 offset1:63
.LBB203_24:
	s_or_b64 exec, exec, s[6:7]
	v_cmp_gt_u32_e32 vcc, 2, v0
	s_waitcnt lgkmcnt(0)
	s_barrier
	s_and_saveexec_b64 s[6:7], vcc
	s_cbranch_execz .LBB203_26
; %bb.25:
	v_lshlrev_b32_e32 v3, 10, v0
	ds_read2st64_b64 v[8:11], v3 offset0:8 offset1:9
	v_add_u32_e32 v7, 0x1f8, v3
	ds_read2st64_b64 v[12:15], v7 offset0:4 offset1:5
	ds_read_b64 v[28:29], v3 offset:11256
	s_mov_b64 s[8:9], 0x3f800000
	ds_read2st64_b64 v[16:19], v7 offset0:12 offset1:13
	s_waitcnt lgkmcnt(3)
	v_xor_b32_e32 v20, 0x80000000, v11
	v_mov_b32_e32 v21, v10
	s_waitcnt lgkmcnt(2)
	v_pk_mul_f32 v[20:21], v[12:13], v[20:21] op_sel:[1,0]
	s_waitcnt lgkmcnt(0)
	v_xor_b32_e32 v42, 0x80000000, v19
	v_pk_fma_f32 v[20:21], v[10:11], v[12:13], v[20:21] op_sel_hi:[1,0,1]
	v_mov_b32_e32 v43, v18
	v_pk_add_f32 v[24:25], v[20:21], s[8:9] neg_lo:[1,0] neg_hi:[1,0]
	s_nop 0
	v_mul_f32_e32 v26, v25, v25
	v_fmac_f32_e32 v26, v24, v24
	v_div_scale_f32 v20, s[8:9], v26, v26, 1.0
	v_rcp_f32_e32 v27, v20
	s_nop 0
	v_fma_f32 v21, -v20, v27, 1.0
	v_fmac_f32_e32 v27, v21, v27
	v_div_scale_f32 v21, vcc, 1.0, v26, 1.0
	v_mul_f32_e32 v30, v21, v27
	v_fma_f32 v22, -v20, v30, v21
	v_fmac_f32_e32 v30, v22, v27
	v_fma_f32 v31, -v20, v30, v21
	v_add_u32_e32 v20, 0x2200, v3
	ds_read2_b64 v[20:23], v20 offset1:255
	v_div_fmas_f32 v27, v31, v27, v30
	v_div_fixup_f32 v26, v27, v26, 1.0
	v_fma_f32 v27, v24, 0, -v25
	v_fmac_f32_e32 v24, 0, v25
	s_waitcnt lgkmcnt(0)
	v_pk_mul_f32 v[30:31], v[20:21], v[12:13] op_sel:[1,1] op_sel_hi:[1,0] neg_lo:[0,1]
	v_pk_mul_f32 v[34:35], v[10:11], v[22:23] op_sel:[1,1] op_sel_hi:[1,0] neg_lo:[0,1]
	v_pk_fma_f32 v[30:31], v[12:13], v[20:21], v[30:31] op_sel_hi:[1,0,1]
	v_mov_b32_e32 v25, v27
	v_pk_add_f32 v[30:31], v[22:23], v[30:31] neg_lo:[0,1] neg_hi:[0,1]
	v_pk_fma_f32 v[22:23], v[22:23], v[10:11], v[34:35] op_sel_hi:[1,0,1]
	ds_read_b64 v[34:35], v3
	v_pk_add_f32 v[36:37], v[20:21], v[22:23] neg_lo:[0,1] neg_hi:[0,1]
	ds_read2st64_b64 v[20:23], v3 offset1:1
	v_xor_b32_e32 v32, 0x80000000, v31
	v_mov_b32_e32 v33, v30
	v_pk_mul_f32 v[46:47], v[24:25], v[26:27] op_sel_hi:[1,0]
	v_xor_b32_e32 v38, 0x80000000, v37
	s_waitcnt lgkmcnt(0)
	v_mul_f32_e64 v44, v23, -v13
	v_fmac_f32_e32 v44, v12, v22
	v_mul_f32_e32 v12, v23, v12
	v_fmac_f32_e32 v12, v13, v22
	v_pk_mul_f32 v[24:25], v[46:47], v[32:33] op_sel:[1,0]
	v_add_u32_e32 v13, 0x1a00, v3
	v_mov_b32_e32 v39, v36
	v_pk_fma_f32 v[30:31], v[30:31], v[46:47], v[24:25] op_sel_hi:[1,0,1]
	ds_read2_b64 v[24:27], v13 offset0:63 offset1:192
	v_pk_mul_f32 v[32:33], v[46:47], v[38:39] op_sel:[1,0]
	v_xor_b32_e32 v40, 0x80000000, v35
	v_mov_b32_e32 v41, v34
	v_pk_fma_f32 v[32:33], v[36:37], v[46:47], v[32:33] op_sel_hi:[1,0,1]
	s_nop 0
	v_pk_mul_f32 v[36:37], v[32:33], v[40:41] op_sel:[1,0]
	s_nop 0
	v_pk_fma_f32 v[34:35], v[34:35], v[32:33], v[36:37] op_sel_hi:[1,0,1]
	s_waitcnt lgkmcnt(0)
	v_pk_add_f32 v[26:27], v[26:27], v[34:35] neg_lo:[0,1] neg_hi:[0,1]
	ds_write2st64_b64 v3, v[26:27], v[32:33] offset0:16 offset1:17
	v_pk_mul_f32 v[26:27], v[30:31], v[42:43] op_sel:[1,0]
	s_nop 0
	v_pk_fma_f32 v[18:19], v[18:19], v[30:31], v[26:27] op_sel_hi:[1,0,1]
	s_nop 0
	v_pk_add_f32 v[18:19], v[28:29], v[18:19] neg_lo:[0,1] neg_hi:[0,1]
	ds_write2st64_b64 v7, v[30:31], v[18:19] offset0:20 offset1:21
	v_pk_add_f32 v[18:19], v[46:47], 0 neg_lo:[1,1] neg_hi:[1,1]
	v_mul_f32_e32 v28, v11, v16
	v_pk_mov_b32 v[26:27], v[46:47], v[18:19] op_sel:[1,0]
	v_pk_mov_b32 v[18:19], v[18:19], v[46:47] op_sel:[1,0]
	v_fmac_f32_e32 v28, v17, v10
	v_pk_mul_f32 v[18:19], v[22:23], v[18:19] op_sel:[1,0]
	v_pk_mul_f32 v[12:13], v[26:27], v[12:13] op_sel_hi:[1,0]
	v_pk_fma_f32 v[18:19], v[46:47], v[22:23], v[18:19] op_sel_hi:[1,0,1]
	v_mul_f32_e64 v22, v11, -v17
	v_fmac_f32_e32 v22, v16, v10
	v_pk_mul_f32 v[26:27], v[26:27], v[28:29] op_sel_hi:[1,0]
	v_xor_b32_e32 v10, 0x80000000, v47
	v_pk_fma_f32 v[22:23], v[46:47], v[22:23], v[26:27] op_sel_hi:[1,0,1] neg_lo:[1,0,0] neg_hi:[1,0,0]
	v_mov_b32_e32 v11, v46
	v_pk_mul_f32 v[26:27], v[22:23], v[20:21] op_sel:[1,1] op_sel_hi:[1,0] neg_lo:[0,1]
	v_pk_mul_f32 v[10:11], v[16:17], v[10:11] op_sel:[1,0]
	v_pk_fma_f32 v[26:27], v[20:21], v[22:23], v[26:27] op_sel_hi:[1,0,1]
	v_pk_fma_f32 v[10:11], v[46:47], v[16:17], v[10:11] op_sel_hi:[1,0,1]
	v_pk_add_f32 v[16:17], v[20:21], 0 neg_lo:[1,1] neg_hi:[1,1]
	v_pk_add_f32 v[8:9], v[8:9], v[26:27] neg_lo:[0,1] neg_hi:[0,1]
	ds_write2st64_b64 v3, v[8:9], v[22:23] offset0:8 offset1:9
	v_pk_mov_b32 v[8:9], v[20:21], v[16:17] op_sel:[1,0]
	v_pk_fma_f32 v[12:13], v[46:47], v[44:45], v[12:13] op_sel_hi:[1,0,1] neg_lo:[1,0,0] neg_hi:[1,0,0]
	v_pk_mul_f32 v[8:9], v[18:19], v[8:9] op_sel:[1,0]
	s_nop 0
	v_pk_fma_f32 v[8:9], v[20:21], v[18:19], v[8:9] op_sel_hi:[1,0,1] neg_lo:[1,0,0] neg_hi:[1,0,0]
	ds_write2st64_b64 v3, v[8:9], v[18:19] offset1:1
	v_xor_b32_e32 v8, 0x80000000, v13
	v_mov_b32_e32 v9, v12
	v_pk_mul_f32 v[8:9], v[24:25], v[8:9] op_sel:[1,0]
	s_nop 0
	v_pk_fma_f32 v[8:9], v[12:13], v[24:25], v[8:9] op_sel_hi:[1,0,1]
	s_nop 0
	v_pk_add_f32 v[8:9], v[14:15], v[8:9] neg_lo:[0,1] neg_hi:[0,1]
	ds_write2st64_b64 v7, v[12:13], v[8:9] offset0:4 offset1:5
	v_pk_add_f32 v[8:9], v[24:25], 0 neg_lo:[1,1] neg_hi:[1,1]
	s_nop 0
	v_pk_mov_b32 v[8:9], v[24:25], v[8:9] op_sel:[1,0]
	s_nop 0
	v_pk_mul_f32 v[8:9], v[10:11], v[8:9] op_sel:[1,0]
	s_nop 0
	v_pk_fma_f32 v[8:9], v[24:25], v[10:11], v[8:9] op_sel_hi:[1,0,1] neg_lo:[1,0,0] neg_hi:[1,0,0]
	ds_write2st64_b64 v7, v[10:11], v[8:9] offset0:12 offset1:13
.LBB203_26:
	s_or_b64 exec, exec, s[6:7]
	s_mov_b32 s11, 0
	v_cmp_eq_u32_e64 s[6:7], 0, v0
	s_waitcnt lgkmcnt(0)
	s_barrier
	s_and_saveexec_b64 s[8:9], s[6:7]
	s_cbranch_execz .LBB203_28
; %bb.27:
	v_mov_b32_e32 v3, 0
	s_movk_i32 s10, 0x1f8
	ds_read2st64_b64 v[8:11], v3 offset0:8 offset1:10
	v_add_u32_e64 v7, s10, 0
	ds_read2st64_b64 v[12:15], v7 offset0:5 offset1:7
	s_mov_b32 s10, 1.0
	s_waitcnt lgkmcnt(1)
	v_xor_b32_e32 v16, 0x80000000, v11
	v_mov_b32_e32 v17, v10
	s_waitcnt lgkmcnt(0)
	v_pk_mul_f32 v[16:17], v[12:13], v[16:17] op_sel:[1,0]
	s_nop 0
	v_pk_fma_f32 v[16:17], v[10:11], v[12:13], v[16:17] op_sel_hi:[1,0,1]
	s_nop 0
	v_pk_add_f32 v[26:27], v[16:17], s[10:11] neg_lo:[1,0] neg_hi:[1,0]
	s_nop 0
	v_mul_f32_e32 v0, v27, v27
	v_fmac_f32_e32 v0, v26, v26
	v_div_scale_f32 v16, s[10:11], v0, v0, 1.0
	v_rcp_f32_e32 v20, v16
	s_movk_i32 s10, 0x2400
	v_add_u32_e64 v39, s10, 0
	v_fma_f32 v40, v26, 0, -v27
	v_fma_f32 v17, -v16, v20, 1.0
	v_fmac_f32_e32 v20, v17, v20
	v_div_scale_f32 v17, vcc, 1.0, v0, 1.0
	v_mul_f32_e32 v21, v17, v20
	v_fma_f32 v18, -v16, v21, v17
	v_fmac_f32_e32 v21, v18, v20
	v_fma_f32 v22, -v16, v21, v17
	ds_read2_b64 v[16:19], v39 offset1:255
	v_div_fmas_f32 v20, v22, v20, v21
	v_div_fixup_f32 v0, v20, v0, 1.0
	v_fmac_f32_e32 v26, 0, v27
	v_mov_b32_e32 v27, v40
	s_waitcnt lgkmcnt(0)
	v_pk_mul_f32 v[20:21], v[16:17], v[12:13] op_sel:[1,1] op_sel_hi:[1,0] neg_lo:[0,1]
	v_pk_mul_f32 v[40:41], v[26:27], v[0:1] op_sel_hi:[1,0]
	v_pk_fma_f32 v[20:21], v[12:13], v[16:17], v[20:21] op_sel_hi:[1,0,1]
	s_movk_i32 s10, 0x1400
	v_pk_add_f32 v[28:29], v[18:19], v[20:21] neg_lo:[0,1] neg_hi:[0,1]
	v_pk_mul_f32 v[20:21], v[10:11], v[18:19] op_sel:[1,1] op_sel_hi:[1,0] neg_lo:[0,1]
	v_xor_b32_e32 v30, 0x80000000, v29
	v_pk_fma_f32 v[22:23], v[18:19], v[10:11], v[20:21] op_sel_hi:[1,0,1]
	ds_read2st64_b64 v[18:21], v3 offset1:2
	v_mov_b32_e32 v31, v28
	v_pk_add_f32 v[16:17], v[16:17], v[22:23] neg_lo:[0,1] neg_hi:[0,1]
	v_pk_mul_f32 v[26:27], v[40:41], v[30:31] op_sel:[1,0]
	v_xor_b32_e32 v32, 0x80000000, v17
	v_mov_b32_e32 v33, v16
	ds_read2st64_b64 v[22:25], v7 offset0:13 offset1:15
	v_pk_fma_f32 v[30:31], v[28:29], v[40:41], v[26:27] op_sel_hi:[1,0,1]
	v_pk_mul_f32 v[26:27], v[40:41], v[32:33] op_sel:[1,0]
	v_mov_b32_e32 v7, 0x1ff8
	v_pk_fma_f32 v[16:17], v[16:17], v[40:41], v[26:27] op_sel_hi:[1,0,1]
	ds_read2_b64 v[26:29], v7 offset1:1
	s_waitcnt lgkmcnt(2)
	v_xor_b32_e32 v34, 0x80000000, v19
	v_mov_b32_e32 v35, v18
	v_pk_mul_f32 v[32:33], v[16:17], v[34:35] op_sel:[1,0]
	ds_read_b64 v[34:35], v3 offset:12280
	s_waitcnt lgkmcnt(2)
	v_xor_b32_e32 v36, 0x80000000, v25
	v_mov_b32_e32 v37, v24
	ds_write2_b64 v39, v[16:17], v[30:31] offset1:255
	v_pk_fma_f32 v[16:17], v[18:19], v[16:17], v[32:33] op_sel_hi:[1,0,1]
	v_mul_f32_e64 v38, v21, -v13
	s_waitcnt lgkmcnt(2)
	v_pk_add_f32 v[16:17], v[28:29], v[16:17] neg_lo:[0,1] neg_hi:[0,1]
	v_pk_mul_f32 v[28:29], v[30:31], v[36:37] op_sel:[1,0]
	v_fmac_f32_e32 v38, v12, v20
	v_pk_fma_f32 v[24:25], v[24:25], v[30:31], v[28:29] op_sel_hi:[1,0,1]
	v_mul_f32_e32 v12, v21, v12
	s_waitcnt lgkmcnt(1)
	v_pk_add_f32 v[24:25], v[34:35], v[24:25] neg_lo:[0,1] neg_hi:[0,1]
	ds_write_b64 v3, v[24:25] offset:12280
	v_xor_b32_e32 v24, 0x80000000, v41
	v_mov_b32_e32 v25, v40
	v_pk_mul_f32 v[30:31], v[20:21], v[24:25] op_sel:[1,0]
	v_fmac_f32_e32 v12, v13, v20
	v_pk_fma_f32 v[20:21], v[40:41], v[20:21], v[30:31] op_sel_hi:[1,0,1]
	v_mul_f32_e32 v30, v11, v22
	v_xor_b32_e32 v29, 0x80000000, v40
	v_mov_b32_e32 v28, v41
	v_mul_f32_e64 v0, v11, -v23
	v_fmac_f32_e32 v30, v23, v10
	v_fmac_f32_e32 v0, v22, v10
	v_pk_mul_f32 v[10:11], v[28:29], v[30:31] op_sel_hi:[1,0]
	v_pk_mul_f32 v[24:25], v[22:23], v[24:25] op_sel:[1,0]
	v_pk_fma_f32 v[10:11], v[40:41], v[0:1], v[10:11] op_sel_hi:[1,0,1] neg_lo:[1,0,0] neg_hi:[1,0,0]
	v_pk_mul_f32 v[12:13], v[28:29], v[12:13] op_sel_hi:[1,0]
	v_pk_fma_f32 v[22:23], v[40:41], v[22:23], v[24:25] op_sel_hi:[1,0,1]
	v_add_u32_e64 v0, s10, 0
	v_pk_mul_f32 v[28:29], v[10:11], v[18:19] op_sel:[1,1] op_sel_hi:[1,0] neg_lo:[0,1]
	ds_write2_b64 v0, v[10:11], v[22:23] offset1:255
	v_xor_b32_e32 v25, 0x80000000, v18
	v_pk_fma_f32 v[10:11], v[18:19], v[10:11], v[28:29] op_sel_hi:[1,0,1]
	v_mov_b32_e32 v24, v19
	v_pk_add_f32 v[8:9], v[8:9], v[10:11] neg_lo:[0,1] neg_hi:[0,1]
	v_pk_mul_f32 v[10:11], v[20:21], v[24:25] op_sel:[1,0]
	v_pk_fma_f32 v[12:13], v[40:41], v[38:39], v[12:13] op_sel_hi:[1,0,1] neg_lo:[1,0,0] neg_hi:[1,0,0]
	v_pk_fma_f32 v[10:11], v[18:19], v[20:21], v[10:11] op_sel_hi:[1,0,1] neg_lo:[1,0,0] neg_hi:[1,0,0]
	ds_write2st64_b64 v3, v[10:11], v[20:21] offset1:2
	v_xor_b32_e32 v10, 0x80000000, v13
	v_mov_b32_e32 v11, v12
	v_pk_mul_f32 v[10:11], v[26:27], v[10:11] op_sel:[1,0]
	v_mov_b32_e32 v0, 0xff8
	v_pk_fma_f32 v[10:11], v[12:13], v[26:27], v[10:11] op_sel_hi:[1,0,1]
	ds_write_b64 v3, v[12:13] offset:3064
	v_pk_add_f32 v[10:11], v[14:15], v[10:11] neg_lo:[0,1] neg_hi:[0,1]
	ds_write2_b64 v0, v[10:11], v[8:9] offset1:1
	v_xor_b32_e32 v9, 0x80000000, v26
	v_mov_b32_e32 v8, v27
	v_pk_mul_f32 v[8:9], v[22:23], v[8:9] op_sel:[1,0]
	s_nop 0
	v_pk_fma_f32 v[8:9], v[26:27], v[22:23], v[8:9] op_sel_hi:[1,0,1] neg_lo:[1,0,0] neg_hi:[1,0,0]
	ds_write2_b64 v7, v[8:9], v[16:17] offset1:1
.LBB203_28:
	s_or_b64 exec, exec, s[8:9]
	s_load_dwordx2 s[14:15], s[0:1], 0x48
	s_load_dwordx4 s[8:11], s[0:1], 0x38
	s_waitcnt lgkmcnt(0)
	s_barrier
	s_and_saveexec_b64 s[16:17], s[4:5]
	s_cbranch_execnz .LBB203_31
; %bb.29:
	s_or_b64 exec, exec, s[16:17]
	s_and_saveexec_b64 s[4:5], s[6:7]
	s_cbranch_execnz .LBB203_35
.LBB203_30:
	s_endpgm
.LBB203_31:
	s_cmp_eq_u32 s3, 0
	s_cbranch_scc1 .LBB203_39
; %bb.32:
	s_mul_i32 s18, s18, 3
	s_cbranch_execnz .LBB203_34
.LBB203_33:
	s_load_dwordx4 s[20:23], s[0:1], 0x28
	ds_read2st64_b64 v[6:9], v6 offset1:4
	v_ashrrev_i32_e32 v3, 31, v2
	v_lshlrev_b64 v[12:13], 3, v[2:3]
	v_add_u32_e32 v10, s19, v2
	s_waitcnt lgkmcnt(0)
	v_lshl_add_u64 v[2:3], s[20:21], 0, v[12:13]
	global_store_dwordx2 v[2:3], v[6:7], off
	ds_read2st64_b64 v[0:3], v1 offset1:4
	v_mov_b32_e32 v11, 0
	v_lshlrev_b64 v[6:7], 3, v[10:11]
	v_lshl_add_u64 v[10:11], s[20:21], 0, v[6:7]
	global_store_dwordx2 v[10:11], v[8:9], off
	v_lshl_add_u64 v[8:9], s[22:23], 0, v[12:13]
	s_waitcnt lgkmcnt(0)
	global_store_dwordx2 v[8:9], v[0:1], off
	v_lshl_add_u64 v[0:1], s[22:23], 0, v[6:7]
	s_mov_b32 s18, s19
	global_store_dwordx2 v[0:1], v[2:3], off
.LBB203_34:
	ds_read2st64_b64 v[0:3], v5 offset1:4
	v_ashrrev_i32_e32 v5, 31, v4
	v_add_u32_e32 v6, s18, v4
	v_mov_b32_e32 v7, 0
	v_lshl_add_u64 v[4:5], v[4:5], 3, s[12:13]
	s_waitcnt lgkmcnt(0)
	global_store_dwordx2 v[4:5], v[0:1], off
	v_lshl_add_u64 v[0:1], v[6:7], 3, s[12:13]
	global_store_dwordx2 v[0:1], v[2:3], off
	s_or_b64 exec, exec, s[16:17]
	s_and_saveexec_b64 s[4:5], s[6:7]
	s_cbranch_execz .LBB203_30
.LBB203_35:
	s_cmp_eq_u32 s3, 0
	s_cbranch_scc1 .LBB203_40
; %bb.36:
	s_load_dword s6, s[0:1], 0x50
	s_cbranch_execnz .LBB203_38
.LBB203_37:
	s_waitcnt lgkmcnt(0)
	s_load_dword s6, s[0:1], 0x50
	v_mov_b32_e32 v0, 0xff8
	s_mov_b32 s4, s3
	s_ashr_i32 s3, s2, 31
	ds_read2_b64 v[6:9], v0 offset1:1
	s_lshl_b64 s[12:13], s[2:3], 3
	v_mov_b32_e32 v4, 0
	s_mov_b32 s3, s4
	s_add_u32 s4, s10, s12
	ds_read_b64 v[2:3], v4 offset:8184
	s_addc_u32 s5, s11, s13
	s_waitcnt lgkmcnt(0)
	s_add_i32 s0, s6, s2
	s_mov_b32 s1, 0
	s_lshl_b64 s[0:1], s[0:1], 3
	global_store_dwordx2 v4, v[8:9], s[4:5]
	s_add_u32 s4, s10, s0
	ds_read_b64 v[0:1], v4
	s_addc_u32 s5, s11, s1
	global_store_dwordx2 v4, v[2:3], s[4:5]
	s_add_u32 s4, s14, s12
	s_addc_u32 s5, s15, s13
	s_add_u32 s0, s14, s0
	s_addc_u32 s1, s15, s1
	s_waitcnt lgkmcnt(0)
	global_store_dwordx2 v4, v[0:1], s[4:5]
	global_store_dwordx2 v4, v[6:7], s[0:1]
.LBB203_38:
	s_waitcnt lgkmcnt(0)
	s_mul_i32 s0, s6, s3
	s_lshl_b32 s0, s0, 1
	s_add_i32 s0, s0, s2
	s_mov_b32 s1, 0
	v_mov_b32_e32 v4, 0
	s_lshl_b64 s[2:3], s[0:1], 3
	ds_read_b64 v[0:1], v4 offset:8192
	ds_read_b64 v[2:3], v4 offset:12280
	s_add_u32 s2, s8, s2
	s_addc_u32 s3, s9, s3
	s_add_i32 s0, s0, s6
	s_lshl_b64 s[0:1], s[0:1], 3
	s_add_u32 s0, s8, s0
	s_addc_u32 s1, s9, s1
	s_waitcnt lgkmcnt(1)
	global_store_dwordx2 v4, v[0:1], s[2:3]
	s_waitcnt lgkmcnt(0)
	global_store_dwordx2 v4, v[2:3], s[0:1]
	s_endpgm
.LBB203_39:
                                        ; implicit-def: $sgpr18
	s_branch .LBB203_33
.LBB203_40:
                                        ; implicit-def: $sgpr6
	s_branch .LBB203_37
	.section	.rodata,"a",@progbits
	.p2align	6, 0x0
	.amdhsa_kernel _ZN9rocsparseL29gtsv_spike_block_level_kernelILj256ELj4E21rocsparse_complex_numIfEEEviiiPT1_PKS3_S6_S4_S4_S4_S4_S4_
		.amdhsa_group_segment_fixed_size 12288
		.amdhsa_private_segment_fixed_size 0
		.amdhsa_kernarg_size 336
		.amdhsa_user_sgpr_count 2
		.amdhsa_user_sgpr_dispatch_ptr 0
		.amdhsa_user_sgpr_queue_ptr 0
		.amdhsa_user_sgpr_kernarg_segment_ptr 1
		.amdhsa_user_sgpr_dispatch_id 0
		.amdhsa_user_sgpr_kernarg_preload_length 0
		.amdhsa_user_sgpr_kernarg_preload_offset 0
		.amdhsa_user_sgpr_private_segment_size 0
		.amdhsa_uses_dynamic_stack 0
		.amdhsa_enable_private_segment 0
		.amdhsa_system_sgpr_workgroup_id_x 1
		.amdhsa_system_sgpr_workgroup_id_y 1
		.amdhsa_system_sgpr_workgroup_id_z 0
		.amdhsa_system_sgpr_workgroup_info 0
		.amdhsa_system_vgpr_workitem_id 0
		.amdhsa_next_free_vgpr 50
		.amdhsa_next_free_sgpr 24
		.amdhsa_accum_offset 52
		.amdhsa_reserve_vcc 1
		.amdhsa_float_round_mode_32 0
		.amdhsa_float_round_mode_16_64 0
		.amdhsa_float_denorm_mode_32 3
		.amdhsa_float_denorm_mode_16_64 3
		.amdhsa_dx10_clamp 1
		.amdhsa_ieee_mode 1
		.amdhsa_fp16_overflow 0
		.amdhsa_tg_split 0
		.amdhsa_exception_fp_ieee_invalid_op 0
		.amdhsa_exception_fp_denorm_src 0
		.amdhsa_exception_fp_ieee_div_zero 0
		.amdhsa_exception_fp_ieee_overflow 0
		.amdhsa_exception_fp_ieee_underflow 0
		.amdhsa_exception_fp_ieee_inexact 0
		.amdhsa_exception_int_div_zero 0
	.end_amdhsa_kernel
	.section	.text._ZN9rocsparseL29gtsv_spike_block_level_kernelILj256ELj4E21rocsparse_complex_numIfEEEviiiPT1_PKS3_S6_S4_S4_S4_S4_S4_,"axG",@progbits,_ZN9rocsparseL29gtsv_spike_block_level_kernelILj256ELj4E21rocsparse_complex_numIfEEEviiiPT1_PKS3_S6_S4_S4_S4_S4_S4_,comdat
.Lfunc_end203:
	.size	_ZN9rocsparseL29gtsv_spike_block_level_kernelILj256ELj4E21rocsparse_complex_numIfEEEviiiPT1_PKS3_S6_S4_S4_S4_S4_S4_, .Lfunc_end203-_ZN9rocsparseL29gtsv_spike_block_level_kernelILj256ELj4E21rocsparse_complex_numIfEEEviiiPT1_PKS3_S6_S4_S4_S4_S4_S4_
                                        ; -- End function
	.set _ZN9rocsparseL29gtsv_spike_block_level_kernelILj256ELj4E21rocsparse_complex_numIfEEEviiiPT1_PKS3_S6_S4_S4_S4_S4_S4_.num_vgpr, 50
	.set _ZN9rocsparseL29gtsv_spike_block_level_kernelILj256ELj4E21rocsparse_complex_numIfEEEviiiPT1_PKS3_S6_S4_S4_S4_S4_S4_.num_agpr, 0
	.set _ZN9rocsparseL29gtsv_spike_block_level_kernelILj256ELj4E21rocsparse_complex_numIfEEEviiiPT1_PKS3_S6_S4_S4_S4_S4_S4_.numbered_sgpr, 24
	.set _ZN9rocsparseL29gtsv_spike_block_level_kernelILj256ELj4E21rocsparse_complex_numIfEEEviiiPT1_PKS3_S6_S4_S4_S4_S4_S4_.num_named_barrier, 0
	.set _ZN9rocsparseL29gtsv_spike_block_level_kernelILj256ELj4E21rocsparse_complex_numIfEEEviiiPT1_PKS3_S6_S4_S4_S4_S4_S4_.private_seg_size, 0
	.set _ZN9rocsparseL29gtsv_spike_block_level_kernelILj256ELj4E21rocsparse_complex_numIfEEEviiiPT1_PKS3_S6_S4_S4_S4_S4_S4_.uses_vcc, 1
	.set _ZN9rocsparseL29gtsv_spike_block_level_kernelILj256ELj4E21rocsparse_complex_numIfEEEviiiPT1_PKS3_S6_S4_S4_S4_S4_S4_.uses_flat_scratch, 0
	.set _ZN9rocsparseL29gtsv_spike_block_level_kernelILj256ELj4E21rocsparse_complex_numIfEEEviiiPT1_PKS3_S6_S4_S4_S4_S4_S4_.has_dyn_sized_stack, 0
	.set _ZN9rocsparseL29gtsv_spike_block_level_kernelILj256ELj4E21rocsparse_complex_numIfEEEviiiPT1_PKS3_S6_S4_S4_S4_S4_S4_.has_recursion, 0
	.set _ZN9rocsparseL29gtsv_spike_block_level_kernelILj256ELj4E21rocsparse_complex_numIfEEEviiiPT1_PKS3_S6_S4_S4_S4_S4_S4_.has_indirect_call, 0
	.section	.AMDGPU.csdata,"",@progbits
; Kernel info:
; codeLenInByte = 7624
; TotalNumSgprs: 30
; NumVgprs: 50
; NumAgprs: 0
; TotalNumVgprs: 50
; ScratchSize: 0
; MemoryBound: 0
; FloatMode: 240
; IeeeMode: 1
; LDSByteSize: 12288 bytes/workgroup (compile time only)
; SGPRBlocks: 3
; VGPRBlocks: 6
; NumSGPRsForWavesPerEU: 30
; NumVGPRsForWavesPerEU: 50
; AccumOffset: 52
; Occupancy: 8
; WaveLimiterHint : 0
; COMPUTE_PGM_RSRC2:SCRATCH_EN: 0
; COMPUTE_PGM_RSRC2:USER_SGPR: 2
; COMPUTE_PGM_RSRC2:TRAP_HANDLER: 0
; COMPUTE_PGM_RSRC2:TGID_X_EN: 1
; COMPUTE_PGM_RSRC2:TGID_Y_EN: 1
; COMPUTE_PGM_RSRC2:TGID_Z_EN: 0
; COMPUTE_PGM_RSRC2:TIDIG_COMP_CNT: 0
; COMPUTE_PGM_RSRC3_GFX90A:ACCUM_OFFSET: 12
; COMPUTE_PGM_RSRC3_GFX90A:TG_SPLIT: 0
	.section	.text._ZN9rocsparseL33gtsv_solve_spike_propagate_kernelILj256ELj4E21rocsparse_complex_numIfEEEviiiPT1_PKS3_S6_S6_,"axG",@progbits,_ZN9rocsparseL33gtsv_solve_spike_propagate_kernelILj256ELj4E21rocsparse_complex_numIfEEEviiiPT1_PKS3_S6_S6_,comdat
	.globl	_ZN9rocsparseL33gtsv_solve_spike_propagate_kernelILj256ELj4E21rocsparse_complex_numIfEEEviiiPT1_PKS3_S6_S6_ ; -- Begin function _ZN9rocsparseL33gtsv_solve_spike_propagate_kernelILj256ELj4E21rocsparse_complex_numIfEEEviiiPT1_PKS3_S6_S6_
	.p2align	8
	.type	_ZN9rocsparseL33gtsv_solve_spike_propagate_kernelILj256ELj4E21rocsparse_complex_numIfEEEviiiPT1_PKS3_S6_S6_,@function
_ZN9rocsparseL33gtsv_solve_spike_propagate_kernelILj256ELj4E21rocsparse_complex_numIfEEEviiiPT1_PKS3_S6_S6_: ; @_ZN9rocsparseL33gtsv_solve_spike_propagate_kernelILj256ELj4E21rocsparse_complex_numIfEEEviiiPT1_PKS3_S6_S6_
; %bb.0:
	s_load_dword s8, s[0:1], 0x0
	v_lshl_or_b32 v2, s2, 8, v0
	v_lshlrev_b32_e32 v1, 3, v0
	s_waitcnt lgkmcnt(0)
	s_lshr_b32 s14, s8, 2
	v_cmp_gt_i32_e32 vcc, s14, v2
	v_cmp_le_i32_e64 s[4:5], s14, v2
	s_and_saveexec_b64 s[6:7], s[4:5]
	s_xor_b64 s[6:7], exec, s[6:7]
; %bb.1:
	v_mov_b32_e32 v4, 0
	v_mov_b32_e32 v5, v4
	ds_write_b64 v1, v[4:5] offset:8208
; %bb.2:
	s_or_saveexec_b64 s[6:7], s[6:7]
	v_mov_b32_e32 v4, 0
	v_ashrrev_i32_e32 v3, 31, v2
	v_mov_b32_e32 v5, 0
	s_xor_b64 exec, exec, s[6:7]
	s_cbranch_execz .LBB204_4
; %bb.3:
	s_load_dwordx2 s[10:11], s[0:1], 0x18
	v_mad_u64_u32 v[4:5], s[12:13], s14, 3, v[2:3]
	v_mov_b32_e32 v5, 0
	s_waitcnt lgkmcnt(0)
	v_lshl_add_u64 v[6:7], v[2:3], 3, s[10:11]
	v_lshl_add_u64 v[8:9], v[4:5], 3, s[10:11]
	global_load_dwordx2 v[10:11], v[6:7], off
	global_load_dwordx2 v[4:5], v[8:9], off
	s_waitcnt vmcnt(1)
	ds_write_b64 v1, v[10:11] offset:8208
.LBB204_4:
	s_or_b64 exec, exec, s[6:7]
	s_load_dwordx2 s[6:7], s[0:1], 0x10
	s_waitcnt vmcnt(0)
	ds_write_b64 v1, v[4:5] offset:10256
	s_and_saveexec_b64 s[10:11], s[4:5]
	s_xor_b64 s[4:5], exec, s[10:11]
; %bb.5:
	s_mov_b32 s10, 0
	s_mov_b32 s11, s10
	v_mov_b64_e32 v[4:5], s[10:11]
	v_add_u32_e32 v3, 16, v1
	ds_write2st64_b64 v3, v[4:5], v[4:5] offset0:8 offset1:12
; %bb.6:
	s_or_saveexec_b64 s[4:5], s[4:5]
	v_mov_b32_e32 v4, 0
	s_mul_i32 s8, s8, s3
	v_mov_b32_e32 v6, 0
	v_mov_b32_e32 v7, 0
	s_xor_b64 exec, exec, s[4:5]
	s_cbranch_execz .LBB204_8
; %bb.7:
	s_load_dwordx2 s[10:11], s[0:1], 0x20
	v_mad_u64_u32 v[6:7], s[12:13], s14, 3, v[2:3]
	v_mov_b32_e32 v7, 0
	s_waitcnt lgkmcnt(0)
	v_lshl_add_u64 v[10:11], v[6:7], 3, s[10:11]
	v_add_u32_e32 v6, s8, v6
	v_lshl_add_u64 v[8:9], v[2:3], 3, s[10:11]
	v_lshl_add_u64 v[6:7], v[6:7], 3, s[6:7]
	global_load_dwordx2 v[12:13], v[8:9], off
	global_load_dwordx2 v[14:15], v[10:11], off
	v_add_u32_e32 v3, 16, v1
	global_load_dwordx2 v[6:7], v[6:7], off
	s_waitcnt vmcnt(1)
	ds_write2st64_b64 v3, v[12:13], v[14:15] offset0:8 offset1:12
.LBB204_8:
	s_or_b64 exec, exec, s[4:5]
	v_add_u32_e32 v2, s8, v2
	v_mov_b32_e32 v5, 0
	s_waitcnt vmcnt(0)
	ds_write_b64 v1, v[6:7] offset:8
	s_and_saveexec_b64 s[4:5], vcc
	s_cbranch_execz .LBB204_10
; %bb.9:
	v_ashrrev_i32_e32 v3, 31, v2
	s_waitcnt lgkmcnt(0)
	v_lshl_add_u64 v[4:5], v[2:3], 3, s[6:7]
	global_load_dwordx2 v[4:5], v[4:5], off
.LBB204_10:
	s_or_b64 exec, exec, s[4:5]
	s_mov_b32 s12, 0
	v_cmp_eq_u32_e64 s[4:5], 0, v0
	s_waitcnt vmcnt(0)
	ds_write_b64 v1, v[4:5] offset:2056
	s_waitcnt lgkmcnt(0)
	s_barrier
	s_and_saveexec_b64 s[8:9], s[4:5]
	s_cbranch_execz .LBB204_16
; %bb.11:
	s_load_dword s15, s[0:1], 0x30
	s_load_dwordx2 s[10:11], s[0:1], 0x28
	s_cmp_lt_i32 s2, 1
	s_mov_b32 s13, 0
	s_waitcnt lgkmcnt(0)
	s_mul_i32 s3, s3, s15
	s_cbranch_scc1 .LBB204_13
; %bb.12:
	s_lshl_b32 s0, s3, 1
	s_add_i32 s1, s2, s15
	s_add_i32 s0, s1, s0
	s_add_i32 s0, s0, -1
	s_mov_b32 s1, 0
	s_lshl_b64 s[0:1], s[0:1], 3
	s_add_u32 s0, s10, s0
	s_addc_u32 s1, s11, s1
	s_load_dwordx2 s[12:13], s[0:1], 0x0
.LBB204_13:
	s_add_i32 s0, s15, -1
	s_waitcnt lgkmcnt(0)
	v_mov_b32_e32 v4, s12
	v_mov_b32_e32 v5, s13
	;; [unrolled: 1-line block ×3, first 2 shown]
	s_mov_b32 s1, 0
	s_cmp_ge_u32 s2, s0
	s_mov_b32 s12, 0
	s_mov_b32 s13, 0
	ds_write_b64 v3, v[4:5]
	s_cbranch_scc1 .LBB204_15
; %bb.14:
	s_lshl_b32 s0, s3, 1
	s_add_i32 s0, s2, s0
	s_add_i32 s12, s0, 1
	s_lshl_b64 s[12:13], s[12:13], 3
	s_add_u32 s16, s10, s12
	s_addc_u32 s17, s11, s13
	s_load_dwordx2 s[12:13], s[16:17], 0x0
.LBB204_15:
	s_lshl_b32 s0, s3, 1
	s_add_i32 s0, s0, s2
	s_lshl_b64 s[2:3], s[0:1], 3
	s_add_u32 s2, s10, s2
	s_addc_u32 s3, s11, s3
	s_add_i32 s0, s0, s15
	s_lshl_b64 s[0:1], s[0:1], 3
	s_add_u32 s0, s10, s0
	s_addc_u32 s1, s11, s1
	s_load_dwordx2 s[10:11], s[0:1], 0x0
	s_load_dwordx2 s[16:17], s[2:3], 0x0
	s_waitcnt lgkmcnt(0)
	v_mov_b32_e32 v4, s12
	v_mov_b32_e32 v5, s13
	ds_write_b64 v3, v[4:5] offset:4104
	v_mov_b32_e32 v4, s10
	v_mov_b32_e32 v5, s11
	;; [unrolled: 1-line block ×4, first 2 shown]
	ds_write_b128 v3, v[4:7] offset:2048
.LBB204_16:
	s_or_b64 exec, exec, s[8:9]
	s_waitcnt lgkmcnt(0)
	s_barrier
	s_and_saveexec_b64 s[0:1], s[4:5]
	s_cbranch_execz .LBB204_18
; %bb.17:
	s_movk_i32 s2, 0x1410
	v_add_u32_e64 v3, s2, 0
	ds_read2_b64 v[4:7], v3 offset1:255
	v_add_u32_e64 v8, 8, 0
	s_movk_i32 s2, 0x2410
	v_mov_b32_e32 v3, 0
	ds_read2st64_b64 v[8:11], v8 offset0:6 offset1:8
	ds_read2st64_b64 v[12:15], v3 offset1:2
	v_add_u32_e64 v16, s2, 0
	ds_read2_b64 v[16:19], v16 offset1:255
	s_waitcnt lgkmcnt(3)
	v_xor_b32_e32 v20, 0x80000000, v7
	v_mov_b32_e32 v21, v6
	s_waitcnt lgkmcnt(2)
	v_pk_mul_f32 v[20:21], v[10:11], v[20:21] op_sel:[1,0]
	s_nop 0
	v_pk_fma_f32 v[6:7], v[6:7], v[10:11], v[20:21] op_sel_hi:[1,0,1]
	s_waitcnt lgkmcnt(1)
	v_pk_add_f32 v[6:7], v[14:15], v[6:7] neg_lo:[0,1] neg_hi:[0,1]
	s_waitcnt lgkmcnt(0)
	v_xor_b32_e32 v14, 0x80000000, v19
	v_mov_b32_e32 v15, v18
	v_pk_mul_f32 v[14:15], v[12:13], v[14:15] op_sel:[1,0]
	s_nop 0
	v_pk_fma_f32 v[14:15], v[18:19], v[12:13], v[14:15] op_sel_hi:[1,0,1]
	s_nop 0
	v_pk_add_f32 v[6:7], v[6:7], v[14:15] neg_lo:[0,1] neg_hi:[0,1]
	ds_write_b64 v3, v[6:7] offset:1024
	v_xor_b32_e32 v6, 0x80000000, v5
	v_mov_b32_e32 v7, v4
	v_pk_mul_f32 v[6:7], v[10:11], v[6:7] op_sel:[1,0]
	s_nop 0
	v_pk_fma_f32 v[4:5], v[4:5], v[10:11], v[6:7] op_sel_hi:[1,0,1]
	v_xor_b32_e32 v6, 0x80000000, v17
	v_mov_b32_e32 v7, v16
	v_pk_mul_f32 v[6:7], v[12:13], v[6:7] op_sel:[1,0]
	v_pk_add_f32 v[4:5], v[8:9], v[4:5] neg_lo:[0,1] neg_hi:[0,1]
	v_pk_fma_f32 v[6:7], v[16:17], v[12:13], v[6:7] op_sel_hi:[1,0,1]
	s_nop 0
	v_pk_add_f32 v[4:5], v[4:5], v[6:7] neg_lo:[0,1] neg_hi:[0,1]
	ds_write_b64 v3, v[4:5] offset:3080
.LBB204_18:
	s_or_b64 exec, exec, s[0:1]
	v_cmp_gt_u32_e64 s[0:1], 2, v0
	s_waitcnt lgkmcnt(0)
	s_barrier
	s_and_saveexec_b64 s[2:3], s[0:1]
	s_cbranch_execz .LBB204_20
; %bb.19:
	v_lshlrev_b32_e32 v3, 10, v0
	v_add_u32_e32 v4, 0x1210, v3
	ds_read2_b64 v[4:7], v4 offset1:255
	v_add_u32_e32 v12, 8, v3
	ds_read2st64_b64 v[8:11], v3 offset1:1
	ds_read2st64_b64 v[12:15], v12 offset0:5 offset1:6
	v_add_u32_e32 v16, 0x2210, v3
	ds_read2_b64 v[16:19], v16 offset1:255
	s_waitcnt lgkmcnt(3)
	v_xor_b32_e32 v20, 0x80000000, v7
	v_mov_b32_e32 v21, v6
	s_waitcnt lgkmcnt(1)
	v_pk_mul_f32 v[20:21], v[14:15], v[20:21] op_sel:[1,0]
	s_nop 0
	v_pk_fma_f32 v[6:7], v[6:7], v[14:15], v[20:21] op_sel_hi:[1,0,1]
	s_nop 0
	v_pk_add_f32 v[6:7], v[10:11], v[6:7] neg_lo:[0,1] neg_hi:[0,1]
	s_waitcnt lgkmcnt(0)
	v_xor_b32_e32 v10, 0x80000000, v19
	v_mov_b32_e32 v11, v18
	v_pk_mul_f32 v[10:11], v[8:9], v[10:11] op_sel:[1,0]
	s_nop 0
	v_pk_fma_f32 v[10:11], v[18:19], v[8:9], v[10:11] op_sel_hi:[1,0,1]
	s_nop 0
	v_pk_add_f32 v[6:7], v[6:7], v[10:11] neg_lo:[0,1] neg_hi:[0,1]
	ds_write_b64 v3, v[6:7] offset:512
	v_xor_b32_e32 v6, 0x80000000, v5
	v_mov_b32_e32 v7, v4
	v_pk_mul_f32 v[6:7], v[14:15], v[6:7] op_sel:[1,0]
	s_nop 0
	v_pk_fma_f32 v[4:5], v[4:5], v[14:15], v[6:7] op_sel_hi:[1,0,1]
	v_xor_b32_e32 v6, 0x80000000, v17
	v_mov_b32_e32 v7, v16
	v_pk_mul_f32 v[6:7], v[8:9], v[6:7] op_sel:[1,0]
	v_pk_add_f32 v[4:5], v[12:13], v[4:5] neg_lo:[0,1] neg_hi:[0,1]
	v_pk_fma_f32 v[6:7], v[16:17], v[8:9], v[6:7] op_sel_hi:[1,0,1]
	s_nop 0
	v_pk_add_f32 v[4:5], v[4:5], v[6:7] neg_lo:[0,1] neg_hi:[0,1]
	ds_write_b64 v3, v[4:5] offset:2568
.LBB204_20:
	s_or_b64 exec, exec, s[2:3]
	v_cmp_gt_u32_e64 s[0:1], 4, v0
	s_waitcnt lgkmcnt(0)
	s_barrier
	s_and_saveexec_b64 s[2:3], s[0:1]
	s_cbranch_execz .LBB204_22
; %bb.21:
	v_lshlrev_b32_e32 v3, 9, v0
	v_add_u32_e32 v4, 0x1110, v3
	ds_read2_b64 v[4:7], v4 offset1:255
	v_add_u32_e32 v12, 0x800, v3
	ds_read2_b64 v[8:11], v3 offset1:32
	ds_read2_b64 v[12:15], v12 offset0:33 offset1:65
	v_add_u32_e32 v16, 0x2110, v3
	ds_read2_b64 v[16:19], v16 offset1:255
	s_waitcnt lgkmcnt(3)
	v_xor_b32_e32 v20, 0x80000000, v7
	v_mov_b32_e32 v21, v6
	s_waitcnt lgkmcnt(1)
	v_pk_mul_f32 v[20:21], v[14:15], v[20:21] op_sel:[1,0]
	s_nop 0
	v_pk_fma_f32 v[6:7], v[6:7], v[14:15], v[20:21] op_sel_hi:[1,0,1]
	s_nop 0
	v_pk_add_f32 v[6:7], v[10:11], v[6:7] neg_lo:[0,1] neg_hi:[0,1]
	s_waitcnt lgkmcnt(0)
	v_xor_b32_e32 v10, 0x80000000, v19
	v_mov_b32_e32 v11, v18
	v_pk_mul_f32 v[10:11], v[8:9], v[10:11] op_sel:[1,0]
	s_nop 0
	v_pk_fma_f32 v[10:11], v[18:19], v[8:9], v[10:11] op_sel_hi:[1,0,1]
	s_nop 0
	v_pk_add_f32 v[6:7], v[6:7], v[10:11] neg_lo:[0,1] neg_hi:[0,1]
	ds_write_b64 v3, v[6:7] offset:256
	v_xor_b32_e32 v6, 0x80000000, v5
	v_mov_b32_e32 v7, v4
	v_pk_mul_f32 v[6:7], v[14:15], v[6:7] op_sel:[1,0]
	s_nop 0
	v_pk_fma_f32 v[4:5], v[4:5], v[14:15], v[6:7] op_sel_hi:[1,0,1]
	v_xor_b32_e32 v6, 0x80000000, v17
	v_mov_b32_e32 v7, v16
	v_pk_mul_f32 v[6:7], v[8:9], v[6:7] op_sel:[1,0]
	v_pk_add_f32 v[4:5], v[12:13], v[4:5] neg_lo:[0,1] neg_hi:[0,1]
	v_pk_fma_f32 v[6:7], v[16:17], v[8:9], v[6:7] op_sel_hi:[1,0,1]
	s_nop 0
	v_pk_add_f32 v[4:5], v[4:5], v[6:7] neg_lo:[0,1] neg_hi:[0,1]
	ds_write_b64 v3, v[4:5] offset:2312
.LBB204_22:
	s_or_b64 exec, exec, s[2:3]
	v_cmp_gt_u32_e64 s[0:1], 8, v0
	s_waitcnt lgkmcnt(0)
	s_barrier
	s_and_saveexec_b64 s[2:3], s[0:1]
	s_cbranch_execz .LBB204_24
; %bb.23:
	v_lshlrev_b32_e32 v3, 8, v0
	v_add_u32_e32 v4, 0x1090, v3
	ds_read2_b64 v[4:7], v4 offset1:255
	v_add_u32_e32 v12, 0x800, v3
	ds_read2_b64 v[8:11], v3 offset1:16
	ds_read2_b64 v[12:15], v12 offset0:17 offset1:33
	v_add_u32_e32 v16, 0x2090, v3
	ds_read2_b64 v[16:19], v16 offset1:255
	s_waitcnt lgkmcnt(3)
	v_xor_b32_e32 v20, 0x80000000, v7
	v_mov_b32_e32 v21, v6
	s_waitcnt lgkmcnt(1)
	v_pk_mul_f32 v[20:21], v[14:15], v[20:21] op_sel:[1,0]
	s_nop 0
	v_pk_fma_f32 v[6:7], v[6:7], v[14:15], v[20:21] op_sel_hi:[1,0,1]
	s_nop 0
	v_pk_add_f32 v[6:7], v[10:11], v[6:7] neg_lo:[0,1] neg_hi:[0,1]
	s_waitcnt lgkmcnt(0)
	v_xor_b32_e32 v10, 0x80000000, v19
	v_mov_b32_e32 v11, v18
	v_pk_mul_f32 v[10:11], v[8:9], v[10:11] op_sel:[1,0]
	s_nop 0
	v_pk_fma_f32 v[10:11], v[18:19], v[8:9], v[10:11] op_sel_hi:[1,0,1]
	s_nop 0
	v_pk_add_f32 v[6:7], v[6:7], v[10:11] neg_lo:[0,1] neg_hi:[0,1]
	ds_write_b64 v3, v[6:7] offset:128
	v_xor_b32_e32 v6, 0x80000000, v5
	v_mov_b32_e32 v7, v4
	v_pk_mul_f32 v[6:7], v[14:15], v[6:7] op_sel:[1,0]
	s_nop 0
	v_pk_fma_f32 v[4:5], v[4:5], v[14:15], v[6:7] op_sel_hi:[1,0,1]
	v_xor_b32_e32 v6, 0x80000000, v17
	v_mov_b32_e32 v7, v16
	v_pk_mul_f32 v[6:7], v[8:9], v[6:7] op_sel:[1,0]
	v_pk_add_f32 v[4:5], v[12:13], v[4:5] neg_lo:[0,1] neg_hi:[0,1]
	v_pk_fma_f32 v[6:7], v[16:17], v[8:9], v[6:7] op_sel_hi:[1,0,1]
	s_nop 0
	v_pk_add_f32 v[4:5], v[4:5], v[6:7] neg_lo:[0,1] neg_hi:[0,1]
	ds_write_b64 v3, v[4:5] offset:2184
.LBB204_24:
	;; [unrolled: 47-line block ×5, first 2 shown]
	s_or_b64 exec, exec, s[2:3]
	s_movk_i32 s0, 0x80
	v_cmp_gt_u32_e64 s[0:1], s0, v0
	s_waitcnt lgkmcnt(0)
	s_barrier
	s_and_saveexec_b64 s[2:3], s[0:1]
	s_cbranch_execz .LBB204_32
; %bb.31:
	v_lshlrev_b32_e32 v3, 4, v0
	v_add_u32_e32 v0, 0x1018, v3
	ds_read_b128 v[4:7], v3 offset:2064
	ds_read2_b64 v[8:11], v0 offset1:255
	ds_read_b128 v[12:15], v3
	v_add_u32_e32 v16, 0x2018, v3
	ds_read2_b64 v[16:19], v16 offset1:255
	s_waitcnt lgkmcnt(3)
	v_mov_b32_e32 v0, v7
	s_waitcnt lgkmcnt(2)
	v_xor_b32_e32 v20, 0x80000000, v11
	v_mov_b32_e32 v21, v10
	v_pk_mul_f32 v[20:21], v[0:1], v[20:21] op_sel_hi:[0,1]
	v_pk_fma_f32 v[10:11], v[10:11], v[6:7], v[20:21] op_sel_hi:[1,0,1]
	s_waitcnt lgkmcnt(1)
	v_pk_add_f32 v[10:11], v[14:15], v[10:11] neg_lo:[0,1] neg_hi:[0,1]
	s_waitcnt lgkmcnt(0)
	v_xor_b32_e32 v14, 0x80000000, v19
	v_mov_b32_e32 v15, v18
	v_pk_mul_f32 v[14:15], v[12:13], v[14:15] op_sel:[1,0]
	s_nop 0
	v_pk_fma_f32 v[14:15], v[18:19], v[12:13], v[14:15] op_sel_hi:[1,0,1]
	s_nop 0
	v_pk_add_f32 v[10:11], v[10:11], v[14:15] neg_lo:[0,1] neg_hi:[0,1]
	ds_write_b64 v3, v[10:11] offset:8
	v_xor_b32_e32 v10, 0x80000000, v9
	v_mov_b32_e32 v11, v8
	v_pk_mul_f32 v[10:11], v[0:1], v[10:11] op_sel_hi:[0,1]
	v_pk_fma_f32 v[6:7], v[8:9], v[6:7], v[10:11] op_sel_hi:[1,0,1]
	s_nop 0
	v_pk_add_f32 v[4:5], v[4:5], v[6:7] neg_lo:[0,1] neg_hi:[0,1]
	v_xor_b32_e32 v6, 0x80000000, v17
	v_mov_b32_e32 v7, v16
	v_pk_mul_f32 v[6:7], v[12:13], v[6:7] op_sel:[1,0]
	s_nop 0
	v_pk_fma_f32 v[6:7], v[16:17], v[12:13], v[6:7] op_sel_hi:[1,0,1]
	s_nop 0
	v_pk_add_f32 v[4:5], v[4:5], v[6:7] neg_lo:[0,1] neg_hi:[0,1]
	ds_write_b64 v3, v[4:5] offset:2064
.LBB204_32:
	s_or_b64 exec, exec, s[2:3]
	s_waitcnt lgkmcnt(0)
	s_barrier
	s_and_saveexec_b64 s[0:1], vcc
	s_cbranch_execz .LBB204_34
; %bb.33:
	v_add_u32_e32 v0, 8, v1
	ds_read2st64_b64 v[4:7], v0 offset1:4
	v_ashrrev_i32_e32 v3, 31, v2
	v_lshl_add_u64 v[0:1], v[2:3], 3, s[6:7]
	v_mad_u64_u32 v[2:3], s[0:1], s14, 3, v[2:3]
	v_mov_b32_e32 v3, 0
	s_waitcnt lgkmcnt(0)
	global_store_dwordx2 v[0:1], v[6:7], off
	v_lshl_add_u64 v[0:1], v[2:3], 3, s[6:7]
	global_store_dwordx2 v[0:1], v[4:5], off
.LBB204_34:
	s_endpgm
	.section	.rodata,"a",@progbits
	.p2align	6, 0x0
	.amdhsa_kernel _ZN9rocsparseL33gtsv_solve_spike_propagate_kernelILj256ELj4E21rocsparse_complex_numIfEEEviiiPT1_PKS3_S6_S6_
		.amdhsa_group_segment_fixed_size 12304
		.amdhsa_private_segment_fixed_size 0
		.amdhsa_kernarg_size 304
		.amdhsa_user_sgpr_count 2
		.amdhsa_user_sgpr_dispatch_ptr 0
		.amdhsa_user_sgpr_queue_ptr 0
		.amdhsa_user_sgpr_kernarg_segment_ptr 1
		.amdhsa_user_sgpr_dispatch_id 0
		.amdhsa_user_sgpr_kernarg_preload_length 0
		.amdhsa_user_sgpr_kernarg_preload_offset 0
		.amdhsa_user_sgpr_private_segment_size 0
		.amdhsa_uses_dynamic_stack 0
		.amdhsa_enable_private_segment 0
		.amdhsa_system_sgpr_workgroup_id_x 1
		.amdhsa_system_sgpr_workgroup_id_y 1
		.amdhsa_system_sgpr_workgroup_id_z 0
		.amdhsa_system_sgpr_workgroup_info 0
		.amdhsa_system_vgpr_workitem_id 0
		.amdhsa_next_free_vgpr 22
		.amdhsa_next_free_sgpr 18
		.amdhsa_accum_offset 24
		.amdhsa_reserve_vcc 1
		.amdhsa_float_round_mode_32 0
		.amdhsa_float_round_mode_16_64 0
		.amdhsa_float_denorm_mode_32 3
		.amdhsa_float_denorm_mode_16_64 3
		.amdhsa_dx10_clamp 1
		.amdhsa_ieee_mode 1
		.amdhsa_fp16_overflow 0
		.amdhsa_tg_split 0
		.amdhsa_exception_fp_ieee_invalid_op 0
		.amdhsa_exception_fp_denorm_src 0
		.amdhsa_exception_fp_ieee_div_zero 0
		.amdhsa_exception_fp_ieee_overflow 0
		.amdhsa_exception_fp_ieee_underflow 0
		.amdhsa_exception_fp_ieee_inexact 0
		.amdhsa_exception_int_div_zero 0
	.end_amdhsa_kernel
	.section	.text._ZN9rocsparseL33gtsv_solve_spike_propagate_kernelILj256ELj4E21rocsparse_complex_numIfEEEviiiPT1_PKS3_S6_S6_,"axG",@progbits,_ZN9rocsparseL33gtsv_solve_spike_propagate_kernelILj256ELj4E21rocsparse_complex_numIfEEEviiiPT1_PKS3_S6_S6_,comdat
.Lfunc_end204:
	.size	_ZN9rocsparseL33gtsv_solve_spike_propagate_kernelILj256ELj4E21rocsparse_complex_numIfEEEviiiPT1_PKS3_S6_S6_, .Lfunc_end204-_ZN9rocsparseL33gtsv_solve_spike_propagate_kernelILj256ELj4E21rocsparse_complex_numIfEEEviiiPT1_PKS3_S6_S6_
                                        ; -- End function
	.set _ZN9rocsparseL33gtsv_solve_spike_propagate_kernelILj256ELj4E21rocsparse_complex_numIfEEEviiiPT1_PKS3_S6_S6_.num_vgpr, 22
	.set _ZN9rocsparseL33gtsv_solve_spike_propagate_kernelILj256ELj4E21rocsparse_complex_numIfEEEviiiPT1_PKS3_S6_S6_.num_agpr, 0
	.set _ZN9rocsparseL33gtsv_solve_spike_propagate_kernelILj256ELj4E21rocsparse_complex_numIfEEEviiiPT1_PKS3_S6_S6_.numbered_sgpr, 18
	.set _ZN9rocsparseL33gtsv_solve_spike_propagate_kernelILj256ELj4E21rocsparse_complex_numIfEEEviiiPT1_PKS3_S6_S6_.num_named_barrier, 0
	.set _ZN9rocsparseL33gtsv_solve_spike_propagate_kernelILj256ELj4E21rocsparse_complex_numIfEEEviiiPT1_PKS3_S6_S6_.private_seg_size, 0
	.set _ZN9rocsparseL33gtsv_solve_spike_propagate_kernelILj256ELj4E21rocsparse_complex_numIfEEEviiiPT1_PKS3_S6_S6_.uses_vcc, 1
	.set _ZN9rocsparseL33gtsv_solve_spike_propagate_kernelILj256ELj4E21rocsparse_complex_numIfEEEviiiPT1_PKS3_S6_S6_.uses_flat_scratch, 0
	.set _ZN9rocsparseL33gtsv_solve_spike_propagate_kernelILj256ELj4E21rocsparse_complex_numIfEEEviiiPT1_PKS3_S6_S6_.has_dyn_sized_stack, 0
	.set _ZN9rocsparseL33gtsv_solve_spike_propagate_kernelILj256ELj4E21rocsparse_complex_numIfEEEviiiPT1_PKS3_S6_S6_.has_recursion, 0
	.set _ZN9rocsparseL33gtsv_solve_spike_propagate_kernelILj256ELj4E21rocsparse_complex_numIfEEEviiiPT1_PKS3_S6_S6_.has_indirect_call, 0
	.section	.AMDGPU.csdata,"",@progbits
; Kernel info:
; codeLenInByte = 3040
; TotalNumSgprs: 24
; NumVgprs: 22
; NumAgprs: 0
; TotalNumVgprs: 22
; ScratchSize: 0
; MemoryBound: 0
; FloatMode: 240
; IeeeMode: 1
; LDSByteSize: 12304 bytes/workgroup (compile time only)
; SGPRBlocks: 2
; VGPRBlocks: 2
; NumSGPRsForWavesPerEU: 24
; NumVGPRsForWavesPerEU: 22
; AccumOffset: 24
; Occupancy: 8
; WaveLimiterHint : 0
; COMPUTE_PGM_RSRC2:SCRATCH_EN: 0
; COMPUTE_PGM_RSRC2:USER_SGPR: 2
; COMPUTE_PGM_RSRC2:TRAP_HANDLER: 0
; COMPUTE_PGM_RSRC2:TGID_X_EN: 1
; COMPUTE_PGM_RSRC2:TGID_Y_EN: 1
; COMPUTE_PGM_RSRC2:TGID_Z_EN: 0
; COMPUTE_PGM_RSRC2:TIDIG_COMP_CNT: 0
; COMPUTE_PGM_RSRC3_GFX90A:ACCUM_OFFSET: 5
; COMPUTE_PGM_RSRC3_GFX90A:TG_SPLIT: 0
	.section	.text._ZN9rocsparseL39gtsv_spike_backward_substitution_kernelILj256ELj4E21rocsparse_complex_numIfEEEviiiPT1_PKS3_S6_,"axG",@progbits,_ZN9rocsparseL39gtsv_spike_backward_substitution_kernelILj256ELj4E21rocsparse_complex_numIfEEEviiiPT1_PKS3_S6_,comdat
	.globl	_ZN9rocsparseL39gtsv_spike_backward_substitution_kernelILj256ELj4E21rocsparse_complex_numIfEEEviiiPT1_PKS3_S6_ ; -- Begin function _ZN9rocsparseL39gtsv_spike_backward_substitution_kernelILj256ELj4E21rocsparse_complex_numIfEEEviiiPT1_PKS3_S6_
	.p2align	8
	.type	_ZN9rocsparseL39gtsv_spike_backward_substitution_kernelILj256ELj4E21rocsparse_complex_numIfEEEviiiPT1_PKS3_S6_,@function
_ZN9rocsparseL39gtsv_spike_backward_substitution_kernelILj256ELj4E21rocsparse_complex_numIfEEEviiiPT1_PKS3_S6_: ; @_ZN9rocsparseL39gtsv_spike_backward_substitution_kernelILj256ELj4E21rocsparse_complex_numIfEEEviiiPT1_PKS3_S6_
; %bb.0:
	s_load_dword s6, s[0:1], 0x0
	v_lshl_or_b32 v8, s2, 8, v0
	s_waitcnt lgkmcnt(0)
	s_lshr_b32 s12, s6, 2
	v_cmp_gt_i32_e32 vcc, s12, v8
	s_and_saveexec_b64 s[4:5], vcc
	s_cbranch_execz .LBB205_6
; %bb.1:
	s_load_dwordx2 s[8:9], s[0:1], 0x10
	v_cmp_lt_i32_e32 vcc, 0, v8
	v_mov_b32_e32 v0, 0
	s_mul_i32 s2, s6, s3
	v_mov_b32_e32 v2, 0
	s_and_saveexec_b64 s[4:5], vcc
	s_cbranch_execz .LBB205_3
; %bb.2:
	s_mul_i32 s7, s12, 3
	s_mul_i32 s3, s6, s3
	s_add_i32 s7, s7, s3
	v_add3_u32 v0, v8, s7, -1
	v_mov_b32_e32 v1, 0
	s_waitcnt lgkmcnt(0)
	v_lshl_add_u64 v[0:1], v[0:1], 3, s[8:9]
	global_load_dwordx2 v[0:1], v[0:1], off
	s_waitcnt vmcnt(0)
	v_mov_b32_e32 v2, v1
.LBB205_3:
	s_or_b64 exec, exec, s[4:5]
	v_add_u32_e32 v1, 4, v8
	v_cmp_le_u32_e32 vcc, s6, v1
	s_and_saveexec_b64 s[4:5], vcc
	s_xor_b64 s[4:5], exec, s[4:5]
	s_or_saveexec_b64 s[10:11], s[4:5]
	s_load_dwordx4 s[4:7], s[0:1], 0x18
	v_mov_b32_e32 v4, 0
	v_mov_b32_e32 v1, s2
	;; [unrolled: 1-line block ×3, first 2 shown]
	s_xor_b64 exec, exec, s[10:11]
	s_cbranch_execz .LBB205_5
; %bb.4:
	s_ashr_i32 s3, s2, 31
	v_ashrrev_i32_e32 v9, 31, v8
	v_lshl_add_u64 v[4:5], v[8:9], 0, s[2:3]
	s_waitcnt lgkmcnt(0)
	v_lshl_add_u64 v[4:5], v[4:5], 3, s[8:9]
	global_load_dwordx2 v[4:5], v[4:5], off offset:8
	v_mov_b32_e32 v1, s2
	s_waitcnt vmcnt(0)
	v_mov_b32_e32 v6, v5
.LBB205_5:
	s_or_b64 exec, exec, s[10:11]
	v_add_u32_e32 v8, s12, v8
	v_ashrrev_i32_e32 v9, 31, v8
	v_lshlrev_b64 v[10:11], 3, v[8:9]
	s_waitcnt lgkmcnt(0)
	v_lshl_add_u64 v[12:13], s[4:5], 0, v[10:11]
	global_load_dwordx2 v[12:13], v[12:13], off
	v_lshl_add_u64 v[10:11], s[6:7], 0, v[10:11]
	v_add_u32_e32 v14, v8, v1
	global_load_dwordx2 v[10:11], v[10:11], off
	v_ashrrev_i32_e32 v15, 31, v14
	v_lshl_add_u64 v[14:15], v[14:15], 3, s[8:9]
	global_load_dwordx2 v[16:17], v[14:15], off
	v_add_u32_e32 v8, s12, v8
	v_ashrrev_i32_e32 v9, 31, v8
	v_add_u32_e32 v18, v8, v1
	v_lshlrev_b64 v[8:9], 3, v[8:9]
	v_lshl_add_u64 v[20:21], s[4:5], 0, v[8:9]
	v_lshl_add_u64 v[8:9], s[6:7], 0, v[8:9]
	global_load_dwordx2 v[22:23], v[20:21], off
	global_load_dwordx2 v[24:25], v[8:9], off
	v_ashrrev_i32_e32 v19, 31, v18
	v_lshl_add_u64 v[18:19], v[18:19], 3, s[8:9]
	s_waitcnt vmcnt(4)
	v_xor_b32_e32 v8, 0x80000000, v13
	v_mov_b32_e32 v9, v12
	v_pk_mul_f32 v[8:9], v[2:3], v[8:9] op_sel_hi:[0,1]
	s_waitcnt vmcnt(3)
	v_xor_b32_e32 v20, 0x80000000, v11
	v_mov_b32_e32 v21, v10
	v_pk_mul_f32 v[20:21], v[6:7], v[20:21] op_sel_hi:[0,1]
	v_pk_fma_f32 v[8:9], v[12:13], v[0:1], v[8:9] op_sel_hi:[1,0,1]
	v_pk_fma_f32 v[10:11], v[10:11], v[4:5], v[20:21] op_sel_hi:[1,0,1]
	s_waitcnt vmcnt(2)
	v_pk_add_f32 v[8:9], v[16:17], v[8:9] neg_lo:[0,1] neg_hi:[0,1]
	s_waitcnt vmcnt(0)
	v_xor_b32_e32 v12, 0x80000000, v25
	v_pk_add_f32 v[8:9], v[8:9], v[10:11] neg_lo:[0,1] neg_hi:[0,1]
	global_store_dwordx2 v[14:15], v[8:9], off
	global_load_dwordx2 v[8:9], v[18:19], off
	v_xor_b32_e32 v10, 0x80000000, v23
	v_mov_b32_e32 v11, v22
	v_mov_b32_e32 v13, v24
	v_pk_mul_f32 v[2:3], v[2:3], v[10:11] op_sel_hi:[0,1]
	v_pk_mul_f32 v[6:7], v[6:7], v[12:13] op_sel_hi:[0,1]
	v_pk_fma_f32 v[0:1], v[22:23], v[0:1], v[2:3] op_sel_hi:[1,0,1]
	v_pk_fma_f32 v[2:3], v[24:25], v[4:5], v[6:7] op_sel_hi:[1,0,1]
	s_waitcnt vmcnt(0)
	v_pk_add_f32 v[0:1], v[8:9], v[0:1] neg_lo:[0,1] neg_hi:[0,1]
	s_nop 0
	v_pk_add_f32 v[0:1], v[0:1], v[2:3] neg_lo:[0,1] neg_hi:[0,1]
	global_store_dwordx2 v[18:19], v[0:1], off
.LBB205_6:
	s_endpgm
	.section	.rodata,"a",@progbits
	.p2align	6, 0x0
	.amdhsa_kernel _ZN9rocsparseL39gtsv_spike_backward_substitution_kernelILj256ELj4E21rocsparse_complex_numIfEEEviiiPT1_PKS3_S6_
		.amdhsa_group_segment_fixed_size 0
		.amdhsa_private_segment_fixed_size 0
		.amdhsa_kernarg_size 40
		.amdhsa_user_sgpr_count 2
		.amdhsa_user_sgpr_dispatch_ptr 0
		.amdhsa_user_sgpr_queue_ptr 0
		.amdhsa_user_sgpr_kernarg_segment_ptr 1
		.amdhsa_user_sgpr_dispatch_id 0
		.amdhsa_user_sgpr_kernarg_preload_length 0
		.amdhsa_user_sgpr_kernarg_preload_offset 0
		.amdhsa_user_sgpr_private_segment_size 0
		.amdhsa_uses_dynamic_stack 0
		.amdhsa_enable_private_segment 0
		.amdhsa_system_sgpr_workgroup_id_x 1
		.amdhsa_system_sgpr_workgroup_id_y 1
		.amdhsa_system_sgpr_workgroup_id_z 0
		.amdhsa_system_sgpr_workgroup_info 0
		.amdhsa_system_vgpr_workitem_id 0
		.amdhsa_next_free_vgpr 26
		.amdhsa_next_free_sgpr 13
		.amdhsa_accum_offset 28
		.amdhsa_reserve_vcc 1
		.amdhsa_float_round_mode_32 0
		.amdhsa_float_round_mode_16_64 0
		.amdhsa_float_denorm_mode_32 3
		.amdhsa_float_denorm_mode_16_64 3
		.amdhsa_dx10_clamp 1
		.amdhsa_ieee_mode 1
		.amdhsa_fp16_overflow 0
		.amdhsa_tg_split 0
		.amdhsa_exception_fp_ieee_invalid_op 0
		.amdhsa_exception_fp_denorm_src 0
		.amdhsa_exception_fp_ieee_div_zero 0
		.amdhsa_exception_fp_ieee_overflow 0
		.amdhsa_exception_fp_ieee_underflow 0
		.amdhsa_exception_fp_ieee_inexact 0
		.amdhsa_exception_int_div_zero 0
	.end_amdhsa_kernel
	.section	.text._ZN9rocsparseL39gtsv_spike_backward_substitution_kernelILj256ELj4E21rocsparse_complex_numIfEEEviiiPT1_PKS3_S6_,"axG",@progbits,_ZN9rocsparseL39gtsv_spike_backward_substitution_kernelILj256ELj4E21rocsparse_complex_numIfEEEviiiPT1_PKS3_S6_,comdat
.Lfunc_end205:
	.size	_ZN9rocsparseL39gtsv_spike_backward_substitution_kernelILj256ELj4E21rocsparse_complex_numIfEEEviiiPT1_PKS3_S6_, .Lfunc_end205-_ZN9rocsparseL39gtsv_spike_backward_substitution_kernelILj256ELj4E21rocsparse_complex_numIfEEEviiiPT1_PKS3_S6_
                                        ; -- End function
	.set _ZN9rocsparseL39gtsv_spike_backward_substitution_kernelILj256ELj4E21rocsparse_complex_numIfEEEviiiPT1_PKS3_S6_.num_vgpr, 26
	.set _ZN9rocsparseL39gtsv_spike_backward_substitution_kernelILj256ELj4E21rocsparse_complex_numIfEEEviiiPT1_PKS3_S6_.num_agpr, 0
	.set _ZN9rocsparseL39gtsv_spike_backward_substitution_kernelILj256ELj4E21rocsparse_complex_numIfEEEviiiPT1_PKS3_S6_.numbered_sgpr, 13
	.set _ZN9rocsparseL39gtsv_spike_backward_substitution_kernelILj256ELj4E21rocsparse_complex_numIfEEEviiiPT1_PKS3_S6_.num_named_barrier, 0
	.set _ZN9rocsparseL39gtsv_spike_backward_substitution_kernelILj256ELj4E21rocsparse_complex_numIfEEEviiiPT1_PKS3_S6_.private_seg_size, 0
	.set _ZN9rocsparseL39gtsv_spike_backward_substitution_kernelILj256ELj4E21rocsparse_complex_numIfEEEviiiPT1_PKS3_S6_.uses_vcc, 1
	.set _ZN9rocsparseL39gtsv_spike_backward_substitution_kernelILj256ELj4E21rocsparse_complex_numIfEEEviiiPT1_PKS3_S6_.uses_flat_scratch, 0
	.set _ZN9rocsparseL39gtsv_spike_backward_substitution_kernelILj256ELj4E21rocsparse_complex_numIfEEEviiiPT1_PKS3_S6_.has_dyn_sized_stack, 0
	.set _ZN9rocsparseL39gtsv_spike_backward_substitution_kernelILj256ELj4E21rocsparse_complex_numIfEEEviiiPT1_PKS3_S6_.has_recursion, 0
	.set _ZN9rocsparseL39gtsv_spike_backward_substitution_kernelILj256ELj4E21rocsparse_complex_numIfEEEviiiPT1_PKS3_S6_.has_indirect_call, 0
	.section	.AMDGPU.csdata,"",@progbits
; Kernel info:
; codeLenInByte = 560
; TotalNumSgprs: 19
; NumVgprs: 26
; NumAgprs: 0
; TotalNumVgprs: 26
; ScratchSize: 0
; MemoryBound: 0
; FloatMode: 240
; IeeeMode: 1
; LDSByteSize: 0 bytes/workgroup (compile time only)
; SGPRBlocks: 2
; VGPRBlocks: 3
; NumSGPRsForWavesPerEU: 19
; NumVGPRsForWavesPerEU: 26
; AccumOffset: 28
; Occupancy: 8
; WaveLimiterHint : 0
; COMPUTE_PGM_RSRC2:SCRATCH_EN: 0
; COMPUTE_PGM_RSRC2:USER_SGPR: 2
; COMPUTE_PGM_RSRC2:TRAP_HANDLER: 0
; COMPUTE_PGM_RSRC2:TGID_X_EN: 1
; COMPUTE_PGM_RSRC2:TGID_Y_EN: 1
; COMPUTE_PGM_RSRC2:TGID_Z_EN: 0
; COMPUTE_PGM_RSRC2:TIDIG_COMP_CNT: 0
; COMPUTE_PGM_RSRC3_GFX90A:ACCUM_OFFSET: 6
; COMPUTE_PGM_RSRC3_GFX90A:TG_SPLIT: 0
	.section	.text._ZN9rocsparseL32gtsv_transpose_back_array_kernelILj256ELj4E21rocsparse_complex_numIfEEEviiiPKT1_PS3_,"axG",@progbits,_ZN9rocsparseL32gtsv_transpose_back_array_kernelILj256ELj4E21rocsparse_complex_numIfEEEviiiPKT1_PS3_,comdat
	.globl	_ZN9rocsparseL32gtsv_transpose_back_array_kernelILj256ELj4E21rocsparse_complex_numIfEEEviiiPKT1_PS3_ ; -- Begin function _ZN9rocsparseL32gtsv_transpose_back_array_kernelILj256ELj4E21rocsparse_complex_numIfEEEviiiPKT1_PS3_
	.p2align	8
	.type	_ZN9rocsparseL32gtsv_transpose_back_array_kernelILj256ELj4E21rocsparse_complex_numIfEEEviiiPKT1_PS3_,@function
_ZN9rocsparseL32gtsv_transpose_back_array_kernelILj256ELj4E21rocsparse_complex_numIfEEEviiiPKT1_PS3_: ; @_ZN9rocsparseL32gtsv_transpose_back_array_kernelILj256ELj4E21rocsparse_complex_numIfEEEviiiPKT1_PS3_
; %bb.0:
	s_load_dwordx4 s[4:7], s[0:1], 0x0
	v_lshl_or_b32 v0, s2, 8, v0
	v_lshlrev_b32_e32 v2, 2, v0
	s_waitcnt lgkmcnt(0)
	v_cvt_f32_u32_e32 v1, s5
	s_sub_i32 s2, 0, s5
	v_rcp_iflag_f32_e32 v1, v1
	s_nop 0
	v_mul_f32_e32 v1, 0x4f7ffffe, v1
	v_cvt_u32_f32_e32 v1, v1
	v_mul_lo_u32 v3, s2, v1
	v_mul_hi_u32 v3, v1, v3
	v_add_u32_e32 v1, v1, v3
	v_mul_hi_u32 v1, v2, v1
	v_mul_lo_u32 v3, v1, s5
	v_sub_u32_e32 v3, v2, v3
	v_add_u32_e32 v4, 1, v1
	v_cmp_le_u32_e32 vcc, s5, v3
	s_nop 1
	v_cndmask_b32_e32 v1, v1, v4, vcc
	v_subrev_u32_e32 v4, s5, v3
	v_cndmask_b32_e32 v3, v3, v4, vcc
	v_add_u32_e32 v4, 1, v1
	v_cmp_le_u32_e32 vcc, s5, v3
	s_nop 1
	v_cndmask_b32_e32 v1, v1, v4, vcc
	v_mul_lo_u32 v3, v1, s5
	v_sub_u32_e32 v2, v2, v3
	v_add_u32_e32 v1, v1, v2
	v_cmp_gt_i32_e32 vcc, s4, v1
	s_and_saveexec_b64 s[8:9], vcc
	s_cbranch_execz .LBB206_2
; %bb.1:
	s_load_dwordx4 s[8:11], s[0:1], 0x10
	s_mul_i32 s0, s5, s3
	v_add_u32_e32 v2, s0, v0
	v_ashrrev_i32_e32 v3, 31, v2
	s_mul_i32 s0, s6, s3
	s_waitcnt lgkmcnt(0)
	v_lshl_add_u64 v[2:3], v[2:3], 3, s[8:9]
	global_load_dwordx2 v[2:3], v[2:3], off
	v_add_u32_e32 v0, s0, v1
	v_ashrrev_i32_e32 v1, 31, v0
	v_lshl_add_u64 v[0:1], v[0:1], 3, s[10:11]
	s_waitcnt vmcnt(0)
	global_store_dwordx2 v[0:1], v[2:3], off
.LBB206_2:
	s_endpgm
	.section	.rodata,"a",@progbits
	.p2align	6, 0x0
	.amdhsa_kernel _ZN9rocsparseL32gtsv_transpose_back_array_kernelILj256ELj4E21rocsparse_complex_numIfEEEviiiPKT1_PS3_
		.amdhsa_group_segment_fixed_size 0
		.amdhsa_private_segment_fixed_size 0
		.amdhsa_kernarg_size 32
		.amdhsa_user_sgpr_count 2
		.amdhsa_user_sgpr_dispatch_ptr 0
		.amdhsa_user_sgpr_queue_ptr 0
		.amdhsa_user_sgpr_kernarg_segment_ptr 1
		.amdhsa_user_sgpr_dispatch_id 0
		.amdhsa_user_sgpr_kernarg_preload_length 0
		.amdhsa_user_sgpr_kernarg_preload_offset 0
		.amdhsa_user_sgpr_private_segment_size 0
		.amdhsa_uses_dynamic_stack 0
		.amdhsa_enable_private_segment 0
		.amdhsa_system_sgpr_workgroup_id_x 1
		.amdhsa_system_sgpr_workgroup_id_y 1
		.amdhsa_system_sgpr_workgroup_id_z 0
		.amdhsa_system_sgpr_workgroup_info 0
		.amdhsa_system_vgpr_workitem_id 0
		.amdhsa_next_free_vgpr 5
		.amdhsa_next_free_sgpr 12
		.amdhsa_accum_offset 8
		.amdhsa_reserve_vcc 1
		.amdhsa_float_round_mode_32 0
		.amdhsa_float_round_mode_16_64 0
		.amdhsa_float_denorm_mode_32 3
		.amdhsa_float_denorm_mode_16_64 3
		.amdhsa_dx10_clamp 1
		.amdhsa_ieee_mode 1
		.amdhsa_fp16_overflow 0
		.amdhsa_tg_split 0
		.amdhsa_exception_fp_ieee_invalid_op 0
		.amdhsa_exception_fp_denorm_src 0
		.amdhsa_exception_fp_ieee_div_zero 0
		.amdhsa_exception_fp_ieee_overflow 0
		.amdhsa_exception_fp_ieee_underflow 0
		.amdhsa_exception_fp_ieee_inexact 0
		.amdhsa_exception_int_div_zero 0
	.end_amdhsa_kernel
	.section	.text._ZN9rocsparseL32gtsv_transpose_back_array_kernelILj256ELj4E21rocsparse_complex_numIfEEEviiiPKT1_PS3_,"axG",@progbits,_ZN9rocsparseL32gtsv_transpose_back_array_kernelILj256ELj4E21rocsparse_complex_numIfEEEviiiPKT1_PS3_,comdat
.Lfunc_end206:
	.size	_ZN9rocsparseL32gtsv_transpose_back_array_kernelILj256ELj4E21rocsparse_complex_numIfEEEviiiPKT1_PS3_, .Lfunc_end206-_ZN9rocsparseL32gtsv_transpose_back_array_kernelILj256ELj4E21rocsparse_complex_numIfEEEviiiPKT1_PS3_
                                        ; -- End function
	.set _ZN9rocsparseL32gtsv_transpose_back_array_kernelILj256ELj4E21rocsparse_complex_numIfEEEviiiPKT1_PS3_.num_vgpr, 5
	.set _ZN9rocsparseL32gtsv_transpose_back_array_kernelILj256ELj4E21rocsparse_complex_numIfEEEviiiPKT1_PS3_.num_agpr, 0
	.set _ZN9rocsparseL32gtsv_transpose_back_array_kernelILj256ELj4E21rocsparse_complex_numIfEEEviiiPKT1_PS3_.numbered_sgpr, 12
	.set _ZN9rocsparseL32gtsv_transpose_back_array_kernelILj256ELj4E21rocsparse_complex_numIfEEEviiiPKT1_PS3_.num_named_barrier, 0
	.set _ZN9rocsparseL32gtsv_transpose_back_array_kernelILj256ELj4E21rocsparse_complex_numIfEEEviiiPKT1_PS3_.private_seg_size, 0
	.set _ZN9rocsparseL32gtsv_transpose_back_array_kernelILj256ELj4E21rocsparse_complex_numIfEEEviiiPKT1_PS3_.uses_vcc, 1
	.set _ZN9rocsparseL32gtsv_transpose_back_array_kernelILj256ELj4E21rocsparse_complex_numIfEEEviiiPKT1_PS3_.uses_flat_scratch, 0
	.set _ZN9rocsparseL32gtsv_transpose_back_array_kernelILj256ELj4E21rocsparse_complex_numIfEEEviiiPKT1_PS3_.has_dyn_sized_stack, 0
	.set _ZN9rocsparseL32gtsv_transpose_back_array_kernelILj256ELj4E21rocsparse_complex_numIfEEEviiiPKT1_PS3_.has_recursion, 0
	.set _ZN9rocsparseL32gtsv_transpose_back_array_kernelILj256ELj4E21rocsparse_complex_numIfEEEviiiPKT1_PS3_.has_indirect_call, 0
	.section	.AMDGPU.csdata,"",@progbits
; Kernel info:
; codeLenInByte = 236
; TotalNumSgprs: 18
; NumVgprs: 5
; NumAgprs: 0
; TotalNumVgprs: 5
; ScratchSize: 0
; MemoryBound: 0
; FloatMode: 240
; IeeeMode: 1
; LDSByteSize: 0 bytes/workgroup (compile time only)
; SGPRBlocks: 2
; VGPRBlocks: 0
; NumSGPRsForWavesPerEU: 18
; NumVGPRsForWavesPerEU: 5
; AccumOffset: 8
; Occupancy: 8
; WaveLimiterHint : 0
; COMPUTE_PGM_RSRC2:SCRATCH_EN: 0
; COMPUTE_PGM_RSRC2:USER_SGPR: 2
; COMPUTE_PGM_RSRC2:TRAP_HANDLER: 0
; COMPUTE_PGM_RSRC2:TGID_X_EN: 1
; COMPUTE_PGM_RSRC2:TGID_Y_EN: 1
; COMPUTE_PGM_RSRC2:TGID_Z_EN: 0
; COMPUTE_PGM_RSRC2:TIDIG_COMP_CNT: 0
; COMPUTE_PGM_RSRC3_GFX90A:ACCUM_OFFSET: 1
; COMPUTE_PGM_RSRC3_GFX90A:TG_SPLIT: 0
	.section	.text._ZN9rocsparseL42gtsv_transpose_and_pad_array_shared_kernelILj256ELj8E21rocsparse_complex_numIfEEEviiiPKT1_PS3_S3_,"axG",@progbits,_ZN9rocsparseL42gtsv_transpose_and_pad_array_shared_kernelILj256ELj8E21rocsparse_complex_numIfEEEviiiPKT1_PS3_S3_,comdat
	.globl	_ZN9rocsparseL42gtsv_transpose_and_pad_array_shared_kernelILj256ELj8E21rocsparse_complex_numIfEEEviiiPKT1_PS3_S3_ ; -- Begin function _ZN9rocsparseL42gtsv_transpose_and_pad_array_shared_kernelILj256ELj8E21rocsparse_complex_numIfEEEviiiPKT1_PS3_S3_
	.p2align	8
	.type	_ZN9rocsparseL42gtsv_transpose_and_pad_array_shared_kernelILj256ELj8E21rocsparse_complex_numIfEEEviiiPKT1_PS3_S3_,@function
_ZN9rocsparseL42gtsv_transpose_and_pad_array_shared_kernelILj256ELj8E21rocsparse_complex_numIfEEEviiiPKT1_PS3_S3_: ; @_ZN9rocsparseL42gtsv_transpose_and_pad_array_shared_kernelILj256ELj8E21rocsparse_complex_numIfEEEviiiPKT1_PS3_S3_
; %bb.0:
	s_load_dwordx4 s[4:7], s[0:1], 0x0
	v_lshl_or_b32 v1, s2, 8, v0
                                        ; implicit-def: $sgpr10_sgpr11
	s_waitcnt lgkmcnt(0)
	v_cmp_le_i32_e32 vcc, s4, v1
	s_and_saveexec_b64 s[8:9], vcc
	s_xor_b64 s[8:9], exec, s[8:9]
; %bb.1:
	s_load_dwordx2 s[10:11], s[0:1], 0x20
                                        ; implicit-def: $vgpr1
; %bb.2:
	s_or_saveexec_b64 s[8:9], s[8:9]
	s_waitcnt lgkmcnt(0)
	v_mov_b64_e32 v[4:5], s[10:11]
	s_xor_b64 exec, exec, s[8:9]
	s_cbranch_execz .LBB207_4
; %bb.3:
	s_load_dwordx2 s[10:11], s[0:1], 0x10
	s_mul_i32 s4, s6, s3
	v_add_u32_e32 v2, s4, v1
	v_ashrrev_i32_e32 v3, 31, v2
	s_waitcnt lgkmcnt(0)
	v_lshl_add_u64 v[2:3], v[2:3], 3, s[10:11]
	global_load_dwordx2 v[4:5], v[2:3], off
.LBB207_4:
	s_or_b64 exec, exec, s[8:9]
	v_lshrrev_b32_e32 v2, 5, v0
	v_and_b32_e32 v3, 31, v0
	v_lshlrev_b32_e32 v0, 3, v0
	s_waitcnt vmcnt(0)
	ds_write_b64 v0, v[4:5]
	s_lshr_b32 s4, s5, 3
	v_lshl_or_b32 v0, s2, 5, v3
	v_mad_u64_u32 v[0:1], s[6:7], s4, v2, v[0:1]
	v_cmp_gt_i32_e32 vcc, s5, v0
	s_waitcnt lgkmcnt(0)
	s_barrier
	s_and_saveexec_b64 s[6:7], vcc
	s_cbranch_execz .LBB207_6
; %bb.5:
	v_lshlrev_b32_e32 v1, 3, v2
	s_load_dwordx2 s[0:1], s[0:1], 0x18
	v_lshl_or_b32 v1, v3, 6, v1
	ds_read_b64 v[2:3], v1
	s_mul_i32 s2, s5, s3
	v_add_u32_e32 v0, s2, v0
	v_ashrrev_i32_e32 v1, 31, v0
	s_waitcnt lgkmcnt(0)
	v_lshl_add_u64 v[0:1], v[0:1], 3, s[0:1]
	global_store_dwordx2 v[0:1], v[2:3], off
.LBB207_6:
	s_endpgm
	.section	.rodata,"a",@progbits
	.p2align	6, 0x0
	.amdhsa_kernel _ZN9rocsparseL42gtsv_transpose_and_pad_array_shared_kernelILj256ELj8E21rocsparse_complex_numIfEEEviiiPKT1_PS3_S3_
		.amdhsa_group_segment_fixed_size 2048
		.amdhsa_private_segment_fixed_size 0
		.amdhsa_kernarg_size 40
		.amdhsa_user_sgpr_count 2
		.amdhsa_user_sgpr_dispatch_ptr 0
		.amdhsa_user_sgpr_queue_ptr 0
		.amdhsa_user_sgpr_kernarg_segment_ptr 1
		.amdhsa_user_sgpr_dispatch_id 0
		.amdhsa_user_sgpr_kernarg_preload_length 0
		.amdhsa_user_sgpr_kernarg_preload_offset 0
		.amdhsa_user_sgpr_private_segment_size 0
		.amdhsa_uses_dynamic_stack 0
		.amdhsa_enable_private_segment 0
		.amdhsa_system_sgpr_workgroup_id_x 1
		.amdhsa_system_sgpr_workgroup_id_y 1
		.amdhsa_system_sgpr_workgroup_id_z 0
		.amdhsa_system_sgpr_workgroup_info 0
		.amdhsa_system_vgpr_workitem_id 0
		.amdhsa_next_free_vgpr 6
		.amdhsa_next_free_sgpr 12
		.amdhsa_accum_offset 8
		.amdhsa_reserve_vcc 1
		.amdhsa_float_round_mode_32 0
		.amdhsa_float_round_mode_16_64 0
		.amdhsa_float_denorm_mode_32 3
		.amdhsa_float_denorm_mode_16_64 3
		.amdhsa_dx10_clamp 1
		.amdhsa_ieee_mode 1
		.amdhsa_fp16_overflow 0
		.amdhsa_tg_split 0
		.amdhsa_exception_fp_ieee_invalid_op 0
		.amdhsa_exception_fp_denorm_src 0
		.amdhsa_exception_fp_ieee_div_zero 0
		.amdhsa_exception_fp_ieee_overflow 0
		.amdhsa_exception_fp_ieee_underflow 0
		.amdhsa_exception_fp_ieee_inexact 0
		.amdhsa_exception_int_div_zero 0
	.end_amdhsa_kernel
	.section	.text._ZN9rocsparseL42gtsv_transpose_and_pad_array_shared_kernelILj256ELj8E21rocsparse_complex_numIfEEEviiiPKT1_PS3_S3_,"axG",@progbits,_ZN9rocsparseL42gtsv_transpose_and_pad_array_shared_kernelILj256ELj8E21rocsparse_complex_numIfEEEviiiPKT1_PS3_S3_,comdat
.Lfunc_end207:
	.size	_ZN9rocsparseL42gtsv_transpose_and_pad_array_shared_kernelILj256ELj8E21rocsparse_complex_numIfEEEviiiPKT1_PS3_S3_, .Lfunc_end207-_ZN9rocsparseL42gtsv_transpose_and_pad_array_shared_kernelILj256ELj8E21rocsparse_complex_numIfEEEviiiPKT1_PS3_S3_
                                        ; -- End function
	.set _ZN9rocsparseL42gtsv_transpose_and_pad_array_shared_kernelILj256ELj8E21rocsparse_complex_numIfEEEviiiPKT1_PS3_S3_.num_vgpr, 6
	.set _ZN9rocsparseL42gtsv_transpose_and_pad_array_shared_kernelILj256ELj8E21rocsparse_complex_numIfEEEviiiPKT1_PS3_S3_.num_agpr, 0
	.set _ZN9rocsparseL42gtsv_transpose_and_pad_array_shared_kernelILj256ELj8E21rocsparse_complex_numIfEEEviiiPKT1_PS3_S3_.numbered_sgpr, 12
	.set _ZN9rocsparseL42gtsv_transpose_and_pad_array_shared_kernelILj256ELj8E21rocsparse_complex_numIfEEEviiiPKT1_PS3_S3_.num_named_barrier, 0
	.set _ZN9rocsparseL42gtsv_transpose_and_pad_array_shared_kernelILj256ELj8E21rocsparse_complex_numIfEEEviiiPKT1_PS3_S3_.private_seg_size, 0
	.set _ZN9rocsparseL42gtsv_transpose_and_pad_array_shared_kernelILj256ELj8E21rocsparse_complex_numIfEEEviiiPKT1_PS3_S3_.uses_vcc, 1
	.set _ZN9rocsparseL42gtsv_transpose_and_pad_array_shared_kernelILj256ELj8E21rocsparse_complex_numIfEEEviiiPKT1_PS3_S3_.uses_flat_scratch, 0
	.set _ZN9rocsparseL42gtsv_transpose_and_pad_array_shared_kernelILj256ELj8E21rocsparse_complex_numIfEEEviiiPKT1_PS3_S3_.has_dyn_sized_stack, 0
	.set _ZN9rocsparseL42gtsv_transpose_and_pad_array_shared_kernelILj256ELj8E21rocsparse_complex_numIfEEEviiiPKT1_PS3_S3_.has_recursion, 0
	.set _ZN9rocsparseL42gtsv_transpose_and_pad_array_shared_kernelILj256ELj8E21rocsparse_complex_numIfEEEviiiPKT1_PS3_S3_.has_indirect_call, 0
	.section	.AMDGPU.csdata,"",@progbits
; Kernel info:
; codeLenInByte = 232
; TotalNumSgprs: 18
; NumVgprs: 6
; NumAgprs: 0
; TotalNumVgprs: 6
; ScratchSize: 0
; MemoryBound: 0
; FloatMode: 240
; IeeeMode: 1
; LDSByteSize: 2048 bytes/workgroup (compile time only)
; SGPRBlocks: 2
; VGPRBlocks: 0
; NumSGPRsForWavesPerEU: 18
; NumVGPRsForWavesPerEU: 6
; AccumOffset: 8
; Occupancy: 8
; WaveLimiterHint : 0
; COMPUTE_PGM_RSRC2:SCRATCH_EN: 0
; COMPUTE_PGM_RSRC2:USER_SGPR: 2
; COMPUTE_PGM_RSRC2:TRAP_HANDLER: 0
; COMPUTE_PGM_RSRC2:TGID_X_EN: 1
; COMPUTE_PGM_RSRC2:TGID_Y_EN: 1
; COMPUTE_PGM_RSRC2:TGID_Z_EN: 0
; COMPUTE_PGM_RSRC2:TIDIG_COMP_CNT: 0
; COMPUTE_PGM_RSRC3_GFX90A:ACCUM_OFFSET: 1
; COMPUTE_PGM_RSRC3_GFX90A:TG_SPLIT: 0
	.section	.text._ZN9rocsparseL18gtsv_LBM_wv_kernelILj256ELj8E21rocsparse_complex_numIfEEEviiiPKT1_S5_S5_PS3_S6_S6_Pi,"axG",@progbits,_ZN9rocsparseL18gtsv_LBM_wv_kernelILj256ELj8E21rocsparse_complex_numIfEEEviiiPKT1_S5_S5_PS3_S6_S6_Pi,comdat
	.globl	_ZN9rocsparseL18gtsv_LBM_wv_kernelILj256ELj8E21rocsparse_complex_numIfEEEviiiPKT1_S5_S5_PS3_S6_S6_Pi ; -- Begin function _ZN9rocsparseL18gtsv_LBM_wv_kernelILj256ELj8E21rocsparse_complex_numIfEEEviiiPKT1_S5_S5_PS3_S6_S6_Pi
	.p2align	8
	.type	_ZN9rocsparseL18gtsv_LBM_wv_kernelILj256ELj8E21rocsparse_complex_numIfEEEviiiPKT1_S5_S5_PS3_S6_S6_Pi,@function
_ZN9rocsparseL18gtsv_LBM_wv_kernelILj256ELj8E21rocsparse_complex_numIfEEEviiiPKT1_S5_S5_PS3_S6_S6_Pi: ; @_ZN9rocsparseL18gtsv_LBM_wv_kernelILj256ELj8E21rocsparse_complex_numIfEEEviiiPKT1_S5_S5_PS3_S6_S6_Pi
; %bb.0:
	s_load_dword s29, s[0:1], 0x0
	v_lshl_or_b32 v0, s2, 8, v0
	s_waitcnt lgkmcnt(0)
	s_lshr_b32 s28, s29, 3
	v_cmp_gt_i32_e32 vcc, s28, v0
	s_and_saveexec_b64 s[2:3], vcc
	s_cbranch_execz .LBB208_72
; %bb.1:
	s_load_dwordx2 s[16:17], s[0:1], 0x10
	s_load_dwordx8 s[8:15], s[0:1], 0x20
	v_ashrrev_i32_e32 v1, 31, v0
	s_mul_i32 s30, s28, 7
	v_lshlrev_b64 v[2:3], 3, v[0:1]
	v_add_u32_e32 v6, s30, v0
	v_mov_b32_e32 v7, 0
	s_waitcnt lgkmcnt(0)
	v_lshl_add_u64 v[4:5], s[16:17], 0, v[2:3]
	v_lshlrev_b64 v[8:9], 3, v[6:7]
	global_load_dwordx2 v[4:5], v[4:5], off
	v_lshl_add_u64 v[10:11], s[8:9], 0, v[8:9]
	global_load_dwordx2 v[10:11], v[10:11], off
	s_load_dwordx2 s[6:7], s[0:1], 0x40
	v_lshl_add_u64 v[2:3], s[10:11], 0, v[2:3]
	s_cmp_lt_i32 s29, 1
	v_add_u32_e32 v46, s28, v0
	v_lshl_add_u64 v[8:9], s[12:13], 0, v[8:9]
	s_waitcnt vmcnt(1)
	global_store_dwordx2 v[2:3], v[4:5], off
	s_waitcnt vmcnt(1)
	global_store_dwordx2 v[8:9], v[10:11], off
	v_mov_b32_e32 v4, v7
	s_cbranch_scc1 .LBB208_65
; %bb.2:
	s_load_dwordx2 s[18:19], s[0:1], 0x18
	s_mov_b32 s22, 0x372fe950
	s_mul_i32 s31, s28, 6
	s_lshl_b32 s33, s28, 1
	v_mov_b32_e32 v50, 0
	s_waitcnt lgkmcnt(0)
	v_lshl_add_u64 v[4:5], v[0:1], 3, s[18:19]
	global_load_dwordx2 v[6:7], v[4:5], off
	v_add_u32_e32 v1, s28, v46
	s_mov_b64 s[20:21], 0
	s_mov_b32 s34, 0xf800000
	v_mov_b32_e32 v47, 0x260
	s_mov_b32 s23, 0x3fe3c6ef
	v_mov_b32_e32 v48, 2
	v_mov_b32_e32 v49, 1
	;; [unrolled: 1-line block ×3, first 2 shown]
	s_branch .LBB208_5
.LBB208_3:                              ;   in Loop: Header=BB208_5 Depth=1
	s_or_b64 exec, exec, s[4:5]
	v_xor_b32_e32 v8, 0x80000000, v25
	v_mov_b32_e32 v9, v24
	v_pk_mul_f32 v[8:9], v[16:17], v[8:9] op_sel_hi:[0,1]
	v_pk_fma_f32 v[6:7], v[24:25], v[6:7], v[8:9] op_sel_hi:[1,0,1]
	v_mov_b32_e32 v5, s28
	v_pk_add_f32 v[6:7], v[12:13], v[6:7] neg_lo:[0,1] neg_hi:[0,1]
.LBB208_4:                              ;   in Loop: Header=BB208_5 Depth=1
	s_or_b64 exec, exec, s[2:3]
	v_add_u32_e32 v4, v5, v4
	v_cmp_le_i32_e32 vcc, s29, v4
	s_or_b64 s[20:21], vcc, s[20:21]
	s_andn2_b64 exec, exec, s[20:21]
	s_cbranch_execz .LBB208_64
.LBB208_5:                              ; =>This Inner Loop Header: Depth=1
	v_add_u32_e32 v20, v4, v0
	v_ashrrev_i32_e32 v21, 31, v20
	v_lshl_add_u64 v[8:9], v[20:21], 3, s[8:9]
	global_load_dwordx2 v[14:15], v[8:9], off
	v_cmp_gt_u32_e64 s[0:1], s30, v4
	v_mov_b32_e32 v8, 0
	v_mov_b32_e32 v9, 0
	s_and_saveexec_b64 s[2:3], s[0:1]
	s_cbranch_execz .LBB208_7
; %bb.6:                                ;   in Loop: Header=BB208_5 Depth=1
	v_add_u32_e32 v8, v46, v4
	v_ashrrev_i32_e32 v9, 31, v8
	v_lshl_add_u64 v[8:9], v[8:9], 3, s[16:17]
	global_load_dwordx2 v[8:9], v[8:9], off
.LBB208_7:                              ;   in Loop: Header=BB208_5 Depth=1
	s_or_b64 exec, exec, s[2:3]
	v_mov_b32_e32 v11, 0
	v_mov_b32_e32 v12, 0
	;; [unrolled: 1-line block ×3, first 2 shown]
	s_and_saveexec_b64 s[2:3], s[0:1]
	s_cbranch_execz .LBB208_9
; %bb.8:                                ;   in Loop: Header=BB208_5 Depth=1
	v_add_u32_e32 v12, v46, v4
	v_ashrrev_i32_e32 v13, 31, v12
	v_lshl_add_u64 v[12:13], v[12:13], 3, s[18:19]
	global_load_dwordx2 v[12:13], v[12:13], off
.LBB208_9:                              ;   in Loop: Header=BB208_5 Depth=1
	s_or_b64 exec, exec, s[2:3]
	v_mov_b32_e32 v16, 0
	s_and_saveexec_b64 s[2:3], s[0:1]
	s_cbranch_execz .LBB208_11
; %bb.10:                               ;   in Loop: Header=BB208_5 Depth=1
	v_add_u32_e32 v10, v46, v4
	v_ashrrev_i32_e32 v11, 31, v10
	v_lshl_add_u64 v[10:11], v[10:11], 3, s[8:9]
	global_load_dwordx2 v[16:17], v[10:11], off
	s_waitcnt vmcnt(0)
	v_mov_b32_e32 v11, v16
	v_mov_b32_e32 v16, v17
.LBB208_11:                             ;   in Loop: Header=BB208_5 Depth=1
	s_or_b64 exec, exec, s[2:3]
	v_cmp_gt_u32_e64 s[2:3], s31, v4
	v_mov_b32_e32 v18, 0
	v_mov_b32_e32 v19, 0
	s_and_saveexec_b64 s[4:5], s[2:3]
	s_cbranch_execz .LBB208_13
; %bb.12:                               ;   in Loop: Header=BB208_5 Depth=1
	v_add_u32_e32 v18, v1, v4
	v_ashrrev_i32_e32 v19, 31, v18
	v_lshl_add_u64 v[18:19], v[18:19], 3, s[16:17]
	global_load_dwordx2 v[18:19], v[18:19], off
.LBB208_13:                             ;   in Loop: Header=BB208_5 Depth=1
	s_or_b64 exec, exec, s[4:5]
	s_waitcnt vmcnt(0)
	v_cmp_gt_f32_e32 vcc, 0, v8
                                        ; implicit-def: $vgpr5
	s_nop 1
	v_cndmask_b32_e64 v10, v8, -v8, vcc
	v_cmp_gt_f32_e32 vcc, 0, v9
	s_nop 1
	v_cndmask_b32_e64 v17, v9, -v9, vcc
	v_cmp_ngt_f32_e32 vcc, v10, v17
	s_and_saveexec_b64 s[4:5], vcc
	s_xor_b64 s[24:25], exec, s[4:5]
	s_cbranch_execz .LBB208_17
; %bb.14:                               ;   in Loop: Header=BB208_5 Depth=1
	v_mov_b32_e32 v5, 0
	v_cmp_neq_f32_e32 vcc, 0, v9
	s_and_saveexec_b64 s[26:27], vcc
	s_cbranch_execz .LBB208_16
; %bb.15:                               ;   in Loop: Header=BB208_5 Depth=1
	v_div_scale_f32 v5, s[4:5], v17, v17, v10
	v_rcp_f32_e32 v22, v5
	v_div_scale_f32 v23, vcc, v10, v17, v10
	v_fma_f32 v24, -v5, v22, 1.0
	v_fmac_f32_e32 v22, v24, v22
	v_mul_f32_e32 v24, v23, v22
	v_fma_f32 v25, -v5, v24, v23
	v_fmac_f32_e32 v24, v25, v22
	v_fma_f32 v5, -v5, v24, v23
	v_div_fmas_f32 v5, v5, v22, v24
	v_div_fixup_f32 v5, v5, v17, v10
	v_fma_f32 v5, v5, v5, 1.0
	v_mul_f32_e32 v10, 0x4f800000, v5
	v_cmp_gt_f32_e32 vcc, s34, v5
	s_nop 1
	v_cndmask_b32_e32 v5, v5, v10, vcc
	v_sqrt_f32_e32 v10, v5
	s_nop 0
	v_add_u32_e32 v22, -1, v10
	v_fma_f32 v23, -v22, v10, v5
	v_cmp_ge_f32_e64 s[4:5], 0, v23
	v_add_u32_e32 v23, 1, v10
	s_nop 0
	v_cndmask_b32_e64 v22, v10, v22, s[4:5]
	v_fma_f32 v10, -v23, v10, v5
	v_cmp_lt_f32_e64 s[4:5], 0, v10
	s_nop 1
	v_cndmask_b32_e64 v10, v22, v23, s[4:5]
	v_mul_f32_e32 v22, 0x37800000, v10
	v_cndmask_b32_e32 v10, v10, v22, vcc
	v_cmp_class_f32_e32 vcc, v5, v47
	s_nop 1
	v_cndmask_b32_e32 v5, v10, v5, vcc
	v_mul_f32_e32 v5, v17, v5
.LBB208_16:                             ;   in Loop: Header=BB208_5 Depth=1
	s_or_b64 exec, exec, s[26:27]
                                        ; implicit-def: $vgpr10
                                        ; implicit-def: $vgpr17
.LBB208_17:                             ;   in Loop: Header=BB208_5 Depth=1
	s_andn2_saveexec_b64 s[24:25], s[24:25]
	s_cbranch_execz .LBB208_19
; %bb.18:                               ;   in Loop: Header=BB208_5 Depth=1
	v_div_scale_f32 v5, s[4:5], v10, v10, v17
	v_rcp_f32_e32 v22, v5
	v_div_scale_f32 v23, vcc, v17, v10, v17
	v_fma_f32 v24, -v5, v22, 1.0
	v_fmac_f32_e32 v22, v24, v22
	v_mul_f32_e32 v24, v23, v22
	v_fma_f32 v25, -v5, v24, v23
	v_fmac_f32_e32 v24, v25, v22
	v_fma_f32 v5, -v5, v24, v23
	v_div_fmas_f32 v5, v5, v22, v24
	v_div_fixup_f32 v5, v5, v10, v17
	v_fma_f32 v5, v5, v5, 1.0
	v_mul_f32_e32 v17, 0x4f800000, v5
	v_cmp_gt_f32_e32 vcc, s34, v5
	s_nop 1
	v_cndmask_b32_e32 v5, v5, v17, vcc
	v_sqrt_f32_e32 v17, v5
	s_nop 0
	v_add_u32_e32 v22, -1, v17
	v_fma_f32 v23, -v22, v17, v5
	v_cmp_ge_f32_e64 s[4:5], 0, v23
	v_add_u32_e32 v23, 1, v17
	s_nop 0
	v_cndmask_b32_e64 v22, v17, v22, s[4:5]
	v_fma_f32 v17, -v23, v17, v5
	v_cmp_lt_f32_e64 s[4:5], 0, v17
	s_nop 1
	v_cndmask_b32_e64 v17, v22, v23, s[4:5]
	v_mul_f32_e32 v22, 0x37800000, v17
	v_cndmask_b32_e32 v17, v17, v22, vcc
	v_cmp_class_f32_e32 vcc, v5, v47
	s_nop 1
	v_cndmask_b32_e32 v5, v17, v5, vcc
	v_mul_f32_e32 v5, v10, v5
.LBB208_19:                             ;   in Loop: Header=BB208_5 Depth=1
	s_or_b64 exec, exec, s[24:25]
	v_cmp_gt_f32_e32 vcc, 0, v18
                                        ; implicit-def: $vgpr10
	s_nop 1
	v_cndmask_b32_e64 v17, v18, -v18, vcc
	v_cmp_gt_f32_e32 vcc, 0, v19
	s_nop 1
	v_cndmask_b32_e64 v22, v19, -v19, vcc
	v_cmp_ngt_f32_e32 vcc, v17, v22
	s_and_saveexec_b64 s[4:5], vcc
	s_xor_b64 s[24:25], exec, s[4:5]
	s_cbranch_execz .LBB208_23
; %bb.20:                               ;   in Loop: Header=BB208_5 Depth=1
	v_mov_b32_e32 v10, 0
	v_cmp_neq_f32_e32 vcc, 0, v19
	s_and_saveexec_b64 s[26:27], vcc
	s_cbranch_execz .LBB208_22
; %bb.21:                               ;   in Loop: Header=BB208_5 Depth=1
	v_div_scale_f32 v10, s[4:5], v22, v22, v17
	v_rcp_f32_e32 v23, v10
	v_div_scale_f32 v24, vcc, v17, v22, v17
	v_fma_f32 v25, -v10, v23, 1.0
	v_fmac_f32_e32 v23, v25, v23
	v_mul_f32_e32 v25, v24, v23
	v_fma_f32 v26, -v10, v25, v24
	v_fmac_f32_e32 v25, v26, v23
	v_fma_f32 v10, -v10, v25, v24
	v_div_fmas_f32 v10, v10, v23, v25
	v_div_fixup_f32 v10, v10, v22, v17
	v_fma_f32 v10, v10, v10, 1.0
	v_mul_f32_e32 v17, 0x4f800000, v10
	v_cmp_gt_f32_e32 vcc, s34, v10
	s_nop 1
	v_cndmask_b32_e32 v10, v10, v17, vcc
	v_sqrt_f32_e32 v17, v10
	s_nop 0
	v_add_u32_e32 v23, -1, v17
	v_fma_f32 v24, -v23, v17, v10
	v_cmp_ge_f32_e64 s[4:5], 0, v24
	v_add_u32_e32 v24, 1, v17
	s_nop 0
	v_cndmask_b32_e64 v23, v17, v23, s[4:5]
	v_fma_f32 v17, -v24, v17, v10
	v_cmp_lt_f32_e64 s[4:5], 0, v17
	s_nop 1
	v_cndmask_b32_e64 v17, v23, v24, s[4:5]
	v_mul_f32_e32 v23, 0x37800000, v17
	v_cndmask_b32_e32 v17, v17, v23, vcc
	v_cmp_class_f32_e32 vcc, v10, v47
	s_nop 1
	v_cndmask_b32_e32 v10, v17, v10, vcc
	v_mul_f32_e32 v10, v22, v10
.LBB208_22:                             ;   in Loop: Header=BB208_5 Depth=1
	s_or_b64 exec, exec, s[26:27]
                                        ; implicit-def: $vgpr17
                                        ; implicit-def: $vgpr22
.LBB208_23:                             ;   in Loop: Header=BB208_5 Depth=1
	s_andn2_saveexec_b64 s[24:25], s[24:25]
	s_cbranch_execz .LBB208_25
; %bb.24:                               ;   in Loop: Header=BB208_5 Depth=1
	v_div_scale_f32 v10, s[4:5], v17, v17, v22
	v_rcp_f32_e32 v23, v10
	v_div_scale_f32 v24, vcc, v22, v17, v22
	v_fma_f32 v25, -v10, v23, 1.0
	v_fmac_f32_e32 v23, v25, v23
	v_mul_f32_e32 v25, v24, v23
	v_fma_f32 v26, -v10, v25, v24
	v_fmac_f32_e32 v25, v26, v23
	v_fma_f32 v10, -v10, v25, v24
	v_div_fmas_f32 v10, v10, v23, v25
	v_div_fixup_f32 v10, v10, v17, v22
	v_fma_f32 v10, v10, v10, 1.0
	v_mul_f32_e32 v22, 0x4f800000, v10
	v_cmp_gt_f32_e32 vcc, s34, v10
	s_nop 1
	v_cndmask_b32_e32 v10, v10, v22, vcc
	v_sqrt_f32_e32 v22, v10
	s_nop 0
	v_add_u32_e32 v23, -1, v22
	v_fma_f32 v24, -v23, v22, v10
	v_cmp_ge_f32_e64 s[4:5], 0, v24
	v_add_u32_e32 v24, 1, v22
	s_nop 0
	v_cndmask_b32_e64 v23, v22, v23, s[4:5]
	v_fma_f32 v22, -v24, v22, v10
	v_cmp_lt_f32_e64 s[4:5], 0, v22
	s_nop 1
	v_cndmask_b32_e64 v22, v23, v24, s[4:5]
	v_mul_f32_e32 v23, 0x37800000, v22
	v_cndmask_b32_e32 v22, v22, v23, vcc
	v_cmp_class_f32_e32 vcc, v10, v47
	s_nop 1
	v_cndmask_b32_e32 v10, v22, v10, vcc
	v_mul_f32_e32 v10, v17, v10
.LBB208_25:                             ;   in Loop: Header=BB208_5 Depth=1
	s_or_b64 exec, exec, s[24:25]
	v_cmp_gt_f32_e32 vcc, 0, v12
                                        ; implicit-def: $vgpr17
	s_nop 1
	v_cndmask_b32_e64 v22, v12, -v12, vcc
	v_cmp_gt_f32_e32 vcc, 0, v13
	s_nop 1
	v_cndmask_b32_e64 v23, v13, -v13, vcc
	v_cmp_ngt_f32_e32 vcc, v22, v23
	s_and_saveexec_b64 s[4:5], vcc
	s_xor_b64 s[24:25], exec, s[4:5]
	s_cbranch_execz .LBB208_29
; %bb.26:                               ;   in Loop: Header=BB208_5 Depth=1
	v_mov_b32_e32 v17, 0
	v_cmp_neq_f32_e32 vcc, 0, v13
	s_and_saveexec_b64 s[26:27], vcc
	s_cbranch_execz .LBB208_28
; %bb.27:                               ;   in Loop: Header=BB208_5 Depth=1
	v_div_scale_f32 v17, s[4:5], v23, v23, v22
	v_rcp_f32_e32 v24, v17
	v_div_scale_f32 v25, vcc, v22, v23, v22
	v_fma_f32 v26, -v17, v24, 1.0
	v_fmac_f32_e32 v24, v26, v24
	v_mul_f32_e32 v26, v25, v24
	v_fma_f32 v27, -v17, v26, v25
	v_fmac_f32_e32 v26, v27, v24
	v_fma_f32 v17, -v17, v26, v25
	v_div_fmas_f32 v17, v17, v24, v26
	v_div_fixup_f32 v17, v17, v23, v22
	v_fma_f32 v17, v17, v17, 1.0
	v_mul_f32_e32 v22, 0x4f800000, v17
	v_cmp_gt_f32_e32 vcc, s34, v17
	s_nop 1
	v_cndmask_b32_e32 v17, v17, v22, vcc
	v_sqrt_f32_e32 v22, v17
	s_nop 0
	v_add_u32_e32 v24, -1, v22
	v_fma_f32 v25, -v24, v22, v17
	v_cmp_ge_f32_e64 s[4:5], 0, v25
	v_add_u32_e32 v25, 1, v22
	s_nop 0
	v_cndmask_b32_e64 v24, v22, v24, s[4:5]
	v_fma_f32 v22, -v25, v22, v17
	v_cmp_lt_f32_e64 s[4:5], 0, v22
	s_nop 1
	v_cndmask_b32_e64 v22, v24, v25, s[4:5]
	v_mul_f32_e32 v24, 0x37800000, v22
	v_cndmask_b32_e32 v22, v22, v24, vcc
	v_cmp_class_f32_e32 vcc, v17, v47
	s_nop 1
	v_cndmask_b32_e32 v17, v22, v17, vcc
	v_mul_f32_e32 v17, v23, v17
.LBB208_28:                             ;   in Loop: Header=BB208_5 Depth=1
	s_or_b64 exec, exec, s[26:27]
                                        ; implicit-def: $vgpr22
                                        ; implicit-def: $vgpr23
.LBB208_29:                             ;   in Loop: Header=BB208_5 Depth=1
	s_andn2_saveexec_b64 s[24:25], s[24:25]
	s_cbranch_execz .LBB208_31
; %bb.30:                               ;   in Loop: Header=BB208_5 Depth=1
	v_div_scale_f32 v17, s[4:5], v22, v22, v23
	v_rcp_f32_e32 v24, v17
	v_div_scale_f32 v25, vcc, v23, v22, v23
	v_fma_f32 v26, -v17, v24, 1.0
	v_fmac_f32_e32 v24, v26, v24
	v_mul_f32_e32 v26, v25, v24
	v_fma_f32 v27, -v17, v26, v25
	v_fmac_f32_e32 v26, v27, v24
	v_fma_f32 v17, -v17, v26, v25
	v_div_fmas_f32 v17, v17, v24, v26
	v_div_fixup_f32 v17, v17, v22, v23
	v_fma_f32 v17, v17, v17, 1.0
	v_mul_f32_e32 v23, 0x4f800000, v17
	v_cmp_gt_f32_e32 vcc, s34, v17
	s_nop 1
	v_cndmask_b32_e32 v17, v17, v23, vcc
	v_sqrt_f32_e32 v23, v17
	s_nop 0
	v_add_u32_e32 v24, -1, v23
	v_fma_f32 v25, -v24, v23, v17
	v_cmp_ge_f32_e64 s[4:5], 0, v25
	v_add_u32_e32 v25, 1, v23
	s_nop 0
	v_cndmask_b32_e64 v24, v23, v24, s[4:5]
	v_fma_f32 v23, -v25, v23, v17
	v_cmp_lt_f32_e64 s[4:5], 0, v23
	s_nop 1
	v_cndmask_b32_e64 v23, v24, v25, s[4:5]
	v_mul_f32_e32 v24, 0x37800000, v23
	v_cndmask_b32_e32 v23, v23, v24, vcc
	v_cmp_class_f32_e32 vcc, v17, v47
	s_nop 1
	v_cndmask_b32_e32 v17, v23, v17, vcc
	v_mul_f32_e32 v17, v22, v17
.LBB208_31:                             ;   in Loop: Header=BB208_5 Depth=1
	s_or_b64 exec, exec, s[24:25]
	v_cmp_gt_f32_e32 vcc, 0, v14
                                        ; implicit-def: $vgpr28
	s_nop 1
	v_cndmask_b32_e64 v22, v14, -v14, vcc
	v_cmp_gt_f32_e32 vcc, 0, v15
	s_nop 1
	v_cndmask_b32_e64 v23, v15, -v15, vcc
	v_cmp_ngt_f32_e32 vcc, v22, v23
	s_and_saveexec_b64 s[4:5], vcc
	s_xor_b64 s[24:25], exec, s[4:5]
	s_cbranch_execz .LBB208_35
; %bb.32:                               ;   in Loop: Header=BB208_5 Depth=1
	v_mov_b32_e32 v28, 0
	v_cmp_neq_f32_e32 vcc, 0, v15
	s_and_saveexec_b64 s[26:27], vcc
	s_cbranch_execz .LBB208_34
; %bb.33:                               ;   in Loop: Header=BB208_5 Depth=1
	v_div_scale_f32 v24, s[4:5], v23, v23, v22
	v_rcp_f32_e32 v25, v24
	v_div_scale_f32 v26, vcc, v22, v23, v22
	v_fma_f32 v27, -v24, v25, 1.0
	v_fmac_f32_e32 v25, v27, v25
	v_mul_f32_e32 v27, v26, v25
	v_fma_f32 v28, -v24, v27, v26
	v_fmac_f32_e32 v27, v28, v25
	v_fma_f32 v24, -v24, v27, v26
	v_div_fmas_f32 v24, v24, v25, v27
	v_div_fixup_f32 v22, v24, v23, v22
	v_fma_f32 v22, v22, v22, 1.0
	v_mul_f32_e32 v24, 0x4f800000, v22
	v_cmp_gt_f32_e32 vcc, s34, v22
	s_nop 1
	v_cndmask_b32_e32 v22, v22, v24, vcc
	v_sqrt_f32_e32 v24, v22
	s_nop 0
	v_add_u32_e32 v25, -1, v24
	v_fma_f32 v26, -v25, v24, v22
	v_cmp_ge_f32_e64 s[4:5], 0, v26
	v_add_u32_e32 v26, 1, v24
	s_nop 0
	v_cndmask_b32_e64 v25, v24, v25, s[4:5]
	v_fma_f32 v24, -v26, v24, v22
	v_cmp_lt_f32_e64 s[4:5], 0, v24
	s_nop 1
	v_cndmask_b32_e64 v24, v25, v26, s[4:5]
	v_mul_f32_e32 v25, 0x37800000, v24
	v_cndmask_b32_e32 v24, v24, v25, vcc
	v_cmp_class_f32_e32 vcc, v22, v47
	s_nop 1
	v_cndmask_b32_e32 v22, v24, v22, vcc
	v_mul_f32_e32 v28, v23, v22
.LBB208_34:                             ;   in Loop: Header=BB208_5 Depth=1
	s_or_b64 exec, exec, s[26:27]
                                        ; implicit-def: $vgpr22
                                        ; implicit-def: $vgpr23
.LBB208_35:                             ;   in Loop: Header=BB208_5 Depth=1
	s_andn2_saveexec_b64 s[24:25], s[24:25]
	s_cbranch_execz .LBB208_37
; %bb.36:                               ;   in Loop: Header=BB208_5 Depth=1
	v_div_scale_f32 v24, s[4:5], v22, v22, v23
	v_rcp_f32_e32 v25, v24
	v_div_scale_f32 v26, vcc, v23, v22, v23
	v_fma_f32 v27, -v24, v25, 1.0
	v_fmac_f32_e32 v25, v27, v25
	v_mul_f32_e32 v27, v26, v25
	v_fma_f32 v28, -v24, v27, v26
	v_fmac_f32_e32 v27, v28, v25
	v_fma_f32 v24, -v24, v27, v26
	v_div_fmas_f32 v24, v24, v25, v27
	v_div_fixup_f32 v23, v24, v22, v23
	v_fma_f32 v23, v23, v23, 1.0
	v_mul_f32_e32 v24, 0x4f800000, v23
	v_cmp_gt_f32_e32 vcc, s34, v23
	s_nop 1
	v_cndmask_b32_e32 v23, v23, v24, vcc
	v_sqrt_f32_e32 v24, v23
	s_nop 0
	v_add_u32_e32 v25, -1, v24
	v_fma_f32 v26, -v25, v24, v23
	v_cmp_ge_f32_e64 s[4:5], 0, v26
	v_add_u32_e32 v26, 1, v24
	s_nop 0
	v_cndmask_b32_e64 v25, v24, v25, s[4:5]
	v_fma_f32 v24, -v26, v24, v23
	v_cmp_lt_f32_e64 s[4:5], 0, v24
	s_nop 1
	v_cndmask_b32_e64 v24, v25, v26, s[4:5]
	v_mul_f32_e32 v25, 0x37800000, v24
	v_cndmask_b32_e32 v24, v24, v25, vcc
	v_cmp_class_f32_e32 vcc, v23, v47
	s_nop 1
	v_cndmask_b32_e32 v23, v24, v23, vcc
	v_mul_f32_e32 v28, v22, v23
.LBB208_37:                             ;   in Loop: Header=BB208_5 Depth=1
	s_or_b64 exec, exec, s[24:25]
	v_cmp_gt_f32_e32 vcc, 0, v11
                                        ; implicit-def: $vgpr29
	s_nop 1
	v_cndmask_b32_e64 v22, v11, -v11, vcc
	v_cmp_gt_f32_e32 vcc, 0, v16
	s_nop 1
	v_cndmask_b32_e64 v23, v16, -v16, vcc
	v_cmp_ngt_f32_e32 vcc, v22, v23
	s_and_saveexec_b64 s[4:5], vcc
	s_xor_b64 s[24:25], exec, s[4:5]
	s_cbranch_execz .LBB208_41
; %bb.38:                               ;   in Loop: Header=BB208_5 Depth=1
	v_mov_b32_e32 v29, 0
	v_cmp_neq_f32_e32 vcc, 0, v16
	s_and_saveexec_b64 s[26:27], vcc
	s_cbranch_execz .LBB208_40
; %bb.39:                               ;   in Loop: Header=BB208_5 Depth=1
	v_div_scale_f32 v24, s[4:5], v23, v23, v22
	v_rcp_f32_e32 v25, v24
	v_div_scale_f32 v26, vcc, v22, v23, v22
	v_fma_f32 v27, -v24, v25, 1.0
	v_fmac_f32_e32 v25, v27, v25
	v_mul_f32_e32 v27, v26, v25
	v_fma_f32 v29, -v24, v27, v26
	v_fmac_f32_e32 v27, v29, v25
	v_fma_f32 v24, -v24, v27, v26
	v_div_fmas_f32 v24, v24, v25, v27
	v_div_fixup_f32 v22, v24, v23, v22
	v_fma_f32 v22, v22, v22, 1.0
	v_mul_f32_e32 v24, 0x4f800000, v22
	v_cmp_gt_f32_e32 vcc, s34, v22
	s_nop 1
	v_cndmask_b32_e32 v22, v22, v24, vcc
	v_sqrt_f32_e32 v24, v22
	s_nop 0
	v_add_u32_e32 v25, -1, v24
	v_fma_f32 v26, -v25, v24, v22
	v_cmp_ge_f32_e64 s[4:5], 0, v26
	v_add_u32_e32 v26, 1, v24
	s_nop 0
	v_cndmask_b32_e64 v25, v24, v25, s[4:5]
	v_fma_f32 v24, -v26, v24, v22
	v_cmp_lt_f32_e64 s[4:5], 0, v24
	s_nop 1
	v_cndmask_b32_e64 v24, v25, v26, s[4:5]
	v_mul_f32_e32 v25, 0x37800000, v24
	v_cndmask_b32_e32 v24, v24, v25, vcc
	v_cmp_class_f32_e32 vcc, v22, v47
	s_nop 1
	v_cndmask_b32_e32 v22, v24, v22, vcc
	v_mul_f32_e32 v29, v23, v22
.LBB208_40:                             ;   in Loop: Header=BB208_5 Depth=1
	s_or_b64 exec, exec, s[26:27]
                                        ; implicit-def: $vgpr22
                                        ; implicit-def: $vgpr23
.LBB208_41:                             ;   in Loop: Header=BB208_5 Depth=1
	s_andn2_saveexec_b64 s[24:25], s[24:25]
	s_cbranch_execz .LBB208_43
; %bb.42:                               ;   in Loop: Header=BB208_5 Depth=1
	v_div_scale_f32 v24, s[4:5], v22, v22, v23
	v_rcp_f32_e32 v25, v24
	v_div_scale_f32 v26, vcc, v23, v22, v23
	v_fma_f32 v27, -v24, v25, 1.0
	v_fmac_f32_e32 v25, v27, v25
	v_mul_f32_e32 v27, v26, v25
	v_fma_f32 v29, -v24, v27, v26
	v_fmac_f32_e32 v27, v29, v25
	v_fma_f32 v24, -v24, v27, v26
	v_div_fmas_f32 v24, v24, v25, v27
	v_div_fixup_f32 v23, v24, v22, v23
	v_fma_f32 v23, v23, v23, 1.0
	v_mul_f32_e32 v24, 0x4f800000, v23
	v_cmp_gt_f32_e32 vcc, s34, v23
	s_nop 1
	v_cndmask_b32_e32 v23, v23, v24, vcc
	v_sqrt_f32_e32 v24, v23
	s_nop 0
	v_add_u32_e32 v25, -1, v24
	v_fma_f32 v26, -v25, v24, v23
	v_cmp_ge_f32_e64 s[4:5], 0, v26
	v_add_u32_e32 v26, 1, v24
	s_nop 0
	v_cndmask_b32_e64 v25, v24, v25, s[4:5]
	v_fma_f32 v24, -v26, v24, v23
	v_cmp_lt_f32_e64 s[4:5], 0, v24
	s_nop 1
	v_cndmask_b32_e64 v24, v25, v26, s[4:5]
	v_mul_f32_e32 v25, 0x37800000, v24
	v_cndmask_b32_e32 v24, v24, v25, vcc
	v_cmp_class_f32_e32 vcc, v23, v47
	s_nop 1
	v_cndmask_b32_e32 v23, v24, v23, vcc
	v_mul_f32_e32 v29, v22, v23
.LBB208_43:                             ;   in Loop: Header=BB208_5 Depth=1
	s_or_b64 exec, exec, s[24:25]
	v_cmp_gt_f32_e32 vcc, 0, v6
                                        ; implicit-def: $vgpr30
	s_nop 1
	v_cndmask_b32_e64 v22, v6, -v6, vcc
	v_cmp_gt_f32_e32 vcc, 0, v7
	s_nop 1
	v_cndmask_b32_e64 v23, v7, -v7, vcc
	v_cmp_ngt_f32_e32 vcc, v22, v23
	s_and_saveexec_b64 s[4:5], vcc
	s_xor_b64 s[24:25], exec, s[4:5]
	s_cbranch_execz .LBB208_47
; %bb.44:                               ;   in Loop: Header=BB208_5 Depth=1
	v_mov_b32_e32 v30, 0
	v_cmp_neq_f32_e32 vcc, 0, v7
	s_and_saveexec_b64 s[26:27], vcc
	s_cbranch_execz .LBB208_46
; %bb.45:                               ;   in Loop: Header=BB208_5 Depth=1
	v_div_scale_f32 v24, s[4:5], v23, v23, v22
	v_rcp_f32_e32 v25, v24
	v_div_scale_f32 v26, vcc, v22, v23, v22
	v_fma_f32 v27, -v24, v25, 1.0
	v_fmac_f32_e32 v25, v27, v25
	v_mul_f32_e32 v27, v26, v25
	v_fma_f32 v30, -v24, v27, v26
	v_fmac_f32_e32 v27, v30, v25
	v_fma_f32 v24, -v24, v27, v26
	v_div_fmas_f32 v24, v24, v25, v27
	v_div_fixup_f32 v22, v24, v23, v22
	v_fma_f32 v22, v22, v22, 1.0
	v_mul_f32_e32 v24, 0x4f800000, v22
	v_cmp_gt_f32_e32 vcc, s34, v22
	s_nop 1
	v_cndmask_b32_e32 v22, v22, v24, vcc
	v_sqrt_f32_e32 v24, v22
	s_nop 0
	v_add_u32_e32 v25, -1, v24
	v_fma_f32 v26, -v25, v24, v22
	v_cmp_ge_f32_e64 s[4:5], 0, v26
	v_add_u32_e32 v26, 1, v24
	s_nop 0
	v_cndmask_b32_e64 v25, v24, v25, s[4:5]
	v_fma_f32 v24, -v26, v24, v22
	v_cmp_lt_f32_e64 s[4:5], 0, v24
	s_nop 1
	v_cndmask_b32_e64 v24, v25, v26, s[4:5]
	v_mul_f32_e32 v25, 0x37800000, v24
	v_cndmask_b32_e32 v24, v24, v25, vcc
	v_cmp_class_f32_e32 vcc, v22, v47
	s_nop 1
	v_cndmask_b32_e32 v22, v24, v22, vcc
	v_mul_f32_e32 v30, v23, v22
.LBB208_46:                             ;   in Loop: Header=BB208_5 Depth=1
	s_or_b64 exec, exec, s[26:27]
                                        ; implicit-def: $vgpr22
                                        ; implicit-def: $vgpr23
.LBB208_47:                             ;   in Loop: Header=BB208_5 Depth=1
	s_andn2_saveexec_b64 s[24:25], s[24:25]
	s_cbranch_execz .LBB208_49
; %bb.48:                               ;   in Loop: Header=BB208_5 Depth=1
	v_div_scale_f32 v24, s[4:5], v22, v22, v23
	v_rcp_f32_e32 v25, v24
	v_div_scale_f32 v26, vcc, v23, v22, v23
	v_fma_f32 v27, -v24, v25, 1.0
	v_fmac_f32_e32 v25, v27, v25
	v_mul_f32_e32 v27, v26, v25
	v_fma_f32 v30, -v24, v27, v26
	v_fmac_f32_e32 v27, v30, v25
	v_fma_f32 v24, -v24, v27, v26
	v_div_fmas_f32 v24, v24, v25, v27
	v_div_fixup_f32 v23, v24, v22, v23
	v_fma_f32 v23, v23, v23, 1.0
	v_mul_f32_e32 v24, 0x4f800000, v23
	v_cmp_gt_f32_e32 vcc, s34, v23
	s_nop 1
	v_cndmask_b32_e32 v23, v23, v24, vcc
	v_sqrt_f32_e32 v24, v23
	s_nop 0
	v_add_u32_e32 v25, -1, v24
	v_fma_f32 v26, -v25, v24, v23
	v_cmp_ge_f32_e64 s[4:5], 0, v26
	v_add_u32_e32 v26, 1, v24
	s_nop 0
	v_cndmask_b32_e64 v25, v24, v25, s[4:5]
	v_fma_f32 v24, -v26, v24, v23
	v_cmp_lt_f32_e64 s[4:5], 0, v24
	s_nop 1
	v_cndmask_b32_e64 v24, v25, v26, s[4:5]
	v_mul_f32_e32 v25, 0x37800000, v24
	v_cndmask_b32_e32 v24, v24, v25, vcc
	v_cmp_class_f32_e32 vcc, v23, v47
	s_nop 1
	v_cndmask_b32_e32 v23, v24, v23, vcc
	v_mul_f32_e32 v30, v22, v23
.LBB208_49:                             ;   in Loop: Header=BB208_5 Depth=1
	s_or_b64 exec, exec, s[24:25]
	v_pk_add_f32 v[22:23], v[8:9], 0 neg_lo:[1,1] neg_hi:[1,1]
                                        ; implicit-def: $vgpr33
	s_nop 0
	v_pk_mov_b32 v[26:27], v[22:23], v[8:9] op_sel:[1,0]
	s_nop 0
	v_pk_mul_f32 v[24:25], v[14:15], v[26:27] op_sel:[1,0]
	s_nop 0
	v_pk_fma_f32 v[24:25], v[8:9], v[14:15], v[24:25] op_sel_hi:[1,0,1]
	s_nop 0
	v_cmp_gt_f32_e32 vcc, 0, v24
	s_nop 1
	v_cndmask_b32_e64 v31, v24, -v24, vcc
	v_cmp_gt_f32_e32 vcc, 0, v25
	s_nop 1
	v_cndmask_b32_e64 v32, v25, -v25, vcc
	v_cmp_ngt_f32_e32 vcc, v31, v32
	s_and_saveexec_b64 s[4:5], vcc
	s_xor_b64 s[24:25], exec, s[4:5]
	s_cbranch_execz .LBB208_53
; %bb.50:                               ;   in Loop: Header=BB208_5 Depth=1
	v_mov_b32_e32 v33, 0
	v_cmp_neq_f32_e32 vcc, 0, v25
	s_and_saveexec_b64 s[26:27], vcc
	s_cbranch_execz .LBB208_52
; %bb.51:                               ;   in Loop: Header=BB208_5 Depth=1
	v_div_scale_f32 v33, s[4:5], v32, v32, v31
	v_rcp_f32_e32 v34, v33
	v_div_scale_f32 v35, vcc, v31, v32, v31
	v_fma_f32 v36, -v33, v34, 1.0
	v_fmac_f32_e32 v34, v36, v34
	v_mul_f32_e32 v36, v35, v34
	v_fma_f32 v37, -v33, v36, v35
	v_fmac_f32_e32 v36, v37, v34
	v_fma_f32 v33, -v33, v36, v35
	v_div_fmas_f32 v33, v33, v34, v36
	v_div_fixup_f32 v31, v33, v32, v31
	v_fma_f32 v31, v31, v31, 1.0
	v_mul_f32_e32 v33, 0x4f800000, v31
	v_cmp_gt_f32_e32 vcc, s34, v31
	s_nop 1
	v_cndmask_b32_e32 v31, v31, v33, vcc
	v_sqrt_f32_e32 v33, v31
	s_nop 0
	v_add_u32_e32 v34, -1, v33
	v_fma_f32 v35, -v34, v33, v31
	v_cmp_ge_f32_e64 s[4:5], 0, v35
	v_add_u32_e32 v35, 1, v33
	s_nop 0
	v_cndmask_b32_e64 v34, v33, v34, s[4:5]
	v_fma_f32 v33, -v35, v33, v31
	v_cmp_lt_f32_e64 s[4:5], 0, v33
	s_nop 1
	v_cndmask_b32_e64 v33, v34, v35, s[4:5]
	v_mul_f32_e32 v34, 0x37800000, v33
	v_cndmask_b32_e32 v33, v33, v34, vcc
	v_cmp_class_f32_e32 vcc, v31, v47
	s_nop 1
	v_cndmask_b32_e32 v31, v33, v31, vcc
	v_mul_f32_e32 v33, v32, v31
.LBB208_52:                             ;   in Loop: Header=BB208_5 Depth=1
	s_or_b64 exec, exec, s[26:27]
                                        ; implicit-def: $vgpr31
                                        ; implicit-def: $vgpr32
.LBB208_53:                             ;   in Loop: Header=BB208_5 Depth=1
	s_andn2_saveexec_b64 s[24:25], s[24:25]
	s_cbranch_execz .LBB208_55
; %bb.54:                               ;   in Loop: Header=BB208_5 Depth=1
	v_div_scale_f32 v33, s[4:5], v31, v31, v32
	v_rcp_f32_e32 v34, v33
	v_div_scale_f32 v35, vcc, v32, v31, v32
	v_fma_f32 v36, -v33, v34, 1.0
	v_fmac_f32_e32 v34, v36, v34
	v_mul_f32_e32 v36, v35, v34
	v_fma_f32 v37, -v33, v36, v35
	v_fmac_f32_e32 v36, v37, v34
	v_fma_f32 v33, -v33, v36, v35
	v_div_fmas_f32 v33, v33, v34, v36
	v_div_fixup_f32 v32, v33, v31, v32
	v_fma_f32 v32, v32, v32, 1.0
	v_mul_f32_e32 v33, 0x4f800000, v32
	v_cmp_gt_f32_e32 vcc, s34, v32
	s_nop 1
	v_cndmask_b32_e32 v32, v32, v33, vcc
	v_sqrt_f32_e32 v33, v32
	s_nop 0
	v_add_u32_e32 v34, -1, v33
	v_fma_f32 v35, -v34, v33, v32
	v_cmp_ge_f32_e64 s[4:5], 0, v35
	v_add_u32_e32 v35, 1, v33
	s_nop 0
	v_cndmask_b32_e64 v34, v33, v34, s[4:5]
	v_fma_f32 v33, -v35, v33, v32
	v_cmp_lt_f32_e64 s[4:5], 0, v33
	s_nop 1
	v_cndmask_b32_e64 v33, v34, v35, s[4:5]
	v_mul_f32_e32 v34, 0x37800000, v33
	v_cndmask_b32_e32 v33, v33, v34, vcc
	v_cmp_class_f32_e32 vcc, v32, v47
	s_nop 1
	v_cndmask_b32_e32 v32, v33, v32, vcc
	v_mul_f32_e32 v33, v31, v32
.LBB208_55:                             ;   in Loop: Header=BB208_5 Depth=1
	s_or_b64 exec, exec, s[24:25]
	v_cmp_lt_f32_e32 vcc, v5, v10
	v_cvt_f64_f32_e32 v[30:31], v30
	v_cmp_ne_u32_e64 s[4:5], s30, v4
	v_cndmask_b32_e32 v5, v5, v10, vcc
	v_cmp_lt_f32_e32 vcc, v17, v5
	s_nop 1
	v_cndmask_b32_e32 v5, v17, v5, vcc
	v_cmp_lt_f32_e32 vcc, v28, v5
	s_nop 1
	;; [unrolled: 3-line block ×3, first 2 shown]
	v_cndmask_b32_e32 v5, v29, v5, vcc
	v_cvt_f64_f32_e32 v[28:29], v5
	v_mul_f64 v[28:29], v[28:29], v[30:31]
	v_cvt_f64_f32_e32 v[30:31], v33
	v_mul_f64 v[30:31], v[30:31], s[22:23]
	v_cmp_nge_f64_e32 vcc, v[28:29], v[30:31]
	s_and_b64 s[4:5], s[4:5], vcc
	s_and_saveexec_b64 s[24:25], s[4:5]
	s_xor_b64 s[4:5], exec, s[24:25]
	s_cbranch_execz .LBB208_61
; %bb.56:                               ;   in Loop: Header=BB208_5 Depth=1
	v_add_u32_e32 v30, v46, v4
	v_ashrrev_i32_e32 v31, 31, v30
	v_ashrrev_i32_e32 v5, 31, v4
	v_lshlrev_b64 v[34:35], 3, v[20:21]
	v_lshlrev_b64 v[26:27], 3, v[30:31]
	v_lshl_add_u64 v[52:53], v[4:5], 3, v[2:3]
	v_lshl_add_u64 v[54:55], s[12:13], 0, v[34:35]
	;; [unrolled: 1-line block ×3, first 2 shown]
	global_load_dwordx2 v[44:45], v[52:53], off
	global_load_dwordx2 v[56:57], v[42:43], off
	;; [unrolled: 1-line block ×3, first 2 shown]
	v_lshl_add_u64 v[32:33], s[12:13], 0, v[26:27]
	global_load_dwordx2 v[40:41], v[32:33], off
	v_xor_b32_e32 v28, 0x80000000, v7
	v_mov_b32_e32 v29, v6
	v_lshl_add_u64 v[62:63], v[20:21], 2, s[6:7]
	v_pk_mul_f32 v[20:21], v[12:13], v[28:29] op_sel:[1,0]
	v_pk_add_f32 v[60:61], v[14:15], 0 neg_lo:[1,1] neg_hi:[1,1]
	v_pk_fma_f32 v[20:21], v[6:7], v[12:13], v[20:21] op_sel_hi:[1,0,1]
	v_mov_b32_e32 v36, v11
	v_pk_add_f32 v[20:21], v[20:21], v[24:25] neg_lo:[0,1] neg_hi:[0,1]
	v_mov_b32_e32 v37, v16
	v_mul_f32_e32 v5, v21, v21
	v_fmac_f32_e32 v5, v20, v20
	v_fma_f32 v24, 0, v21, v20
	v_fma_f32 v21, v20, 0, -v21
	v_div_scale_f32 v20, s[24:25], v5, v5, 1.0
	v_rcp_f32_e32 v25, v20
	v_div_scale_f32 v51, vcc, 1.0, v5, 1.0
	v_pk_mov_b32 v[64:65], v[60:61], v[14:15] op_sel:[1,0]
	v_fma_f32 v66, -v20, v25, 1.0
	v_fmac_f32_e32 v25, v66, v25
	v_mul_f32_e32 v66, v51, v25
	v_fma_f32 v67, -v20, v66, v51
	v_fmac_f32_e32 v66, v67, v25
	v_fma_f32 v20, -v20, v66, v51
	v_pk_mov_b32 v[60:61], v[14:15], v[60:61] op_sel:[1,0]
	v_div_fmas_f32 v20, v20, v25, v66
	v_pk_mul_f32 v[60:61], v[36:37], v[60:61] op_sel:[1,0]
	v_div_fixup_f32 v5, v20, v5, 1.0
	v_pk_fma_f32 v[36:37], v[14:15], v[36:37], v[60:61] op_sel_hi:[1,0,1] neg_lo:[1,0,0] neg_hi:[1,0,0]
	v_mul_f32_e32 v20, v24, v5
	v_mul_f32_e32 v24, v21, v5
	v_xor_b32_e32 v60, 0x80000000, v37
	v_mov_b32_e32 v61, v36
	v_mov_b32_e32 v25, v24
	v_xor_b32_e32 v58, 0x80000000, v13
	v_mov_b32_e32 v59, v12
	v_mov_b32_e32 v21, v20
	v_pk_mul_f32 v[60:61], v[24:25], v[60:61] op_sel_hi:[0,1]
	v_lshl_add_u64 v[34:35], s[14:15], 0, v[34:35]
	v_pk_fma_f32 v[36:37], v[36:37], v[20:21], v[60:61] op_sel_hi:[1,0,1]
	global_store_dwordx2 v[34:35], v[36:37], off
	v_mov_b32_e32 v26, v6
	v_mov_b32_e32 v27, v6
	;; [unrolled: 1-line block ×4, first 2 shown]
	s_waitcnt vmcnt(4)
	v_pk_mul_f32 v[60:61], v[44:45], v[58:59] op_sel:[1,0]
	s_waitcnt vmcnt(3)
	v_pk_mul_f32 v[66:67], v[56:57], v[64:65] op_sel:[1,0]
	s_waitcnt vmcnt(2)
	v_pk_mul_f32 v[58:59], v[38:39], v[58:59] op_sel:[1,0]
	v_mov_b32_e32 v36, v45
	v_mov_b32_e32 v37, v45
	;; [unrolled: 1-line block ×4, first 2 shown]
	v_pk_fma_f32 v[60:61], v[12:13], v[44:45], v[60:61] op_sel_hi:[1,0,1]
	v_pk_fma_f32 v[58:59], v[12:13], v[38:39], v[58:59] op_sel_hi:[1,0,1]
	v_mov_b32_e32 v44, v57
	v_mov_b32_e32 v45, v57
	;; [unrolled: 1-line block ×4, first 2 shown]
	s_waitcnt vmcnt(1)
	v_pk_mul_f32 v[64:65], v[40:41], v[64:65] op_sel:[1,0]
	v_pk_fma_f32 v[56:57], v[14:15], v[56:57], v[66:67] op_sel_hi:[1,0,1]
	v_pk_fma_f32 v[14:15], v[14:15], v[40:41], v[64:65] op_sel_hi:[1,0,1]
	v_pk_add_f32 v[56:57], v[60:61], v[56:57] neg_lo:[0,1] neg_hi:[0,1]
	v_pk_add_f32 v[14:15], v[58:59], v[14:15] neg_lo:[0,1] neg_hi:[0,1]
	v_xor_b32_e32 v58, 0x80000000, v57
	v_mov_b32_e32 v59, v56
	v_xor_b32_e32 v60, 0x80000000, v15
	v_mov_b32_e32 v61, v14
	v_pk_mul_f32 v[58:59], v[24:25], v[58:59] op_sel_hi:[0,1]
	v_pk_mul_f32 v[60:61], v[24:25], v[60:61] op_sel_hi:[0,1]
	v_pk_fma_f32 v[56:57], v[56:57], v[20:21], v[58:59] op_sel_hi:[1,0,1]
	v_pk_fma_f32 v[14:15], v[14:15], v[20:21], v[60:61] op_sel_hi:[1,0,1]
	global_store_dwordx2 v[52:53], v[56:57], off
	global_store_dwordx2 v[54:55], v[14:15], off
	global_store_dword v[62:63], v48, off
	s_and_saveexec_b64 s[24:25], s[0:1]
	s_cbranch_execz .LBB208_58
; %bb.57:                               ;   in Loop: Header=BB208_5 Depth=1
	v_mov_b32_e32 v14, v39
	v_mov_b32_e32 v15, v39
	v_pk_mov_b32 v[54:55], v[8:9], v[22:23] op_sel:[1,0]
	v_mov_b32_e32 v39, v38
	v_mov_b32_e32 v52, v41
	;; [unrolled: 1-line block ×3, first 2 shown]
	v_pk_mul_f32 v[14:15], v[54:55], v[14:15]
	v_mov_b32_e32 v41, v40
	v_pk_fma_f32 v[14:15], v[8:9], v[38:39], v[14:15] neg_lo:[1,0,0] neg_hi:[1,0,0]
	v_pk_mul_f32 v[38:39], v[52:53], v[28:29]
	v_pk_mul_f32 v[56:57], v[54:55], v[36:37]
	v_pk_fma_f32 v[38:39], v[6:7], v[40:41], v[38:39]
	v_pk_mul_f32 v[58:59], v[44:45], v[28:29]
	v_pk_add_f32 v[14:15], v[14:15], v[38:39]
	v_pk_fma_f32 v[56:57], v[8:9], v[34:35], v[56:57] neg_lo:[1,0,0] neg_hi:[1,0,0]
	v_xor_b32_e32 v38, 0x80000000, v15
	v_mov_b32_e32 v39, v14
	v_pk_mul_f32 v[38:39], v[24:25], v[38:39]
	v_pk_fma_f32 v[58:59], v[6:7], v[12:13], v[58:59]
	v_pk_fma_f32 v[14:15], v[14:15], v[20:21], v[38:39]
	global_store_dwordx2 v[32:33], v[14:15], off
	v_pk_mul_f32 v[32:33], v[16:17], v[28:29]
	v_pk_add_f32 v[56:57], v[56:57], v[58:59]
	v_pk_fma_f32 v[32:33], v[6:7], v[10:11], v[32:33]
	v_xor_b32_e32 v58, 0x80000000, v57
	v_xor_b32_e32 v38, 0x80000000, v33
	v_mov_b32_e32 v39, v32
	v_mov_b32_e32 v59, v56
	v_pk_mul_f32 v[38:39], v[24:25], v[38:39]
	v_pk_mul_f32 v[58:59], v[24:25], v[58:59]
	v_lshl_add_u64 v[14:15], v[30:31], 3, s[14:15]
	v_pk_fma_f32 v[32:33], v[32:33], v[20:21], v[38:39]
	v_pk_fma_f32 v[56:57], v[56:57], v[20:21], v[58:59]
	global_store_dwordx2 v[14:15], v[32:33], off
	v_lshl_add_u64 v[14:15], v[30:31], 2, s[6:7]
	global_store_dwordx2 v[42:43], v[56:57], off
	global_store_dword v[14:15], v48, off
.LBB208_58:                             ;   in Loop: Header=BB208_5 Depth=1
	s_or_b64 exec, exec, s[24:25]
	v_mov_b32_e32 v51, v50
	v_mov_b64_e32 v[14:15], v[50:51]
	s_and_saveexec_b64 s[24:25], s[2:3]
	s_cbranch_execz .LBB208_60
; %bb.59:                               ;   in Loop: Header=BB208_5 Depth=1
	v_add_u32_e32 v14, v1, v4
	v_ashrrev_i32_e32 v15, 31, v14
	v_lshlrev_b64 v[14:15], 3, v[14:15]
	v_lshl_add_u64 v[30:31], s[10:11], 0, v[14:15]
	v_lshl_add_u64 v[14:15], s[18:19], 0, v[14:15]
	global_load_dwordx2 v[32:33], v[30:31], off
	v_mov_b32_e32 v38, v19
	global_load_dwordx2 v[14:15], v[14:15], off
	v_pk_mov_b32 v[22:23], v[8:9], v[22:23] op_sel:[1,0]
	v_xor_b32_e32 v40, 0x80000000, v19
	v_mov_b32_e32 v41, v18
	v_pk_mul_f32 v[22:23], v[38:39], v[22:23] op_sel_hi:[0,1]
	v_pk_mul_f32 v[28:29], v[38:39], v[28:29] op_sel_hi:[0,1]
	v_pk_mul_f32 v[38:39], v[6:7], v[40:41] op_sel:[1,0]
	v_pk_fma_f32 v[8:9], v[8:9], v[18:19], v[22:23] op_sel_hi:[1,0,1] neg_lo:[1,0,0] neg_hi:[1,0,0]
	v_pk_fma_f32 v[6:7], v[6:7], v[18:19], v[28:29] op_sel_hi:[1,0,1]
	v_pk_fma_f32 v[18:19], v[18:19], v[26:27], v[38:39]
	v_xor_b32_e32 v22, 0x80000000, v9
	v_mov_b32_e32 v23, v8
	v_xor_b32_e32 v26, 0x80000000, v7
	v_mov_b32_e32 v27, v6
	;; [unrolled: 2-line block ×3, first 2 shown]
	v_pk_mul_f32 v[22:23], v[24:25], v[22:23]
	v_pk_mul_f32 v[26:27], v[24:25], v[26:27]
	v_pk_mul_f32 v[16:17], v[16:17], v[28:29]
	v_pk_fma_f32 v[8:9], v[8:9], v[20:21], v[22:23]
	v_pk_fma_f32 v[6:7], v[6:7], v[20:21], v[26:27]
	;; [unrolled: 1-line block ×3, first 2 shown]
	v_pk_add_f32 v[16:17], v[8:9], 0 neg_lo:[1,1] neg_hi:[1,1]
	v_xor_b32_e32 v18, 0x80000000, v7
	v_mov_b32_e32 v19, v6
	v_pk_mov_b32 v[16:17], v[8:9], v[16:17] op_sel:[1,0]
	v_xor_b32_e32 v22, 0x80000000, v11
	v_mov_b32_e32 v23, v10
	v_pk_mul_f32 v[18:19], v[44:45], v[18:19]
	v_pk_mul_f32 v[16:17], v[16:17], v[36:37]
	;; [unrolled: 1-line block ×3, first 2 shown]
	v_pk_fma_f32 v[6:7], v[6:7], v[12:13], v[18:19]
	v_pk_fma_f32 v[8:9], v[8:9], v[34:35], v[16:17] neg_lo:[1,0,0] neg_hi:[1,0,0]
	v_pk_fma_f32 v[10:11], v[10:11], v[20:21], v[22:23]
	v_pk_add_f32 v[6:7], v[8:9], v[6:7] neg_lo:[0,1] neg_hi:[0,1]
	s_waitcnt vmcnt(0)
	v_pk_add_f32 v[14:15], v[14:15], v[10:11] neg_lo:[0,1] neg_hi:[0,1]
	v_pk_add_f32 v[6:7], v[6:7], v[32:33]
	global_store_dwordx2 v[30:31], v[6:7], off
.LBB208_60:                             ;   in Loop: Header=BB208_5 Depth=1
	s_or_b64 exec, exec, s[24:25]
	v_mov_b64_e32 v[6:7], v[14:15]
                                        ; implicit-def: $vgpr24_vgpr25
                                        ; implicit-def: $vgpr12_vgpr13
                                        ; implicit-def: $vgpr20_vgpr21
                                        ; implicit-def: $vgpr14_vgpr15
                                        ; implicit-def: $vgpr26_vgpr27
                                        ; implicit-def: $vgpr8_vgpr9
.LBB208_61:                             ;   in Loop: Header=BB208_5 Depth=1
	s_or_saveexec_b64 s[2:3], s[4:5]
	v_mov_b32_e32 v5, s33
	s_xor_b64 exec, exec, s[2:3]
	s_cbranch_execz .LBB208_4
; %bb.62:                               ;   in Loop: Header=BB208_5 Depth=1
	v_ashrrev_i32_e32 v5, 31, v4
	v_lshlrev_b64 v[16:17], 3, v[20:21]
	v_lshl_add_u64 v[18:19], v[4:5], 3, v[2:3]
	v_lshl_add_u64 v[22:23], s[12:13], 0, v[16:17]
	global_load_dwordx2 v[10:11], v[18:19], off
	global_load_dwordx2 v[28:29], v[22:23], off
	v_mul_f32_e32 v5, v7, v7
	v_fmac_f32_e32 v5, v6, v6
	v_fma_f32 v34, 0, v7, v6
	v_fma_f32 v7, v6, 0, -v7
	v_div_scale_f32 v6, s[4:5], v5, v5, 1.0
	v_lshl_add_u64 v[32:33], s[14:15], 0, v[16:17]
	v_rcp_f32_e32 v16, v6
	v_div_scale_f32 v17, vcc, 1.0, v5, 1.0
	v_pk_add_f32 v[30:31], v[14:15], 0 neg_lo:[1,1] neg_hi:[1,1]
	v_fma_f32 v35, -v6, v16, 1.0
	v_fmac_f32_e32 v16, v35, v16
	v_mul_f32_e32 v35, v17, v16
	v_fma_f32 v36, -v6, v35, v17
	v_fmac_f32_e32 v35, v36, v16
	v_fma_f32 v6, -v6, v35, v17
	v_div_fmas_f32 v6, v6, v16, v35
	v_div_fixup_f32 v5, v6, v5, 1.0
	v_pk_mov_b32 v[30:31], v[30:31], v[14:15] op_sel:[1,0]
	v_mul_f32_e32 v16, v7, v5
	v_mul_f32_e32 v6, v34, v5
	v_pk_mul_f32 v[30:31], v[16:17], v[30:31] op_sel_hi:[0,1]
	v_pk_fma_f32 v[14:15], v[14:15], v[6:7], v[30:31] op_sel_hi:[1,0,1]
	global_store_dwordx2 v[32:33], v[14:15], off
	v_lshl_add_u64 v[20:21], v[20:21], 2, s[6:7]
	s_waitcnt vmcnt(2)
	v_xor_b32_e32 v30, 0x80000000, v11
	v_mov_b32_e32 v31, v10
	s_waitcnt vmcnt(1)
	v_pk_mul_f32 v[32:33], v[16:17], v[28:29] op_sel:[0,1] op_sel_hi:[0,0] neg_lo:[0,1]
	v_mov_b32_e32 v14, v10
	v_mov_b32_e32 v15, v10
	v_pk_mul_f32 v[30:31], v[16:17], v[30:31] op_sel_hi:[0,1]
	v_pk_fma_f32 v[28:29], v[28:29], v[6:7], v[32:33] op_sel_hi:[1,0,1]
	v_pk_fma_f32 v[30:31], v[10:11], v[6:7], v[30:31] op_sel_hi:[1,0,1]
	global_store_dwordx2 v[22:23], v[28:29], off
	global_store_dwordx2 v[18:19], v[30:31], off
	global_store_dword v[20:21], v49, off
	s_and_saveexec_b64 s[4:5], s[0:1]
	s_cbranch_execz .LBB208_3
; %bb.63:                               ;   in Loop: Header=BB208_5 Depth=1
	v_add_u32_e32 v18, v46, v4
	v_ashrrev_i32_e32 v19, 31, v18
	v_lshl_add_u64 v[18:19], v[18:19], 3, s[10:11]
	global_load_dwordx2 v[20:21], v[18:19], off
	v_mov_b32_e32 v17, v16
	v_mov_b32_e32 v7, v6
	v_pk_mul_f32 v[22:23], v[16:17], v[26:27]
	s_nop 0
	v_pk_fma_f32 v[8:9], v[8:9], v[6:7], v[22:23]
	s_nop 0
	v_pk_add_f32 v[22:23], v[8:9], 0 neg_lo:[1,1] neg_hi:[1,1]
	s_nop 0
	v_pk_mov_b32 v[22:23], v[8:9], v[22:23] op_sel:[1,0]
	s_nop 0
	v_pk_mul_f32 v[10:11], v[22:23], v[10:11] op_sel:[0,1]
	s_nop 0
	v_pk_fma_f32 v[8:9], v[8:9], v[14:15], v[10:11] neg_lo:[1,0,0] neg_hi:[1,0,0]
	s_waitcnt vmcnt(0)
	v_pk_add_f32 v[8:9], v[8:9], v[20:21]
	global_store_dwordx2 v[18:19], v[8:9], off
	s_branch .LBB208_3
.LBB208_64:
	s_or_b64 exec, exec, s[20:21]
.LBB208_65:
	v_subrev_u32_e32 v1, s28, v4
	v_add_u32_e32 v4, v1, v0
	v_ashrrev_i32_e32 v5, 31, v4
	s_waitcnt lgkmcnt(0)
	v_lshl_add_u64 v[4:5], v[4:5], 2, s[6:7]
	buffer_wbl2 sc1
	s_waitcnt vmcnt(0)
	buffer_inv sc1
	global_load_dword v4, v[4:5], off
	s_waitcnt vmcnt(0)
	v_mul_lo_u32 v4, v4, s28
	v_sub_u32_e32 v4, v1, v4
	v_cmp_lt_i32_e32 vcc, -1, v4
	s_and_b64 exec, exec, vcc
	s_cbranch_execz .LBB208_72
; %bb.66:
	v_subrev_u32_e32 v1, s28, v0
	s_lshl_b32 s4, s28, 1
	s_mov_b64 s[0:1], 0
	s_branch .LBB208_68
.LBB208_67:                             ;   in Loop: Header=BB208_68 Depth=1
	s_or_b64 exec, exec, s[2:3]
	v_lshl_add_u64 v[6:7], v[6:7], 3, s[12:13]
	global_load_dwordx2 v[8:9], v[6:7], off
	v_sub_u32_e32 v4, v4, v5
	v_cmp_gt_i32_e32 vcc, 0, v4
	s_or_b64 s[0:1], vcc, s[0:1]
	s_waitcnt vmcnt(0)
	v_pk_add_f32 v[8:9], v[8:9], v[10:11]
	global_store_dwordx2 v[6:7], v[8:9], off
	s_andn2_b64 exec, exec, s[0:1]
	s_cbranch_execz .LBB208_72
.LBB208_68:                             ; =>This Inner Loop Header: Depth=1
	v_add_u32_e32 v6, v4, v0
	v_ashrrev_i32_e32 v7, 31, v6
	v_lshl_add_u64 v[8:9], v[6:7], 2, s[6:7]
	global_load_dword v5, v[8:9], off
	v_lshl_add_u64 v[8:9], v[6:7], 3, s[14:15]
	global_load_dwordx2 v[8:9], v[8:9], off
                                        ; implicit-def: $vgpr10_vgpr11
	s_waitcnt vmcnt(1)
	v_cmp_ne_u32_e32 vcc, 1, v5
	s_and_saveexec_b64 s[2:3], vcc
	s_xor_b64 s[2:3], exec, s[2:3]
	s_cbranch_execz .LBB208_70
; %bb.69:                               ;   in Loop: Header=BB208_68 Depth=1
	v_add_u32_e32 v10, v46, v4
	v_ashrrev_i32_e32 v11, 31, v10
	v_lshlrev_b64 v[10:11], 3, v[10:11]
	v_lshl_add_u64 v[12:13], s[10:11], 0, v[10:11]
	global_load_dwordx2 v[14:15], v[12:13], off
	v_ashrrev_i32_e32 v5, 31, v4
	v_lshl_add_u64 v[10:11], s[12:13], 0, v[10:11]
	global_load_dwordx2 v[16:17], v[10:11], off
	v_lshl_add_u64 v[18:19], v[4:5], 3, v[2:3]
	global_load_dwordx2 v[20:21], v[18:19], off
	;; [unrolled: 2-line block ×3, first 2 shown]
	v_add_u32_e32 v24, v1, v4
	s_waitcnt vmcnt(4)
	v_pk_add_f32 v[26:27], v[8:9], 0 neg_lo:[1,1] neg_hi:[1,1]
	v_ashrrev_i32_e32 v25, 31, v24
	v_pk_mov_b32 v[26:27], v[8:9], v[26:27] op_sel:[1,0]
	v_lshlrev_b64 v[28:29], 3, v[24:25]
	v_lshl_add_u64 v[30:31], s[14:15], 0, v[28:29]
	global_load_dwordx2 v[30:31], v[30:31], off
	s_waitcnt vmcnt(4)
	v_pk_mul_f32 v[32:33], v[26:27], v[14:15] op_sel:[0,1]
	s_nop 0
	v_pk_fma_f32 v[14:15], v[8:9], v[14:15], v[32:33] op_sel_hi:[1,0,1] neg_lo:[1,0,0] neg_hi:[1,0,0]
	s_waitcnt vmcnt(3)
	v_pk_mul_f32 v[26:27], v[26:27], v[16:17] op_sel:[0,1]
	s_nop 0
	v_pk_fma_f32 v[8:9], v[8:9], v[16:17], v[26:27] op_sel_hi:[1,0,1] neg_lo:[1,0,0] neg_hi:[1,0,0]
	s_waitcnt vmcnt(2)
	v_pk_add_f32 v[14:15], v[20:21], v[14:15]
	s_waitcnt vmcnt(1)
	v_pk_add_f32 v[8:9], v[22:23], v[8:9]
	global_store_dwordx2 v[18:19], v[14:15], off
	global_store_dwordx2 v[6:7], v[8:9], off
	global_load_dwordx2 v[6:7], v[12:13], off
	s_nop 0
	global_load_dwordx2 v[8:9], v[10:11], off
	v_lshl_add_u64 v[12:13], s[10:11], 0, v[28:29]
	global_load_dwordx2 v[14:15], v[12:13], off
	s_waitcnt vmcnt(5)
	v_pk_add_f32 v[10:11], v[30:31], 0 neg_lo:[1,1] neg_hi:[1,1]
	s_nop 0
	v_pk_mov_b32 v[10:11], v[30:31], v[10:11] op_sel:[1,0]
	s_waitcnt vmcnt(2)
	v_pk_mul_f32 v[16:17], v[10:11], v[6:7] op_sel:[0,1]
	s_nop 0
	v_pk_fma_f32 v[6:7], v[30:31], v[6:7], v[16:17] op_sel_hi:[1,0,1] neg_lo:[1,0,0] neg_hi:[1,0,0]
	s_waitcnt vmcnt(1)
	v_pk_mul_f32 v[10:11], v[8:9], v[10:11] op_sel:[1,0]
	s_waitcnt vmcnt(0)
	v_pk_add_f32 v[6:7], v[14:15], v[6:7]
	v_pk_fma_f32 v[10:11], v[30:31], v[8:9], v[10:11] op_sel_hi:[1,0,1] neg_lo:[1,0,0] neg_hi:[1,0,0]
	global_store_dwordx2 v[12:13], v[6:7], off
	v_mov_b64_e32 v[6:7], v[24:25]
                                        ; implicit-def: $vgpr8_vgpr9
.LBB208_70:                             ;   in Loop: Header=BB208_68 Depth=1
	s_or_saveexec_b64 s[2:3], s[2:3]
	v_mov_b32_e32 v5, s4
	s_xor_b64 exec, exec, s[2:3]
	s_cbranch_execz .LBB208_67
; %bb.71:                               ;   in Loop: Header=BB208_68 Depth=1
	v_add_u32_e32 v10, v46, v4
	v_ashrrev_i32_e32 v11, 31, v10
	v_lshlrev_b64 v[10:11], 3, v[10:11]
	v_lshl_add_u64 v[12:13], s[10:11], 0, v[10:11]
	global_load_dwordx2 v[12:13], v[12:13], off
	v_lshl_add_u64 v[10:11], s[12:13], 0, v[10:11]
	v_ashrrev_i32_e32 v5, 31, v4
	global_load_dwordx2 v[10:11], v[10:11], off
	v_lshl_add_u64 v[14:15], v[4:5], 3, v[2:3]
	global_load_dwordx2 v[16:17], v[14:15], off
	s_waitcnt vmcnt(3)
	v_pk_add_f32 v[18:19], v[8:9], 0 neg_lo:[1,1] neg_hi:[1,1]
	v_mov_b32_e32 v5, s28
	v_pk_mov_b32 v[18:19], v[8:9], v[18:19] op_sel:[1,0]
	s_waitcnt vmcnt(2)
	v_pk_mul_f32 v[20:21], v[18:19], v[12:13] op_sel:[0,1]
	s_nop 0
	v_pk_fma_f32 v[12:13], v[8:9], v[12:13], v[20:21] op_sel_hi:[1,0,1] neg_lo:[1,0,0] neg_hi:[1,0,0]
	s_waitcnt vmcnt(1)
	v_pk_mul_f32 v[18:19], v[18:19], v[10:11] op_sel:[0,1]
	s_nop 0
	v_pk_fma_f32 v[10:11], v[8:9], v[10:11], v[18:19] op_sel_hi:[1,0,1] neg_lo:[1,0,0] neg_hi:[1,0,0]
	s_waitcnt vmcnt(0)
	v_pk_add_f32 v[8:9], v[16:17], v[12:13]
	global_store_dwordx2 v[14:15], v[8:9], off
	s_branch .LBB208_67
.LBB208_72:
	s_endpgm
	.section	.rodata,"a",@progbits
	.p2align	6, 0x0
	.amdhsa_kernel _ZN9rocsparseL18gtsv_LBM_wv_kernelILj256ELj8E21rocsparse_complex_numIfEEEviiiPKT1_S5_S5_PS3_S6_S6_Pi
		.amdhsa_group_segment_fixed_size 0
		.amdhsa_private_segment_fixed_size 0
		.amdhsa_kernarg_size 72
		.amdhsa_user_sgpr_count 2
		.amdhsa_user_sgpr_dispatch_ptr 0
		.amdhsa_user_sgpr_queue_ptr 0
		.amdhsa_user_sgpr_kernarg_segment_ptr 1
		.amdhsa_user_sgpr_dispatch_id 0
		.amdhsa_user_sgpr_kernarg_preload_length 0
		.amdhsa_user_sgpr_kernarg_preload_offset 0
		.amdhsa_user_sgpr_private_segment_size 0
		.amdhsa_uses_dynamic_stack 0
		.amdhsa_enable_private_segment 0
		.amdhsa_system_sgpr_workgroup_id_x 1
		.amdhsa_system_sgpr_workgroup_id_y 0
		.amdhsa_system_sgpr_workgroup_id_z 0
		.amdhsa_system_sgpr_workgroup_info 0
		.amdhsa_system_vgpr_workitem_id 0
		.amdhsa_next_free_vgpr 68
		.amdhsa_next_free_sgpr 35
		.amdhsa_accum_offset 68
		.amdhsa_reserve_vcc 1
		.amdhsa_float_round_mode_32 0
		.amdhsa_float_round_mode_16_64 0
		.amdhsa_float_denorm_mode_32 3
		.amdhsa_float_denorm_mode_16_64 3
		.amdhsa_dx10_clamp 1
		.amdhsa_ieee_mode 1
		.amdhsa_fp16_overflow 0
		.amdhsa_tg_split 0
		.amdhsa_exception_fp_ieee_invalid_op 0
		.amdhsa_exception_fp_denorm_src 0
		.amdhsa_exception_fp_ieee_div_zero 0
		.amdhsa_exception_fp_ieee_overflow 0
		.amdhsa_exception_fp_ieee_underflow 0
		.amdhsa_exception_fp_ieee_inexact 0
		.amdhsa_exception_int_div_zero 0
	.end_amdhsa_kernel
	.section	.text._ZN9rocsparseL18gtsv_LBM_wv_kernelILj256ELj8E21rocsparse_complex_numIfEEEviiiPKT1_S5_S5_PS3_S6_S6_Pi,"axG",@progbits,_ZN9rocsparseL18gtsv_LBM_wv_kernelILj256ELj8E21rocsparse_complex_numIfEEEviiiPKT1_S5_S5_PS3_S6_S6_Pi,comdat
.Lfunc_end208:
	.size	_ZN9rocsparseL18gtsv_LBM_wv_kernelILj256ELj8E21rocsparse_complex_numIfEEEviiiPKT1_S5_S5_PS3_S6_S6_Pi, .Lfunc_end208-_ZN9rocsparseL18gtsv_LBM_wv_kernelILj256ELj8E21rocsparse_complex_numIfEEEviiiPKT1_S5_S5_PS3_S6_S6_Pi
                                        ; -- End function
	.set _ZN9rocsparseL18gtsv_LBM_wv_kernelILj256ELj8E21rocsparse_complex_numIfEEEviiiPKT1_S5_S5_PS3_S6_S6_Pi.num_vgpr, 68
	.set _ZN9rocsparseL18gtsv_LBM_wv_kernelILj256ELj8E21rocsparse_complex_numIfEEEviiiPKT1_S5_S5_PS3_S6_S6_Pi.num_agpr, 0
	.set _ZN9rocsparseL18gtsv_LBM_wv_kernelILj256ELj8E21rocsparse_complex_numIfEEEviiiPKT1_S5_S5_PS3_S6_S6_Pi.numbered_sgpr, 35
	.set _ZN9rocsparseL18gtsv_LBM_wv_kernelILj256ELj8E21rocsparse_complex_numIfEEEviiiPKT1_S5_S5_PS3_S6_S6_Pi.num_named_barrier, 0
	.set _ZN9rocsparseL18gtsv_LBM_wv_kernelILj256ELj8E21rocsparse_complex_numIfEEEviiiPKT1_S5_S5_PS3_S6_S6_Pi.private_seg_size, 0
	.set _ZN9rocsparseL18gtsv_LBM_wv_kernelILj256ELj8E21rocsparse_complex_numIfEEEviiiPKT1_S5_S5_PS3_S6_S6_Pi.uses_vcc, 1
	.set _ZN9rocsparseL18gtsv_LBM_wv_kernelILj256ELj8E21rocsparse_complex_numIfEEEviiiPKT1_S5_S5_PS3_S6_S6_Pi.uses_flat_scratch, 0
	.set _ZN9rocsparseL18gtsv_LBM_wv_kernelILj256ELj8E21rocsparse_complex_numIfEEEviiiPKT1_S5_S5_PS3_S6_S6_Pi.has_dyn_sized_stack, 0
	.set _ZN9rocsparseL18gtsv_LBM_wv_kernelILj256ELj8E21rocsparse_complex_numIfEEEviiiPKT1_S5_S5_PS3_S6_S6_Pi.has_recursion, 0
	.set _ZN9rocsparseL18gtsv_LBM_wv_kernelILj256ELj8E21rocsparse_complex_numIfEEEviiiPKT1_S5_S5_PS3_S6_S6_Pi.has_indirect_call, 0
	.section	.AMDGPU.csdata,"",@progbits
; Kernel info:
; codeLenInByte = 6480
; TotalNumSgprs: 41
; NumVgprs: 68
; NumAgprs: 0
; TotalNumVgprs: 68
; ScratchSize: 0
; MemoryBound: 0
; FloatMode: 240
; IeeeMode: 1
; LDSByteSize: 0 bytes/workgroup (compile time only)
; SGPRBlocks: 5
; VGPRBlocks: 8
; NumSGPRsForWavesPerEU: 41
; NumVGPRsForWavesPerEU: 68
; AccumOffset: 68
; Occupancy: 7
; WaveLimiterHint : 0
; COMPUTE_PGM_RSRC2:SCRATCH_EN: 0
; COMPUTE_PGM_RSRC2:USER_SGPR: 2
; COMPUTE_PGM_RSRC2:TRAP_HANDLER: 0
; COMPUTE_PGM_RSRC2:TGID_X_EN: 1
; COMPUTE_PGM_RSRC2:TGID_Y_EN: 0
; COMPUTE_PGM_RSRC2:TGID_Z_EN: 0
; COMPUTE_PGM_RSRC2:TIDIG_COMP_CNT: 0
; COMPUTE_PGM_RSRC3_GFX90A:ACCUM_OFFSET: 16
; COMPUTE_PGM_RSRC3_GFX90A:TG_SPLIT: 0
	.section	.text._ZN9rocsparseL19gtsv_LBM_rhs_kernelILj256ELj8ELj8E21rocsparse_complex_numIfEEEviiiPKT2_S5_S5_PS3_S5_PKi,"axG",@progbits,_ZN9rocsparseL19gtsv_LBM_rhs_kernelILj256ELj8ELj8E21rocsparse_complex_numIfEEEviiiPKT2_S5_S5_PS3_S5_PKi,comdat
	.globl	_ZN9rocsparseL19gtsv_LBM_rhs_kernelILj256ELj8ELj8E21rocsparse_complex_numIfEEEviiiPKT2_S5_S5_PS3_S5_PKi ; -- Begin function _ZN9rocsparseL19gtsv_LBM_rhs_kernelILj256ELj8ELj8E21rocsparse_complex_numIfEEEviiiPKT2_S5_S5_PS3_S5_PKi
	.p2align	8
	.type	_ZN9rocsparseL19gtsv_LBM_rhs_kernelILj256ELj8ELj8E21rocsparse_complex_numIfEEEviiiPKT2_S5_S5_PS3_S5_PKi,@function
_ZN9rocsparseL19gtsv_LBM_rhs_kernelILj256ELj8ELj8E21rocsparse_complex_numIfEEEviiiPKT2_S5_S5_PS3_S5_PKi: ; @_ZN9rocsparseL19gtsv_LBM_rhs_kernelILj256ELj8ELj8E21rocsparse_complex_numIfEEEviiiPKT2_S5_S5_PS3_S5_PKi
; %bb.0:
	s_load_dword s23, s[0:1], 0x0
	v_lshl_or_b32 v0, s2, 8, v0
	s_waitcnt lgkmcnt(0)
	s_lshr_b32 s22, s23, 3
	v_cmp_gt_i32_e32 vcc, s22, v0
	s_and_saveexec_b64 s[4:5], vcc
	s_cbranch_execz .LBB209_29
; %bb.1:
	s_load_dwordx4 s[8:11], s[0:1], 0x28
	s_load_dwordx2 s[6:7], s[0:1], 0x38
	s_cmp_lt_i32 s23, 1
	v_add_u32_e32 v92, s22, v0
	s_mul_i32 s24, s3, s23
	s_cbranch_scc1 .LBB209_21
; %bb.2:
	s_load_dwordx4 s[12:15], s[0:1], 0x10
	s_load_dwordx2 s[16:17], s[0:1], 0x20
	v_ashrrev_i32_e32 v1, 31, v0
	s_lshl_b32 s28, s24, 3
	s_add_i32 s29, s28, s23
	s_waitcnt lgkmcnt(0)
	v_lshl_add_u64 v[2:3], v[0:1], 3, s[14:15]
	global_load_dwordx2 v[4:5], v[2:3], off
	s_add_i32 s30, s29, s23
	s_add_i32 s31, s30, s23
	;; [unrolled: 1-line block ×5, first 2 shown]
	s_mul_i32 s25, s22, 7
	s_mul_i32 s26, s22, 6
	s_lshl_b32 s27, s22, 1
	v_add_u32_e32 v1, s22, v92
	s_add_i32 s36, s35, s23
	v_mov_b32_e32 v3, 0
	s_mov_b64 s[18:19], 0
	v_mov_b32_e32 v93, 0
	s_branch .LBB209_5
.LBB209_3:                              ;   in Loop: Header=BB209_5 Depth=1
	s_or_b64 exec, exec, s[4:5]
	v_mov_b32_e32 v19, v6
	v_pk_mul_f32 v[10:11], v[12:13], v[18:19] op_sel:[1,0]
	s_nop 0
	v_pk_fma_f32 v[6:7], v[6:7], v[12:13], v[10:11] op_sel_hi:[1,0,1]
	s_nop 0
	v_xor_b32_e32 v10, 0x80000000, v7
	v_mov_b32_e32 v11, v6
	v_pk_mul_f32 v[8:9], v[8:9], v[10:11] op_sel_hi:[0,1]
	v_pk_fma_f32 v[4:5], v[6:7], v[4:5], v[8:9] op_sel_hi:[1,0,1]
	v_mov_b32_e32 v8, s22
	v_pk_add_f32 v[4:5], v[14:15], v[4:5] neg_lo:[0,1] neg_hi:[0,1]
.LBB209_4:                              ;   in Loop: Header=BB209_5 Depth=1
	s_or_b64 exec, exec, s[2:3]
	v_add_u32_e32 v93, v8, v93
	v_cmp_le_i32_e32 vcc, s23, v93
	s_or_b64 s[18:19], vcc, s[18:19]
	s_andn2_b64 exec, exec, s[18:19]
	s_cbranch_execz .LBB209_20
.LBB209_5:                              ; =>This Inner Loop Header: Depth=1
	v_add_u32_e32 v16, v93, v0
	v_ashrrev_i32_e32 v17, 31, v16
	v_lshl_add_u64 v[6:7], v[16:17], 3, s[16:17]
	global_load_dwordx2 v[12:13], v[6:7], off
	v_cmp_gt_u32_e64 s[0:1], s25, v93
	v_mov_b32_e32 v6, 0
	v_mov_b32_e32 v7, 0
	s_and_saveexec_b64 s[2:3], s[0:1]
	s_cbranch_execz .LBB209_7
; %bb.6:                                ;   in Loop: Header=BB209_5 Depth=1
	v_add_u32_e32 v6, v92, v93
	v_ashrrev_i32_e32 v7, 31, v6
	v_lshl_add_u64 v[6:7], v[6:7], 3, s[12:13]
	global_load_dwordx2 v[6:7], v[6:7], off
.LBB209_7:                              ;   in Loop: Header=BB209_5 Depth=1
	s_or_b64 exec, exec, s[2:3]
	v_mov_b32_e32 v8, 0
	v_mov_b32_e32 v14, 0
	;; [unrolled: 1-line block ×3, first 2 shown]
	s_and_saveexec_b64 s[2:3], s[0:1]
	s_cbranch_execz .LBB209_9
; %bb.8:                                ;   in Loop: Header=BB209_5 Depth=1
	v_add_u32_e32 v10, v92, v93
	v_ashrrev_i32_e32 v11, 31, v10
	v_lshl_add_u64 v[10:11], v[10:11], 3, s[14:15]
	global_load_dwordx2 v[14:15], v[10:11], off
.LBB209_9:                              ;   in Loop: Header=BB209_5 Depth=1
	s_or_b64 exec, exec, s[2:3]
	v_mov_b32_e32 v9, 0
	s_and_saveexec_b64 s[2:3], s[0:1]
	s_cbranch_execz .LBB209_11
; %bb.10:                               ;   in Loop: Header=BB209_5 Depth=1
	v_add_u32_e32 v8, v92, v93
	v_ashrrev_i32_e32 v9, 31, v8
	v_lshl_add_u64 v[8:9], v[8:9], 3, s[16:17]
	global_load_dwordx2 v[8:9], v[8:9], off
.LBB209_11:                             ;   in Loop: Header=BB209_5 Depth=1
	s_or_b64 exec, exec, s[2:3]
	v_cmp_gt_u32_e64 s[2:3], s26, v93
	v_mov_b32_e32 v10, 0
	v_mov_b32_e32 v11, 0
	s_and_saveexec_b64 s[4:5], s[2:3]
	s_cbranch_execz .LBB209_13
; %bb.12:                               ;   in Loop: Header=BB209_5 Depth=1
	v_add_u32_e32 v10, v1, v93
	v_ashrrev_i32_e32 v11, 31, v10
	v_lshl_add_u64 v[10:11], v[10:11], 3, s[12:13]
	global_load_dwordx2 v[10:11], v[10:11], off
.LBB209_13:                             ;   in Loop: Header=BB209_5 Depth=1
	s_or_b64 exec, exec, s[4:5]
	v_lshl_add_u64 v[18:19], v[16:17], 2, s[6:7]
	global_load_dword v17, v[18:19], off
	v_cmp_ne_u32_e32 vcc, s25, v93
	v_add_u32_e32 v2, s28, v16
	v_add_u32_e32 v38, s29, v16
	;; [unrolled: 1-line block ×8, first 2 shown]
	s_waitcnt vmcnt(1)
	v_xor_b32_e32 v18, 0x80000000, v7
	s_waitcnt vmcnt(0)
	v_cmp_ne_u32_e64 s[4:5], 1, v17
	s_and_b64 s[4:5], vcc, s[4:5]
	s_and_saveexec_b64 s[20:21], s[4:5]
	s_xor_b64 s[4:5], exec, s[20:21]
	s_cbranch_execz .LBB209_17
; %bb.14:                               ;   in Loop: Header=BB209_5 Depth=1
	v_add_u32_e32 v46, v92, v93
	v_lshl_add_u64 v[30:31], v[2:3], 3, s[8:9]
	v_add_u32_e32 v2, s28, v46
	v_mov_b32_e32 v39, v3
	v_mov_b32_e32 v35, v3
	v_lshl_add_u64 v[22:23], v[2:3], 3, s[8:9]
	v_lshl_add_u64 v[38:39], v[38:39], 3, s[8:9]
	;; [unrolled: 1-line block ×3, first 2 shown]
	global_load_dwordx2 v[36:37], v[30:31], off
	global_load_dwordx2 v[42:43], v[38:39], off
	;; [unrolled: 1-line block ×4, first 2 shown]
	v_add_u32_e32 v2, s29, v46
	v_lshl_add_u64 v[90:91], v[2:3], 3, s[8:9]
	v_xor_b32_e32 v16, 0x80000000, v5
	v_mov_b32_e32 v33, v3
	v_mov_b32_e32 v17, v4
	;; [unrolled: 1-line block ×3, first 2 shown]
	global_load_dwordx2 v[44:45], v[90:91], off
	v_mov_b32_e32 v21, v3
	v_lshl_add_u64 v[48:49], v[32:33], 3, s[8:9]
	v_pk_mul_f32 v[32:33], v[14:15], v[16:17] op_sel:[1,0]
	v_pk_mul_f32 v[18:19], v[12:13], v[18:19] op_sel:[1,0]
	v_add_u32_e32 v2, s30, v46
	v_lshl_add_u64 v[96:97], v[2:3], 3, s[8:9]
	v_lshl_add_u64 v[98:99], v[20:21], 3, s[8:9]
	v_pk_fma_f32 v[20:21], v[4:5], v[14:15], v[32:33] op_sel_hi:[1,0,1]
	v_pk_fma_f32 v[18:19], v[6:7], v[12:13], v[18:19] op_sel_hi:[1,0,1]
	global_load_dwordx2 v[54:55], v[96:97], off
	v_pk_add_f32 v[18:19], v[20:21], v[18:19] neg_lo:[0,1] neg_hi:[0,1]
	v_add_u32_e32 v2, s31, v46
	v_mul_f32_e32 v20, v19, v19
	v_mov_b32_e32 v29, v3
	v_mov_b32_e32 v27, v3
	;; [unrolled: 1-line block ×3, first 2 shown]
	v_lshl_add_u64 v[102:103], v[2:3], 3, s[8:9]
	v_fmac_f32_e32 v20, v18, v18
	v_lshl_add_u64 v[28:29], v[28:29], 3, s[8:9]
	v_lshl_add_u64 v[26:27], v[26:27], 3, s[8:9]
	;; [unrolled: 1-line block ×3, first 2 shown]
	global_load_dwordx2 v[56:57], v[48:49], off
	global_load_dwordx2 v[58:59], v[28:29], off
	;; [unrolled: 1-line block ×5, first 2 shown]
	v_fma_f32 v21, 0, v19, v18
	v_fma_f32 v19, v18, 0, -v19
	v_add_u32_e32 v2, s33, v46
	v_div_scale_f32 v18, s[20:21], v20, v20, 1.0
	v_lshl_add_u64 v[104:105], v[2:3], 3, s[8:9]
	v_rcp_f32_e32 v33, v18
	global_load_dwordx2 v[80:81], v[104:105], off
	v_add_u32_e32 v2, s34, v46
	v_lshl_add_u64 v[106:107], v[2:3], 3, s[8:9]
	v_add_u32_e32 v2, s35, v46
	v_lshl_add_u64 v[108:109], v[2:3], 3, s[8:9]
	v_fma_f32 v2, -v18, v33, 1.0
	v_div_scale_f32 v32, vcc, 1.0, v20, 1.0
	global_load_dwordx2 v[110:111], v[106:107], off
	global_load_dwordx2 v[114:115], v[98:99], off
	v_fmac_f32_e32 v33, v2, v33
	v_mul_f32_e32 v2, v32, v33
	v_fma_f32 v47, -v18, v2, v32
	v_fmac_f32_e32 v2, v47, v33
	global_load_dwordx2 v[112:113], v[108:109], off
	v_fma_f32 v18, -v18, v2, v32
	v_div_fmas_f32 v2, v18, v33, v2
	v_div_fixup_f32 v2, v2, v20, 1.0
	v_mul_f32_e32 v18, v21, v2
	v_mul_f32_e32 v20, v19, v2
	v_add_u32_e32 v2, s36, v46
	v_lshl_add_u64 v[116:117], v[2:3], 3, s[8:9]
	global_load_dwordx2 v[118:119], v[116:117], off
	v_xor_b32_e32 v88, 0x80000000, v15
	v_mov_b32_e32 v89, v14
	v_xor_b32_e32 v94, 0x80000000, v13
	v_mov_b32_e32 v95, v12
	v_mov_b32_e32 v2, v3
	s_waitcnt vmcnt(15)
	v_mul_f32_e32 v78, v20, v36
	v_mul_f32_e64 v72, v20, -v37
	v_fmac_f32_e32 v78, v37, v18
	s_waitcnt vmcnt(12)
	v_mul_f32_e32 v86, v20, v40
	v_mul_f32_e64 v82, v20, -v41
	v_fmac_f32_e32 v86, v41, v18
	v_fmac_f32_e32 v72, v36, v18
	v_pk_mul_f32 v[32:33], v[78:79], v[88:89] op_sel_hi:[0,1]
	v_fmac_f32_e32 v82, v40, v18
	v_pk_mul_f32 v[36:37], v[86:87], v[94:95] op_sel_hi:[0,1]
	v_pk_fma_f32 v[32:33], v[14:15], v[72:73], v[32:33] op_sel_hi:[1,0,1]
	v_pk_fma_f32 v[36:37], v[12:13], v[82:83], v[36:37] op_sel_hi:[1,0,1]
	v_mul_f32_e32 v46, v20, v42
	s_waitcnt vmcnt(11)
	v_mul_f32_e32 v60, v20, v44
	v_pk_add_f32 v[32:33], v[32:33], v[36:37] neg_lo:[0,1] neg_hi:[0,1]
	v_mul_f32_e64 v36, v20, -v43
	v_fmac_f32_e32 v46, v43, v18
	v_mul_f32_e64 v50, v20, -v45
	v_fmac_f32_e32 v60, v45, v18
	global_store_dwordx2 v[30:31], v[32:33], off
	v_fmac_f32_e32 v36, v42, v18
	v_fmac_f32_e32 v50, v44, v18
	v_pk_mul_f32 v[30:31], v[46:47], v[88:89] op_sel_hi:[0,1]
	v_pk_mul_f32 v[32:33], v[60:61], v[94:95] op_sel_hi:[0,1]
	v_pk_fma_f32 v[30:31], v[14:15], v[36:37], v[30:31] op_sel_hi:[1,0,1]
	v_pk_fma_f32 v[32:33], v[12:13], v[50:51], v[32:33] op_sel_hi:[1,0,1]
	v_mul_f32_e32 v74, v20, v52
	s_waitcnt vmcnt(11)
	v_mul_f32_e32 v84, v20, v54
	v_pk_add_f32 v[30:31], v[30:31], v[32:33] neg_lo:[0,1] neg_hi:[0,1]
	v_mul_f32_e64 v64, v20, -v53
	v_fmac_f32_e32 v74, v53, v18
	v_mul_f32_e64 v76, v20, -v55
	v_fmac_f32_e32 v84, v55, v18
	global_store_dwordx2 v[38:39], v[30:31], off
	v_fmac_f32_e32 v64, v52, v18
	v_fmac_f32_e32 v76, v54, v18
	v_pk_mul_f32 v[30:31], v[74:75], v[88:89] op_sel_hi:[0,1]
	v_pk_mul_f32 v[32:33], v[84:85], v[94:95] op_sel_hi:[0,1]
	v_pk_fma_f32 v[30:31], v[14:15], v[64:65], v[30:31] op_sel_hi:[1,0,1]
	v_pk_fma_f32 v[32:33], v[12:13], v[76:77], v[32:33] op_sel_hi:[1,0,1]
	s_waitcnt vmcnt(11)
	v_mul_f32_e32 v42, v20, v56
	s_waitcnt vmcnt(7)
	v_mul_f32_e32 v52, v20, v66
	v_pk_add_f32 v[30:31], v[30:31], v[32:33] neg_lo:[0,1] neg_hi:[0,1]
	v_mul_f32_e64 v32, v20, -v57
	v_fmac_f32_e32 v42, v57, v18
	v_mul_f32_e64 v44, v20, -v67
	v_fmac_f32_e32 v52, v67, v18
	global_store_dwordx2 v[34:35], v[30:31], off
	v_fmac_f32_e32 v32, v56, v18
	v_fmac_f32_e32 v44, v66, v18
	v_pk_mul_f32 v[30:31], v[42:43], v[88:89] op_sel_hi:[0,1]
	v_pk_mul_f32 v[34:35], v[52:53], v[94:95] op_sel_hi:[0,1]
	s_waitcnt vmcnt(7)
	v_mul_f32_e64 v70, v20, -v81
	v_pk_fma_f32 v[30:31], v[14:15], v[32:33], v[30:31] op_sel_hi:[1,0,1]
	v_pk_fma_f32 v[34:35], v[12:13], v[44:45], v[34:35] op_sel_hi:[1,0,1]
	v_mul_f32_e32 v68, v20, v58
	v_fmac_f32_e32 v70, v80, v18
	v_mul_f32_e32 v80, v20, v80
	v_pk_add_f32 v[30:31], v[30:31], v[34:35] neg_lo:[0,1] neg_hi:[0,1]
	v_mul_f32_e64 v56, v20, -v59
	v_fmac_f32_e32 v68, v59, v18
	v_fmac_f32_e32 v80, v81, v18
	global_store_dwordx2 v[48:49], v[30:31], off
	v_fmac_f32_e32 v56, v58, v18
	v_pk_mul_f32 v[30:31], v[68:69], v[88:89] op_sel_hi:[0,1]
	v_pk_mul_f32 v[34:35], v[80:81], v[94:95] op_sel_hi:[0,1]
	v_pk_fma_f32 v[30:31], v[14:15], v[56:57], v[30:31] op_sel_hi:[1,0,1]
	v_pk_fma_f32 v[34:35], v[12:13], v[70:71], v[34:35] op_sel_hi:[1,0,1]
	v_mul_f32_e64 v54, v20, -v63
	v_mul_f32_e32 v58, v20, v62
	s_waitcnt vmcnt(7)
	v_mul_f32_e32 v66, v20, v110
	v_pk_add_f32 v[30:31], v[30:31], v[34:35] neg_lo:[0,1] neg_hi:[0,1]
	v_fmac_f32_e32 v54, v62, v18
	v_fmac_f32_e32 v58, v63, v18
	v_mul_f32_e64 v62, v20, -v111
	v_fmac_f32_e32 v66, v111, v18
	global_store_dwordx2 v[28:29], v[30:31], off
	v_fmac_f32_e32 v62, v110, v18
	v_pk_mul_f32 v[28:29], v[58:59], v[88:89] op_sel_hi:[0,1]
	v_pk_mul_f32 v[30:31], v[66:67], v[94:95] op_sel_hi:[0,1]
	v_pk_fma_f32 v[28:29], v[14:15], v[54:55], v[28:29] op_sel_hi:[1,0,1]
	v_pk_fma_f32 v[30:31], v[12:13], v[62:63], v[30:31] op_sel_hi:[1,0,1]
	v_mul_f32_e32 v38, v20, v100
	s_waitcnt vmcnt(6)
	v_mul_f32_e32 v48, v20, v112
	v_pk_add_f32 v[28:29], v[28:29], v[30:31] neg_lo:[0,1] neg_hi:[0,1]
	v_mul_f32_e64 v34, v20, -v101
	v_fmac_f32_e32 v38, v101, v18
	v_mul_f32_e64 v40, v20, -v113
	v_fmac_f32_e32 v48, v113, v18
	global_store_dwordx2 v[26:27], v[28:29], off
	v_fmac_f32_e32 v34, v100, v18
	v_fmac_f32_e32 v40, v112, v18
	v_pk_mul_f32 v[26:27], v[38:39], v[88:89] op_sel_hi:[0,1]
	v_pk_mul_f32 v[28:29], v[48:49], v[94:95] op_sel_hi:[0,1]
	v_pk_fma_f32 v[26:27], v[14:15], v[34:35], v[26:27] op_sel_hi:[1,0,1]
	v_pk_fma_f32 v[28:29], v[12:13], v[40:41], v[28:29] op_sel_hi:[1,0,1]
	s_waitcnt vmcnt(6)
	v_mul_f32_e32 v30, v20, v118
	v_pk_add_f32 v[26:27], v[26:27], v[28:29] neg_lo:[0,1] neg_hi:[0,1]
	global_store_dwordx2 v[24:25], v[26:27], off
	v_mul_f32_e32 v26, v20, v114
	v_mul_f32_e64 v24, v20, -v115
	v_fmac_f32_e32 v26, v115, v18
	v_fmac_f32_e32 v24, v114, v18
	v_mul_f32_e64 v28, v20, -v119
	v_fmac_f32_e32 v30, v119, v18
	v_pk_mul_f32 v[88:89], v[26:27], v[88:89] op_sel_hi:[0,1]
	v_fmac_f32_e32 v28, v118, v18
	v_pk_fma_f32 v[14:15], v[14:15], v[24:25], v[88:89] op_sel_hi:[1,0,1]
	v_pk_mul_f32 v[88:89], v[30:31], v[94:95] op_sel_hi:[0,1]
	v_pk_fma_f32 v[12:13], v[12:13], v[28:29], v[88:89] op_sel_hi:[1,0,1]
	v_pk_mul_f32 v[88:89], v[86:87], v[16:17] op_sel_hi:[0,1]
	v_pk_add_f32 v[12:13], v[14:15], v[12:13] neg_lo:[0,1] neg_hi:[0,1]
	global_store_dwordx2 v[98:99], v[12:13], off
	v_pk_add_f32 v[12:13], v[6:7], 0 neg_lo:[1,1] neg_hi:[1,1]
	v_pk_fma_f32 v[88:89], v[4:5], v[82:83], v[88:89] op_sel_hi:[1,0,1]
	v_pk_mov_b32 v[14:15], v[6:7], v[12:13] op_sel:[1,0]
	s_nop 0
	v_pk_mul_f32 v[12:13], v[14:15], v[78:79] op_sel_hi:[1,0]
	s_nop 0
	v_pk_fma_f32 v[12:13], v[6:7], v[72:73], v[12:13] op_sel_hi:[1,0,1] neg_lo:[1,0,0] neg_hi:[1,0,0]
	s_nop 0
	v_pk_add_f32 v[12:13], v[12:13], v[88:89]
	global_store_dwordx2 v[22:23], v[12:13], off
	v_pk_mul_f32 v[12:13], v[14:15], v[46:47] op_sel_hi:[1,0]
	v_pk_mul_f32 v[22:23], v[60:61], v[16:17] op_sel_hi:[0,1]
	v_pk_fma_f32 v[12:13], v[6:7], v[36:37], v[12:13] op_sel_hi:[1,0,1] neg_lo:[1,0,0] neg_hi:[1,0,0]
	v_pk_fma_f32 v[22:23], v[4:5], v[50:51], v[22:23] op_sel_hi:[1,0,1]
	s_nop 0
	v_pk_add_f32 v[12:13], v[12:13], v[22:23]
	global_store_dwordx2 v[90:91], v[12:13], off
	v_pk_mul_f32 v[12:13], v[14:15], v[74:75] op_sel_hi:[1,0]
	v_pk_mul_f32 v[22:23], v[84:85], v[16:17] op_sel_hi:[0,1]
	v_pk_fma_f32 v[12:13], v[6:7], v[64:65], v[12:13] op_sel_hi:[1,0,1] neg_lo:[1,0,0] neg_hi:[1,0,0]
	v_pk_fma_f32 v[22:23], v[4:5], v[76:77], v[22:23] op_sel_hi:[1,0,1]
	;; [unrolled: 7-line block ×7, first 2 shown]
	s_nop 0
	v_pk_add_f32 v[12:13], v[12:13], v[22:23]
	global_store_dwordx2 v[116:117], v[12:13], off
	v_mov_b32_e32 v12, v4
	v_mov_b32_e32 v13, v4
	v_mov_b64_e32 v[22:23], v[2:3]
	s_and_saveexec_b64 s[20:21], s[2:3]
	s_cbranch_execz .LBB209_16
; %bb.15:                               ;   in Loop: Header=BB209_5 Depth=1
	v_add_u32_e32 v22, v1, v93
	v_add_u32_e32 v2, s28, v22
	v_lshl_add_u64 v[88:89], v[2:3], 3, s[8:9]
	global_load_dwordx2 v[90:91], v[88:89], off
	v_mov_b32_e32 v2, v11
	v_pk_mul_f32 v[14:15], v[2:3], v[14:15] op_sel_hi:[0,1]
	v_pk_mul_f32 v[16:17], v[2:3], v[16:17] op_sel_hi:[0,1]
	v_pk_fma_f32 v[6:7], v[6:7], v[10:11], v[14:15] op_sel_hi:[1,0,1] neg_lo:[1,0,0] neg_hi:[1,0,0]
	v_pk_fma_f32 v[14:15], v[4:5], v[10:11], v[16:17] op_sel_hi:[1,0,1]
	v_mov_b32_e32 v87, v86
	v_xor_b32_e32 v16, 0x80000000, v15
	v_mov_b32_e32 v17, v14
	v_mov_b32_e32 v83, v82
	v_pk_mul_f32 v[86:87], v[86:87], v[16:17]
	v_mov_b32_e32 v79, v78
	v_pk_fma_f32 v[82:83], v[14:15], v[82:83], v[86:87]
	v_pk_add_f32 v[86:87], v[6:7], 0 neg_lo:[1,1] neg_hi:[1,1]
	v_mov_b32_e32 v73, v72
	v_pk_mov_b32 v[86:87], v[6:7], v[86:87] op_sel:[1,0]
	v_add_u32_e32 v2, s29, v22
	v_pk_mul_f32 v[78:79], v[86:87], v[78:79]
	v_mov_b32_e32 v47, v46
	v_pk_fma_f32 v[72:73], v[6:7], v[72:73], v[78:79] neg_lo:[1,0,0] neg_hi:[1,0,0]
	v_lshl_add_u64 v[78:79], v[2:3], 3, s[8:9]
	v_pk_add_f32 v[72:73], v[72:73], v[82:83] neg_lo:[0,1] neg_hi:[0,1]
	v_add_u32_e32 v2, s30, v22
	global_load_dwordx2 v[82:83], v[78:79], off
	v_mov_b32_e32 v61, v60
	v_mov_b32_e32 v37, v36
	;; [unrolled: 1-line block ×3, first 2 shown]
	v_pk_mul_f32 v[60:61], v[60:61], v[16:17]
	v_pk_mul_f32 v[46:47], v[86:87], v[46:47]
	v_mov_b32_e32 v75, v74
	v_mov_b32_e32 v85, v84
	v_pk_fma_f32 v[50:51], v[14:15], v[50:51], v[60:61]
	v_pk_fma_f32 v[36:37], v[6:7], v[36:37], v[46:47] neg_lo:[1,0,0] neg_hi:[1,0,0]
	v_mov_b32_e32 v65, v64
	v_mov_b32_e32 v77, v76
	v_pk_mul_f32 v[84:85], v[84:85], v[16:17]
	v_pk_mul_f32 v[60:61], v[86:87], v[74:75]
	v_pk_add_f32 v[36:37], v[36:37], v[50:51] neg_lo:[0,1] neg_hi:[0,1]
	v_pk_fma_f32 v[74:75], v[14:15], v[76:77], v[84:85]
	v_pk_fma_f32 v[46:47], v[6:7], v[64:65], v[60:61] neg_lo:[1,0,0] neg_hi:[1,0,0]
	v_mov_b32_e32 v43, v42
	v_pk_add_f32 v[46:47], v[46:47], v[74:75] neg_lo:[0,1] neg_hi:[0,1]
	v_mov_b32_e32 v53, v52
	v_mov_b32_e32 v33, v32
	;; [unrolled: 1-line block ×5, first 2 shown]
	v_pk_mul_f32 v[50:51], v[52:53], v[16:17]
	v_pk_mul_f32 v[42:43], v[86:87], v[42:43]
	v_mov_b32_e32 v57, v56
	v_mov_b32_e32 v71, v70
	v_pk_mul_f32 v[52:53], v[80:81], v[16:17]
	v_pk_fma_f32 v[44:45], v[14:15], v[44:45], v[50:51]
	v_pk_mul_f32 v[50:51], v[86:87], v[68:69]
	v_pk_fma_f32 v[32:33], v[6:7], v[32:33], v[42:43] neg_lo:[1,0,0] neg_hi:[1,0,0]
	v_pk_fma_f32 v[52:53], v[14:15], v[70:71], v[52:53]
	v_pk_fma_f32 v[42:43], v[6:7], v[56:57], v[50:51] neg_lo:[1,0,0] neg_hi:[1,0,0]
	v_pk_add_f32 v[32:33], v[32:33], v[44:45] neg_lo:[0,1] neg_hi:[0,1]
	v_pk_add_f32 v[42:43], v[42:43], v[52:53] neg_lo:[0,1] neg_hi:[0,1]
	v_mov_b32_e32 v59, v58
	v_mov_b32_e32 v67, v66
	;; [unrolled: 1-line block ×8, first 2 shown]
	v_pk_mul_f32 v[38:39], v[86:87], v[38:39]
	v_ashrrev_i32_e32 v23, 31, v22
	v_pk_fma_f32 v[34:35], v[6:7], v[34:35], v[38:39] neg_lo:[1,0,0] neg_hi:[1,0,0]
	v_mov_b32_e32 v27, v26
	v_mov_b32_e32 v31, v30
	;; [unrolled: 1-line block ×4, first 2 shown]
	s_waitcnt vmcnt(1)
	v_pk_add_f32 v[72:73], v[72:73], v[90:91]
	v_lshl_add_u64 v[90:91], v[2:3], 3, s[8:9]
	global_store_dwordx2 v[88:89], v[72:73], off
	global_load_dwordx2 v[72:73], v[90:91], off
	v_add_u32_e32 v2, s31, v22
	v_lshl_add_u64 v[88:89], v[2:3], 3, s[8:9]
	v_add_u32_e32 v2, s33, v22
	v_lshl_add_u64 v[76:77], v[2:3], 3, s[8:9]
	;; [unrolled: 2-line block ×3, first 2 shown]
	v_add_u32_e32 v2, s35, v22
	s_waitcnt vmcnt(2)
	v_pk_add_f32 v[36:37], v[36:37], v[82:83]
	global_store_dwordx2 v[78:79], v[36:37], off
	global_load_dwordx2 v[36:37], v[88:89], off
	s_waitcnt vmcnt(2)
	v_pk_add_f32 v[46:47], v[46:47], v[72:73]
	global_store_dwordx2 v[90:91], v[46:47], off
	global_load_dwordx2 v[46:47], v[76:77], off
	s_waitcnt vmcnt(2)
	v_pk_add_f32 v[32:33], v[32:33], v[36:37]
	global_store_dwordx2 v[88:89], v[32:33], off
	v_pk_mul_f32 v[36:37], v[66:67], v[16:17]
	s_waitcnt vmcnt(1)
	v_pk_add_f32 v[32:33], v[42:43], v[46:47]
	global_store_dwordx2 v[76:77], v[32:33], off
	global_load_dwordx2 v[32:33], v[50:51], off
	v_pk_mul_f32 v[42:43], v[86:87], v[58:59]
	v_pk_fma_f32 v[36:37], v[14:15], v[62:63], v[36:37]
	v_pk_fma_f32 v[42:43], v[6:7], v[54:55], v[42:43] neg_lo:[1,0,0] neg_hi:[1,0,0]
	s_nop 0
	v_pk_add_f32 v[36:37], v[42:43], v[36:37] neg_lo:[0,1] neg_hi:[0,1]
	v_lshl_add_u64 v[42:43], v[2:3], 3, s[8:9]
	v_add_u32_e32 v2, s36, v22
	v_lshl_add_u64 v[22:23], v[22:23], 3, s[14:15]
	global_load_dwordx2 v[22:23], v[22:23], off
	s_waitcnt vmcnt(1)
	v_pk_add_f32 v[32:33], v[36:37], v[32:33]
	global_store_dwordx2 v[50:51], v[32:33], off
	global_load_dwordx2 v[32:33], v[42:43], off
	v_pk_mul_f32 v[36:37], v[48:49], v[16:17]
	s_nop 0
	v_pk_fma_f32 v[36:37], v[14:15], v[40:41], v[36:37]
	s_nop 0
	v_pk_add_f32 v[34:35], v[34:35], v[36:37] neg_lo:[0,1] neg_hi:[0,1]
	v_lshl_add_u64 v[36:37], v[2:3], 3, s[8:9]
	v_mov_b32_e32 v2, v9
	s_waitcnt vmcnt(0)
	v_pk_add_f32 v[32:33], v[34:35], v[32:33]
	global_store_dwordx2 v[42:43], v[32:33], off
	global_load_dwordx2 v[32:33], v[36:37], off
	v_xor_b32_e32 v34, 0x80000000, v11
	v_mov_b32_e32 v35, v10
	v_pk_mul_f32 v[4:5], v[4:5], v[34:35] op_sel:[1,0]
	s_nop 0
	v_pk_fma_f32 v[4:5], v[10:11], v[12:13], v[4:5]
	v_pk_mul_f32 v[12:13], v[30:31], v[16:17]
	v_xor_b32_e32 v10, 0x80000000, v5
	v_mov_b32_e32 v11, v4
	v_pk_mul_f32 v[10:11], v[2:3], v[10:11] op_sel_hi:[0,1]
	v_pk_fma_f32 v[4:5], v[4:5], v[8:9], v[10:11] op_sel_hi:[1,0,1]
	v_pk_mul_f32 v[16:17], v[86:87], v[26:27]
	v_xor_b32_e32 v8, 0x80000000, v5
	v_mov_b32_e32 v9, v4
	v_pk_fma_f32 v[12:13], v[14:15], v[28:29], v[12:13]
	v_pk_fma_f32 v[6:7], v[6:7], v[24:25], v[16:17] neg_lo:[1,0,0] neg_hi:[1,0,0]
	v_pk_mul_f32 v[8:9], v[20:21], v[8:9] op_sel_hi:[0,1]
	v_pk_add_f32 v[6:7], v[6:7], v[12:13] neg_lo:[0,1] neg_hi:[0,1]
	v_pk_fma_f32 v[4:5], v[4:5], v[18:19], v[8:9] op_sel_hi:[1,0,1]
	s_waitcnt vmcnt(0)
	v_pk_add_f32 v[6:7], v[6:7], v[32:33]
	v_pk_add_f32 v[22:23], v[22:23], v[4:5] neg_lo:[0,1] neg_hi:[0,1]
	global_store_dwordx2 v[36:37], v[6:7], off
.LBB209_16:                             ;   in Loop: Header=BB209_5 Depth=1
	s_or_b64 exec, exec, s[20:21]
	v_mov_b64_e32 v[4:5], v[22:23]
                                        ; implicit-def: $vgpr12_vgpr13
                                        ; implicit-def: $vgpr6
                                        ; implicit-def: $vgpr14_vgpr15
                                        ; implicit-def: $vgpr38
                                        ; implicit-def: $vgpr34
                                        ; implicit-def: $vgpr32
                                        ; implicit-def: $vgpr28
                                        ; implicit-def: $vgpr26
                                        ; implicit-def: $vgpr24
                                        ; implicit-def: $vgpr20
                                        ; implicit-def: $vgpr18
.LBB209_17:                             ;   in Loop: Header=BB209_5 Depth=1
	s_or_saveexec_b64 s[2:3], s[4:5]
	v_mov_b32_e32 v8, s27
	s_xor_b64 exec, exec, s[2:3]
	s_cbranch_execz .LBB209_4
; %bb.18:                               ;   in Loop: Header=BB209_5 Depth=1
	v_mov_b32_e32 v29, v3
	v_lshl_add_u64 v[10:11], v[2:3], 3, s[8:9]
	v_mov_b32_e32 v39, v3
	v_mov_b32_e32 v35, v3
	;; [unrolled: 1-line block ×3, first 2 shown]
	v_lshl_add_u64 v[42:43], v[28:29], 3, s[8:9]
	v_mov_b32_e32 v27, v3
	v_mov_b32_e32 v25, v3
	;; [unrolled: 1-line block ×3, first 2 shown]
	v_lshl_add_u64 v[36:37], v[38:39], 3, s[8:9]
	v_lshl_add_u64 v[34:35], v[34:35], 3, s[8:9]
	;; [unrolled: 1-line block ×3, first 2 shown]
	global_load_dwordx2 v[16:17], v[10:11], off
	global_load_dwordx2 v[22:23], v[36:37], off
	;; [unrolled: 1-line block ×4, first 2 shown]
	v_lshl_add_u64 v[44:45], v[26:27], 3, s[8:9]
	v_lshl_add_u64 v[46:47], v[24:25], 3, s[8:9]
	;; [unrolled: 1-line block ×3, first 2 shown]
	global_load_dwordx2 v[20:21], v[42:43], off
	global_load_dwordx2 v[50:51], v[44:45], off
	;; [unrolled: 1-line block ×4, first 2 shown]
	v_mul_f32_e32 v2, v5, v5
	v_fmac_f32_e32 v2, v4, v4
	v_div_scale_f32 v9, s[4:5], v2, v2, 1.0
	v_rcp_f32_e32 v19, v9
	v_fma_f32 v8, 0, v5, v4
	v_fma_f32 v5, v4, 0, -v5
	v_div_scale_f32 v4, vcc, 1.0, v2, 1.0
	v_fma_f32 v24, -v9, v19, 1.0
	v_fmac_f32_e32 v19, v24, v19
	v_mul_f32_e32 v24, v4, v19
	v_fma_f32 v25, -v9, v24, v4
	v_fmac_f32_e32 v24, v25, v19
	v_fma_f32 v4, -v9, v24, v4
	v_div_fmas_f32 v4, v4, v19, v24
	v_div_fixup_f32 v2, v4, v2, 1.0
	v_mul_f32_e32 v4, v8, v2
	v_mul_f32_e32 v8, v5, v2
	s_waitcnt vmcnt(7)
	v_pk_mul_f32 v[24:25], v[8:9], v[16:17] op_sel:[0,1] op_sel_hi:[0,0] neg_lo:[0,1]
	v_pk_fma_f32 v[26:27], v[16:17], v[4:5], v[24:25] op_sel_hi:[1,0,1]
	s_waitcnt vmcnt(6)
	v_pk_mul_f32 v[16:17], v[8:9], v[22:23] op_sel:[0,1] op_sel_hi:[0,0] neg_lo:[0,1]
	s_waitcnt vmcnt(5)
	v_pk_mul_f32 v[24:25], v[8:9], v[38:39] op_sel:[0,1] op_sel_hi:[0,0] neg_lo:[0,1]
	;; [unrolled: 2-line block ×7, first 2 shown]
	global_store_dwordx2 v[10:11], v[26:27], off
	v_pk_fma_f32 v[30:31], v[22:23], v[4:5], v[16:17] op_sel_hi:[1,0,1]
	v_pk_fma_f32 v[28:29], v[38:39], v[4:5], v[24:25] op_sel_hi:[1,0,1]
	;; [unrolled: 1-line block ×7, first 2 shown]
	global_store_dwordx2 v[36:37], v[30:31], off
	global_store_dwordx2 v[34:35], v[28:29], off
	;; [unrolled: 1-line block ×7, first 2 shown]
	s_and_saveexec_b64 s[4:5], s[0:1]
	s_cbranch_execz .LBB209_3
; %bb.19:                               ;   in Loop: Header=BB209_5 Depth=1
	v_add_u32_e32 v5, v92, v93
	v_add_u32_e32 v2, s28, v5
	v_lshl_add_u64 v[32:33], v[2:3], 3, s[8:9]
	global_load_dwordx2 v[34:35], v[32:33], off
	v_add_u32_e32 v2, s29, v5
	v_xor_b32_e32 v36, 0x80000000, v6
	v_mov_b32_e32 v37, v18
	v_lshl_add_u64 v[40:41], v[2:3], 3, s[8:9]
	v_mov_b32_e32 v38, v7
	v_mov_b32_e32 v39, v36
	global_load_dwordx2 v[42:43], v[40:41], off
	v_add_u32_e32 v2, s30, v5
	v_lshl_add_u64 v[44:45], v[2:3], 3, s[8:9]
	v_add_u32_e32 v2, s31, v5
	s_waitcnt vmcnt(1)
	v_pk_fma_f32 v[34:35], v[36:37], v[26:27], v[34:35] op_sel_hi:[1,0,1]
	s_nop 0
	v_pk_fma_f32 v[26:27], v[38:39], v[26:27], v[34:35] op_sel:[0,1,0]
	global_store_dwordx2 v[32:33], v[26:27], off
	global_load_dwordx2 v[26:27], v[44:45], off
	v_lshl_add_u64 v[32:33], v[2:3], 3, s[8:9]
	v_add_u32_e32 v2, s33, v5
	v_lshl_add_u64 v[34:35], v[2:3], 3, s[8:9]
	s_waitcnt vmcnt(2)
	v_pk_fma_f32 v[42:43], v[36:37], v[30:31], v[42:43] op_sel_hi:[1,0,1]
	v_add_u32_e32 v2, s34, v5
	v_pk_fma_f32 v[30:31], v[38:39], v[30:31], v[42:43] op_sel:[0,1,0]
	global_store_dwordx2 v[40:41], v[30:31], off
	global_load_dwordx2 v[30:31], v[32:33], off
	s_waitcnt vmcnt(2)
	v_pk_fma_f32 v[26:27], v[36:37], v[28:29], v[26:27] op_sel_hi:[1,0,1]
	s_nop 0
	v_pk_fma_f32 v[26:27], v[38:39], v[28:29], v[26:27] op_sel:[0,1,0]
	global_store_dwordx2 v[44:45], v[26:27], off
	global_load_dwordx2 v[26:27], v[34:35], off
	v_lshl_add_u64 v[28:29], v[2:3], 3, s[8:9]
	v_add_u32_e32 v2, s35, v5
	s_waitcnt vmcnt(2)
	v_pk_fma_f32 v[30:31], v[36:37], v[24:25], v[30:31] op_sel_hi:[1,0,1]
	s_nop 0
	v_pk_fma_f32 v[24:25], v[38:39], v[24:25], v[30:31] op_sel:[0,1,0]
	global_store_dwordx2 v[32:33], v[24:25], off
	s_waitcnt vmcnt(1)
	v_pk_fma_f32 v[24:25], v[36:37], v[22:23], v[26:27] op_sel_hi:[1,0,1]
	s_nop 0
	v_pk_fma_f32 v[22:23], v[38:39], v[22:23], v[24:25] op_sel:[0,1,0]
	global_store_dwordx2 v[34:35], v[22:23], off
	global_load_dwordx2 v[22:23], v[28:29], off
	v_lshl_add_u64 v[24:25], v[2:3], 3, s[8:9]
	v_add_u32_e32 v2, s36, v5
	s_waitcnt vmcnt(0)
	v_pk_fma_f32 v[22:23], v[36:37], v[20:21], v[22:23] op_sel_hi:[1,0,1]
	s_nop 0
	v_pk_fma_f32 v[20:21], v[38:39], v[20:21], v[22:23] op_sel:[0,1,0]
	global_store_dwordx2 v[28:29], v[20:21], off
	global_load_dwordx2 v[20:21], v[24:25], off
	s_waitcnt vmcnt(0)
	v_pk_fma_f32 v[20:21], v[36:37], v[16:17], v[20:21] op_sel_hi:[1,0,1]
	s_nop 0
	v_pk_fma_f32 v[16:17], v[38:39], v[16:17], v[20:21] op_sel:[0,1,0]
	global_store_dwordx2 v[24:25], v[16:17], off
	v_lshl_add_u64 v[16:17], v[2:3], 3, s[8:9]
	global_load_dwordx2 v[20:21], v[16:17], off
	s_waitcnt vmcnt(0)
	v_pk_fma_f32 v[20:21], v[36:37], v[10:11], v[20:21] op_sel_hi:[1,0,1]
	s_nop 0
	v_pk_fma_f32 v[10:11], v[38:39], v[10:11], v[20:21] op_sel:[0,1,0]
	global_store_dwordx2 v[16:17], v[10:11], off
	s_branch .LBB209_3
.LBB209_20:
	s_or_b64 exec, exec, s[18:19]
	s_branch .LBB209_22
.LBB209_21:
	v_mov_b32_e32 v93, 0
.LBB209_22:
	v_subrev_u32_e32 v1, s22, v93
	v_add_u32_e32 v2, v1, v0
	v_ashrrev_i32_e32 v3, 31, v2
	s_waitcnt lgkmcnt(0)
	v_lshl_add_u64 v[2:3], v[2:3], 2, s[6:7]
	buffer_wbl2 sc1
	s_waitcnt vmcnt(0)
	buffer_inv sc1
	global_load_dword v2, v[2:3], off
	s_waitcnt vmcnt(0)
	v_mul_lo_u32 v2, v2, s22
	v_sub_u32_e32 v1, v1, v2
	v_cmp_lt_i32_e32 vcc, -1, v1
	s_and_b64 exec, exec, vcc
	s_cbranch_execz .LBB209_29
; %bb.23:
	s_lshl_b32 s4, s24, 3
	s_add_i32 s5, s4, s23
	s_add_i32 s12, s5, s23
	;; [unrolled: 1-line block ×7, first 2 shown]
	s_lshl_b32 s18, s22, 1
	s_mov_b64 s[0:1], 0
	v_mov_b32_e32 v3, 0
	s_branch .LBB209_25
.LBB209_24:                             ;   in Loop: Header=BB209_25 Depth=1
	s_or_b64 exec, exec, s[2:3]
	v_sub_u32_e32 v1, v1, v2
	v_cmp_gt_i32_e32 vcc, 0, v1
	s_or_b64 s[0:1], vcc, s[0:1]
	s_andn2_b64 exec, exec, s[0:1]
	s_cbranch_execz .LBB209_29
.LBB209_25:                             ; =>This Inner Loop Header: Depth=1
	v_add_u32_e32 v4, v1, v0
	v_ashrrev_i32_e32 v5, 31, v4
	s_waitcnt vmcnt(0)
	v_lshl_add_u64 v[6:7], v[4:5], 2, s[6:7]
	global_load_dword v2, v[6:7], off
	v_lshl_add_u64 v[6:7], v[4:5], 3, s[10:11]
	global_load_dwordx2 v[6:7], v[6:7], off
	s_waitcnt vmcnt(1)
	v_cmp_ne_u32_e32 vcc, 1, v2
	s_and_saveexec_b64 s[2:3], vcc
	s_xor_b64 s[2:3], exec, s[2:3]
	s_cbranch_execz .LBB209_27
; %bb.26:                               ;   in Loop: Header=BB209_25 Depth=1
	v_add_u32_e32 v5, v92, v1
	v_add_u32_e32 v2, s4, v5
	v_lshl_add_u64 v[8:9], v[2:3], 3, s[8:9]
	v_add_u32_e32 v2, s5, v5
	v_lshl_add_u64 v[10:11], v[2:3], 3, s[8:9]
	;; [unrolled: 2-line block ×9, first 2 shown]
	global_load_dwordx2 v[8:9], v[8:9], off
	s_waitcnt vmcnt(1)
	v_pk_add_f32 v[28:29], v[6:7], 0 neg_lo:[1,1] neg_hi:[1,1]
	global_load_dwordx2 v[26:27], v[24:25], off
	v_xor_b32_e32 v31, 0x80000000, v7
	v_mov_b32_e32 v30, v28
	v_pk_mov_b32 v[6:7], v[6:7], v[28:29] op_sel:[1,0]
	global_load_dwordx2 v[28:29], v[10:11], off
	global_load_dwordx2 v[32:33], v[12:13], off
	;; [unrolled: 1-line block ×7, first 2 shown]
	v_add_u32_e32 v2, s5, v4
	v_lshl_add_u64 v[10:11], v[2:3], 3, s[8:9]
	v_add_u32_e32 v2, s12, v4
	v_lshl_add_u64 v[14:15], v[2:3], 3, s[8:9]
	v_add_u32_e32 v2, s13, v4
	s_waitcnt vmcnt(7)
	v_pk_fma_f32 v[12:13], v[30:31], v[8:9], v[26:27] op_sel_hi:[1,0,1]
	s_nop 0
	v_pk_fma_f32 v[12:13], v[6:7], v[8:9], v[12:13] op_sel:[0,1,0]
	global_store_dwordx2 v[24:25], v[12:13], off
	global_load_dwordx2 v[12:13], v[10:11], off
	s_waitcnt vmcnt(0)
	v_pk_fma_f32 v[12:13], v[30:31], v[28:29], v[12:13] op_sel_hi:[1,0,1]
	s_nop 0
	v_pk_fma_f32 v[12:13], v[6:7], v[28:29], v[12:13] op_sel:[0,1,0]
	global_store_dwordx2 v[10:11], v[12:13], off
	global_load_dwordx2 v[10:11], v[14:15], off
	v_lshl_add_u64 v[12:13], v[2:3], 3, s[8:9]
	v_add_u32_e32 v2, s14, v4
	s_waitcnt vmcnt(0)
	v_pk_fma_f32 v[10:11], v[30:31], v[32:33], v[10:11] op_sel_hi:[1,0,1]
	s_nop 0
	v_pk_fma_f32 v[10:11], v[6:7], v[32:33], v[10:11] op_sel:[0,1,0]
	global_store_dwordx2 v[14:15], v[10:11], off
	global_load_dwordx2 v[10:11], v[12:13], off
	v_lshl_add_u64 v[14:15], v[2:3], 3, s[8:9]
	v_add_u32_e32 v2, s15, v4
	;; [unrolled: 8-line block ×4, first 2 shown]
	v_lshl_add_u64 v[4:5], v[2:3], 3, s[8:9]
	v_subrev_u32_e32 v2, s22, v1
	s_waitcnt vmcnt(0)
	v_pk_fma_f32 v[10:11], v[30:31], v[38:39], v[10:11] op_sel_hi:[1,0,1]
	s_nop 0
	v_pk_fma_f32 v[10:11], v[6:7], v[38:39], v[10:11] op_sel:[0,1,0]
	global_store_dwordx2 v[12:13], v[10:11], off
	global_load_dwordx2 v[10:11], v[14:15], off
	v_add_u32_e32 v12, v2, v0
	v_ashrrev_i32_e32 v13, 31, v12
	v_add_u32_e32 v2, s4, v12
	v_lshl_add_u64 v[16:17], v[2:3], 3, s[8:9]
	v_add_u32_e32 v2, s5, v12
	s_waitcnt vmcnt(0)
	v_pk_fma_f32 v[10:11], v[30:31], v[40:41], v[10:11] op_sel_hi:[1,0,1]
	s_nop 0
	v_pk_fma_f32 v[10:11], v[6:7], v[40:41], v[10:11] op_sel:[0,1,0]
	global_store_dwordx2 v[14:15], v[10:11], off
	global_load_dwordx2 v[10:11], v[4:5], off
	v_lshl_add_u64 v[14:15], v[12:13], 3, s[10:11]
	global_load_dwordx2 v[14:15], v[14:15], off
	s_waitcnt vmcnt(1)
	v_pk_fma_f32 v[10:11], v[30:31], v[42:43], v[10:11] op_sel_hi:[1,0,1]
	s_nop 0
	v_pk_fma_f32 v[6:7], v[6:7], v[42:43], v[10:11] op_sel:[0,1,0]
	global_store_dwordx2 v[4:5], v[6:7], off
	global_load_dwordx2 v[4:5], v[16:17], off
	s_waitcnt vmcnt(2)
	v_pk_add_f32 v[10:11], v[14:15], 0 neg_lo:[1,1] neg_hi:[1,1]
	v_lshl_add_u64 v[6:7], v[2:3], 3, s[8:9]
	v_pk_mov_b32 v[10:11], v[14:15], v[10:11] op_sel:[1,0]
	v_add_u32_e32 v2, s12, v12
	s_waitcnt vmcnt(0)
	v_pk_fma_f32 v[4:5], v[14:15], v[8:9], v[4:5] op_sel_hi:[1,0,1] neg_lo:[1,0,0] neg_hi:[1,0,0]
	s_nop 0
	v_pk_fma_f32 v[4:5], v[10:11], v[8:9], v[4:5] op_sel:[0,1,0]
	global_store_dwordx2 v[16:17], v[4:5], off
	global_load_dwordx2 v[4:5], v[6:7], off
	v_lshl_add_u64 v[8:9], v[2:3], 3, s[8:9]
	v_add_u32_e32 v2, s13, v12
	s_waitcnt vmcnt(0)
	v_pk_fma_f32 v[4:5], v[14:15], v[28:29], v[4:5] op_sel_hi:[1,0,1] neg_lo:[1,0,0] neg_hi:[1,0,0]
	s_nop 0
	v_pk_fma_f32 v[4:5], v[10:11], v[28:29], v[4:5] op_sel:[0,1,0]
	global_store_dwordx2 v[6:7], v[4:5], off
	global_load_dwordx2 v[4:5], v[8:9], off
	v_lshl_add_u64 v[6:7], v[2:3], 3, s[8:9]
	;; [unrolled: 8-line block ×6, first 2 shown]
	s_waitcnt vmcnt(0)
	v_pk_fma_f32 v[4:5], v[14:15], v[40:41], v[4:5] op_sel_hi:[1,0,1] neg_lo:[1,0,0] neg_hi:[1,0,0]
	s_nop 0
	v_pk_fma_f32 v[4:5], v[10:11], v[40:41], v[4:5] op_sel:[0,1,0]
	global_store_dwordx2 v[8:9], v[4:5], off
	global_load_dwordx2 v[4:5], v[6:7], off
	s_waitcnt vmcnt(0)
	v_pk_fma_f32 v[4:5], v[14:15], v[42:43], v[4:5] op_sel_hi:[1,0,1] neg_lo:[1,0,0] neg_hi:[1,0,0]
	s_nop 0
	v_pk_fma_f32 v[4:5], v[10:11], v[42:43], v[4:5] op_sel:[0,1,0]
	global_store_dwordx2 v[6:7], v[4:5], off
                                        ; implicit-def: $vgpr4
                                        ; implicit-def: $vgpr6_vgpr7
.LBB209_27:                             ;   in Loop: Header=BB209_25 Depth=1
	s_or_saveexec_b64 s[2:3], s[2:3]
	v_mov_b32_e32 v2, s18
	s_xor_b64 exec, exec, s[2:3]
	s_cbranch_execz .LBB209_24
; %bb.28:                               ;   in Loop: Header=BB209_25 Depth=1
	v_add_u32_e32 v5, v92, v1
	v_add_u32_e32 v2, s4, v5
	v_lshl_add_u64 v[8:9], v[2:3], 3, s[8:9]
	v_add_u32_e32 v2, s4, v4
	v_lshl_add_u64 v[10:11], v[2:3], 3, s[8:9]
	global_load_dwordx2 v[12:13], v[8:9], off
	global_load_dwordx2 v[14:15], v[10:11], off
	s_waitcnt vmcnt(2)
	v_pk_add_f32 v[8:9], v[6:7], 0 neg_lo:[1,1] neg_hi:[1,1]
	v_xor_b32_e32 v17, 0x80000000, v7
	v_mov_b32_e32 v16, v8
	v_pk_mov_b32 v[8:9], v[6:7], v[8:9] op_sel:[1,0]
	v_add_u32_e32 v2, s5, v5
	v_lshl_add_u64 v[18:19], v[2:3], 3, s[8:9]
	v_add_u32_e32 v2, s5, v4
	v_lshl_add_u64 v[20:21], v[2:3], 3, s[8:9]
	v_add_u32_e32 v2, s12, v5
	s_waitcnt vmcnt(0)
	v_pk_fma_f32 v[14:15], v[16:17], v[12:13], v[14:15] op_sel_hi:[1,0,1]
	s_nop 0
	v_pk_fma_f32 v[12:13], v[8:9], v[12:13], v[14:15] op_sel:[0,1,0]
	global_store_dwordx2 v[10:11], v[12:13], off
	global_load_dwordx2 v[10:11], v[18:19], off
	s_nop 0
	global_load_dwordx2 v[12:13], v[20:21], off
	v_lshl_add_u64 v[14:15], v[2:3], 3, s[8:9]
	v_add_u32_e32 v2, s12, v4
	v_lshl_add_u64 v[18:19], v[2:3], 3, s[8:9]
	v_add_u32_e32 v2, s13, v5
	s_waitcnt vmcnt(0)
	v_pk_fma_f32 v[12:13], v[16:17], v[10:11], v[12:13] op_sel_hi:[1,0,1]
	s_nop 0
	v_pk_fma_f32 v[10:11], v[8:9], v[10:11], v[12:13] op_sel:[0,1,0]
	global_store_dwordx2 v[20:21], v[10:11], off
	global_load_dwordx2 v[10:11], v[14:15], off
	s_nop 0
	global_load_dwordx2 v[12:13], v[18:19], off
	;; [unrolled: 12-line block ×6, first 2 shown]
	v_lshl_add_u64 v[14:15], v[2:3], 3, s[8:9]
	v_add_u32_e32 v2, s17, v4
	v_lshl_add_u64 v[4:5], v[2:3], 3, s[8:9]
	v_mov_b32_e32 v2, s22
	s_waitcnt vmcnt(0)
	v_pk_fma_f32 v[12:13], v[16:17], v[10:11], v[12:13] op_sel_hi:[1,0,1]
	s_nop 0
	v_pk_fma_f32 v[10:11], v[8:9], v[10:11], v[12:13] op_sel:[0,1,0]
	global_store_dwordx2 v[18:19], v[10:11], off
	global_load_dwordx2 v[10:11], v[14:15], off
	s_nop 0
	global_load_dwordx2 v[12:13], v[4:5], off
	s_waitcnt vmcnt(0)
	v_pk_fma_f32 v[6:7], v[6:7], v[10:11], v[12:13] op_sel_hi:[1,0,1] neg_lo:[1,0,0] neg_hi:[1,0,0]
	s_nop 0
	v_pk_fma_f32 v[6:7], v[8:9], v[10:11], v[6:7] op_sel:[0,1,0]
	global_store_dwordx2 v[4:5], v[6:7], off
	s_branch .LBB209_24
.LBB209_29:
	s_endpgm
	.section	.rodata,"a",@progbits
	.p2align	6, 0x0
	.amdhsa_kernel _ZN9rocsparseL19gtsv_LBM_rhs_kernelILj256ELj8ELj8E21rocsparse_complex_numIfEEEviiiPKT2_S5_S5_PS3_S5_PKi
		.amdhsa_group_segment_fixed_size 0
		.amdhsa_private_segment_fixed_size 0
		.amdhsa_kernarg_size 64
		.amdhsa_user_sgpr_count 2
		.amdhsa_user_sgpr_dispatch_ptr 0
		.amdhsa_user_sgpr_queue_ptr 0
		.amdhsa_user_sgpr_kernarg_segment_ptr 1
		.amdhsa_user_sgpr_dispatch_id 0
		.amdhsa_user_sgpr_kernarg_preload_length 0
		.amdhsa_user_sgpr_kernarg_preload_offset 0
		.amdhsa_user_sgpr_private_segment_size 0
		.amdhsa_uses_dynamic_stack 0
		.amdhsa_enable_private_segment 0
		.amdhsa_system_sgpr_workgroup_id_x 1
		.amdhsa_system_sgpr_workgroup_id_y 1
		.amdhsa_system_sgpr_workgroup_id_z 0
		.amdhsa_system_sgpr_workgroup_info 0
		.amdhsa_system_vgpr_workitem_id 0
		.amdhsa_next_free_vgpr 120
		.amdhsa_next_free_sgpr 37
		.amdhsa_accum_offset 120
		.amdhsa_reserve_vcc 1
		.amdhsa_float_round_mode_32 0
		.amdhsa_float_round_mode_16_64 0
		.amdhsa_float_denorm_mode_32 3
		.amdhsa_float_denorm_mode_16_64 3
		.amdhsa_dx10_clamp 1
		.amdhsa_ieee_mode 1
		.amdhsa_fp16_overflow 0
		.amdhsa_tg_split 0
		.amdhsa_exception_fp_ieee_invalid_op 0
		.amdhsa_exception_fp_denorm_src 0
		.amdhsa_exception_fp_ieee_div_zero 0
		.amdhsa_exception_fp_ieee_overflow 0
		.amdhsa_exception_fp_ieee_underflow 0
		.amdhsa_exception_fp_ieee_inexact 0
		.amdhsa_exception_int_div_zero 0
	.end_amdhsa_kernel
	.section	.text._ZN9rocsparseL19gtsv_LBM_rhs_kernelILj256ELj8ELj8E21rocsparse_complex_numIfEEEviiiPKT2_S5_S5_PS3_S5_PKi,"axG",@progbits,_ZN9rocsparseL19gtsv_LBM_rhs_kernelILj256ELj8ELj8E21rocsparse_complex_numIfEEEviiiPKT2_S5_S5_PS3_S5_PKi,comdat
.Lfunc_end209:
	.size	_ZN9rocsparseL19gtsv_LBM_rhs_kernelILj256ELj8ELj8E21rocsparse_complex_numIfEEEviiiPKT2_S5_S5_PS3_S5_PKi, .Lfunc_end209-_ZN9rocsparseL19gtsv_LBM_rhs_kernelILj256ELj8ELj8E21rocsparse_complex_numIfEEEviiiPKT2_S5_S5_PS3_S5_PKi
                                        ; -- End function
	.set _ZN9rocsparseL19gtsv_LBM_rhs_kernelILj256ELj8ELj8E21rocsparse_complex_numIfEEEviiiPKT2_S5_S5_PS3_S5_PKi.num_vgpr, 120
	.set _ZN9rocsparseL19gtsv_LBM_rhs_kernelILj256ELj8ELj8E21rocsparse_complex_numIfEEEviiiPKT2_S5_S5_PS3_S5_PKi.num_agpr, 0
	.set _ZN9rocsparseL19gtsv_LBM_rhs_kernelILj256ELj8ELj8E21rocsparse_complex_numIfEEEviiiPKT2_S5_S5_PS3_S5_PKi.numbered_sgpr, 37
	.set _ZN9rocsparseL19gtsv_LBM_rhs_kernelILj256ELj8ELj8E21rocsparse_complex_numIfEEEviiiPKT2_S5_S5_PS3_S5_PKi.num_named_barrier, 0
	.set _ZN9rocsparseL19gtsv_LBM_rhs_kernelILj256ELj8ELj8E21rocsparse_complex_numIfEEEviiiPKT2_S5_S5_PS3_S5_PKi.private_seg_size, 0
	.set _ZN9rocsparseL19gtsv_LBM_rhs_kernelILj256ELj8ELj8E21rocsparse_complex_numIfEEEviiiPKT2_S5_S5_PS3_S5_PKi.uses_vcc, 1
	.set _ZN9rocsparseL19gtsv_LBM_rhs_kernelILj256ELj8ELj8E21rocsparse_complex_numIfEEEviiiPKT2_S5_S5_PS3_S5_PKi.uses_flat_scratch, 0
	.set _ZN9rocsparseL19gtsv_LBM_rhs_kernelILj256ELj8ELj8E21rocsparse_complex_numIfEEEviiiPKT2_S5_S5_PS3_S5_PKi.has_dyn_sized_stack, 0
	.set _ZN9rocsparseL19gtsv_LBM_rhs_kernelILj256ELj8ELj8E21rocsparse_complex_numIfEEEviiiPKT2_S5_S5_PS3_S5_PKi.has_recursion, 0
	.set _ZN9rocsparseL19gtsv_LBM_rhs_kernelILj256ELj8ELj8E21rocsparse_complex_numIfEEEviiiPKT2_S5_S5_PS3_S5_PKi.has_indirect_call, 0
	.section	.AMDGPU.csdata,"",@progbits
; Kernel info:
; codeLenInByte = 6184
; TotalNumSgprs: 43
; NumVgprs: 120
; NumAgprs: 0
; TotalNumVgprs: 120
; ScratchSize: 0
; MemoryBound: 0
; FloatMode: 240
; IeeeMode: 1
; LDSByteSize: 0 bytes/workgroup (compile time only)
; SGPRBlocks: 5
; VGPRBlocks: 14
; NumSGPRsForWavesPerEU: 43
; NumVGPRsForWavesPerEU: 120
; AccumOffset: 120
; Occupancy: 4
; WaveLimiterHint : 0
; COMPUTE_PGM_RSRC2:SCRATCH_EN: 0
; COMPUTE_PGM_RSRC2:USER_SGPR: 2
; COMPUTE_PGM_RSRC2:TRAP_HANDLER: 0
; COMPUTE_PGM_RSRC2:TGID_X_EN: 1
; COMPUTE_PGM_RSRC2:TGID_Y_EN: 1
; COMPUTE_PGM_RSRC2:TGID_Z_EN: 0
; COMPUTE_PGM_RSRC2:TIDIG_COMP_CNT: 0
; COMPUTE_PGM_RSRC3_GFX90A:ACCUM_OFFSET: 29
; COMPUTE_PGM_RSRC3_GFX90A:TG_SPLIT: 0
	.section	.text._ZN9rocsparseL19gtsv_LBM_rhs_kernelILj256ELj8ELj4E21rocsparse_complex_numIfEEEviiiPKT2_S5_S5_PS3_S5_PKi,"axG",@progbits,_ZN9rocsparseL19gtsv_LBM_rhs_kernelILj256ELj8ELj4E21rocsparse_complex_numIfEEEviiiPKT2_S5_S5_PS3_S5_PKi,comdat
	.globl	_ZN9rocsparseL19gtsv_LBM_rhs_kernelILj256ELj8ELj4E21rocsparse_complex_numIfEEEviiiPKT2_S5_S5_PS3_S5_PKi ; -- Begin function _ZN9rocsparseL19gtsv_LBM_rhs_kernelILj256ELj8ELj4E21rocsparse_complex_numIfEEEviiiPKT2_S5_S5_PS3_S5_PKi
	.p2align	8
	.type	_ZN9rocsparseL19gtsv_LBM_rhs_kernelILj256ELj8ELj4E21rocsparse_complex_numIfEEEviiiPKT2_S5_S5_PS3_S5_PKi,@function
_ZN9rocsparseL19gtsv_LBM_rhs_kernelILj256ELj8ELj4E21rocsparse_complex_numIfEEEviiiPKT2_S5_S5_PS3_S5_PKi: ; @_ZN9rocsparseL19gtsv_LBM_rhs_kernelILj256ELj8ELj4E21rocsparse_complex_numIfEEEviiiPKT2_S5_S5_PS3_S5_PKi
; %bb.0:
	s_load_dword s23, s[0:1], 0x0
	v_lshl_or_b32 v0, s2, 8, v0
	s_waitcnt lgkmcnt(0)
	s_lshr_b32 s22, s23, 3
	v_cmp_gt_i32_e32 vcc, s22, v0
	s_and_saveexec_b64 s[4:5], vcc
	s_cbranch_execz .LBB210_29
; %bb.1:
	s_load_dwordx4 s[8:11], s[0:1], 0x28
	s_load_dwordx2 s[6:7], s[0:1], 0x38
	s_cmp_lt_i32 s23, 1
	v_add_u32_e32 v56, s22, v0
	s_mul_i32 s24, s3, s23
	s_cbranch_scc1 .LBB210_21
; %bb.2:
	s_load_dwordx4 s[12:15], s[0:1], 0x10
	s_load_dwordx2 s[16:17], s[0:1], 0x20
	v_ashrrev_i32_e32 v1, 31, v0
	s_lshl_b32 s28, s24, 2
	s_add_i32 s29, s28, s23
	s_waitcnt lgkmcnt(0)
	v_lshl_add_u64 v[2:3], v[0:1], 3, s[14:15]
	global_load_dwordx2 v[4:5], v[2:3], off
	s_add_i32 s30, s29, s23
	s_mul_i32 s25, s22, 7
	s_mul_i32 s26, s22, 6
	s_lshl_b32 s27, s22, 1
	v_add_u32_e32 v57, s22, v56
	s_add_i32 s31, s30, s23
	v_mov_b32_e32 v3, 0
	s_mov_b64 s[18:19], 0
	v_mov_b32_e32 v1, 0
	s_branch .LBB210_5
.LBB210_3:                              ;   in Loop: Header=BB210_5 Depth=1
	s_or_b64 exec, exec, s[4:5]
	v_mov_b32_e32 v17, v6
	v_pk_mul_f32 v[14:15], v[8:9], v[16:17] op_sel:[1,0]
	s_nop 0
	v_pk_fma_f32 v[6:7], v[6:7], v[8:9], v[14:15] op_sel_hi:[1,0,1]
	s_nop 0
	v_xor_b32_e32 v8, 0x80000000, v7
	v_mov_b32_e32 v9, v6
	v_pk_mul_f32 v[8:9], v[10:11], v[8:9] op_sel_hi:[0,1]
	v_pk_fma_f32 v[4:5], v[6:7], v[4:5], v[8:9] op_sel_hi:[1,0,1]
	v_mov_b32_e32 v10, s22
	v_pk_add_f32 v[4:5], v[12:13], v[4:5] neg_lo:[0,1] neg_hi:[0,1]
.LBB210_4:                              ;   in Loop: Header=BB210_5 Depth=1
	s_or_b64 exec, exec, s[2:3]
	v_add_u32_e32 v1, v10, v1
	v_cmp_le_i32_e32 vcc, s23, v1
	s_or_b64 s[18:19], vcc, s[18:19]
	s_andn2_b64 exec, exec, s[18:19]
	s_cbranch_execz .LBB210_20
.LBB210_5:                              ; =>This Inner Loop Header: Depth=1
	v_add_u32_e32 v16, v1, v0
	v_ashrrev_i32_e32 v17, 31, v16
	v_lshl_add_u64 v[6:7], v[16:17], 3, s[16:17]
	global_load_dwordx2 v[8:9], v[6:7], off
	v_cmp_gt_u32_e64 s[0:1], s25, v1
	v_mov_b32_e32 v6, 0
	v_mov_b32_e32 v7, 0
	s_and_saveexec_b64 s[2:3], s[0:1]
	s_cbranch_execz .LBB210_7
; %bb.6:                                ;   in Loop: Header=BB210_5 Depth=1
	v_add_u32_e32 v6, v56, v1
	v_ashrrev_i32_e32 v7, 31, v6
	v_lshl_add_u64 v[6:7], v[6:7], 3, s[12:13]
	global_load_dwordx2 v[6:7], v[6:7], off
.LBB210_7:                              ;   in Loop: Header=BB210_5 Depth=1
	s_or_b64 exec, exec, s[2:3]
	v_mov_b32_e32 v10, 0
	v_mov_b32_e32 v12, 0
	;; [unrolled: 1-line block ×3, first 2 shown]
	s_and_saveexec_b64 s[2:3], s[0:1]
	s_cbranch_execz .LBB210_9
; %bb.8:                                ;   in Loop: Header=BB210_5 Depth=1
	v_add_u32_e32 v12, v56, v1
	v_ashrrev_i32_e32 v13, 31, v12
	v_lshl_add_u64 v[12:13], v[12:13], 3, s[14:15]
	global_load_dwordx2 v[12:13], v[12:13], off
.LBB210_9:                              ;   in Loop: Header=BB210_5 Depth=1
	s_or_b64 exec, exec, s[2:3]
	v_mov_b32_e32 v11, 0
	s_and_saveexec_b64 s[2:3], s[0:1]
	s_cbranch_execz .LBB210_11
; %bb.10:                               ;   in Loop: Header=BB210_5 Depth=1
	v_add_u32_e32 v10, v56, v1
	v_ashrrev_i32_e32 v11, 31, v10
	v_lshl_add_u64 v[10:11], v[10:11], 3, s[16:17]
	global_load_dwordx2 v[10:11], v[10:11], off
.LBB210_11:                             ;   in Loop: Header=BB210_5 Depth=1
	s_or_b64 exec, exec, s[2:3]
	v_cmp_gt_u32_e64 s[2:3], s26, v1
	v_mov_b32_e32 v14, 0
	v_mov_b32_e32 v15, 0
	s_and_saveexec_b64 s[4:5], s[2:3]
	s_cbranch_execz .LBB210_13
; %bb.12:                               ;   in Loop: Header=BB210_5 Depth=1
	v_add_u32_e32 v14, v57, v1
	v_ashrrev_i32_e32 v15, 31, v14
	v_lshl_add_u64 v[14:15], v[14:15], 3, s[12:13]
	global_load_dwordx2 v[14:15], v[14:15], off
.LBB210_13:                             ;   in Loop: Header=BB210_5 Depth=1
	s_or_b64 exec, exec, s[4:5]
	v_lshl_add_u64 v[18:19], v[16:17], 2, s[6:7]
	global_load_dword v17, v[18:19], off
	v_cmp_ne_u32_e32 vcc, s25, v1
	v_add_u32_e32 v2, s28, v16
	v_add_u32_e32 v22, s29, v16
	;; [unrolled: 1-line block ×4, first 2 shown]
	s_waitcnt vmcnt(1)
	v_xor_b32_e32 v16, 0x80000000, v7
	s_waitcnt vmcnt(0)
	v_cmp_ne_u32_e64 s[4:5], 1, v17
	s_and_b64 s[4:5], vcc, s[4:5]
	s_and_saveexec_b64 s[20:21], s[4:5]
	s_xor_b64 s[4:5], exec, s[20:21]
	s_cbranch_execz .LBB210_17
; %bb.14:                               ;   in Loop: Header=BB210_5 Depth=1
	v_add_u32_e32 v17, v56, v1
	v_lshl_add_u64 v[24:25], v[2:3], 3, s[8:9]
	v_add_u32_e32 v2, s28, v17
	v_lshl_add_u64 v[54:55], v[2:3], 3, s[8:9]
	global_load_dwordx2 v[26:27], v[24:25], off
	global_load_dwordx2 v[28:29], v[54:55], off
	v_mov_b32_e32 v23, v3
	v_add_u32_e32 v2, s29, v17
	v_mov_b32_e32 v21, v3
	v_lshl_add_u64 v[22:23], v[22:23], 3, s[8:9]
	v_lshl_add_u64 v[58:59], v[2:3], 3, s[8:9]
	;; [unrolled: 1-line block ×3, first 2 shown]
	global_load_dwordx2 v[32:33], v[58:59], off
	global_load_dwordx2 v[40:41], v[34:35], off
	;; [unrolled: 1-line block ×3, first 2 shown]
	v_add_u32_e32 v2, s30, v17
	v_lshl_add_u64 v[60:61], v[2:3], 3, s[8:9]
	global_load_dwordx2 v[62:63], v[60:61], off
	v_mov_b32_e32 v19, v3
	v_lshl_add_u64 v[64:65], v[18:19], 3, s[8:9]
	v_add_u32_e32 v2, s31, v17
	global_load_dwordx2 v[66:67], v[64:65], off
	v_lshl_add_u64 v[68:69], v[2:3], 3, s[8:9]
	global_load_dwordx2 v[70:71], v[68:69], off
	v_xor_b32_e32 v18, 0x80000000, v5
	v_mov_b32_e32 v19, v4
	v_mov_b32_e32 v17, v6
	v_pk_mul_f32 v[20:21], v[12:13], v[18:19] op_sel:[1,0]
	v_pk_mul_f32 v[16:17], v[8:9], v[16:17] op_sel:[1,0]
	v_pk_fma_f32 v[20:21], v[4:5], v[12:13], v[20:21] op_sel_hi:[1,0,1]
	v_pk_fma_f32 v[16:17], v[6:7], v[8:9], v[16:17] op_sel_hi:[1,0,1]
	v_xor_b32_e32 v72, 0x80000000, v13
	v_pk_add_f32 v[16:17], v[20:21], v[16:17] neg_lo:[0,1] neg_hi:[0,1]
	v_xor_b32_e32 v74, 0x80000000, v9
	v_mul_f32_e32 v2, v17, v17
	v_fmac_f32_e32 v2, v16, v16
	v_div_scale_f32 v21, s[20:21], v2, v2, 1.0
	v_rcp_f32_e32 v36, v21
	v_fma_f32 v20, 0, v17, v16
	v_fma_f32 v17, v16, 0, -v17
	v_div_scale_f32 v16, vcc, 1.0, v2, 1.0
	v_fma_f32 v37, -v21, v36, 1.0
	v_fmac_f32_e32 v36, v37, v36
	v_mul_f32_e32 v37, v16, v36
	v_fma_f32 v38, -v21, v37, v16
	v_fmac_f32_e32 v37, v38, v36
	v_fma_f32 v16, -v21, v37, v16
	v_div_fmas_f32 v16, v16, v36, v37
	v_div_fixup_f32 v2, v16, v2, 1.0
	v_mul_f32_e32 v16, v20, v2
	v_mul_f32_e32 v20, v17, v2
	v_mov_b32_e32 v73, v12
	v_mov_b32_e32 v75, v8
	;; [unrolled: 1-line block ×3, first 2 shown]
	s_waitcnt vmcnt(7)
	v_mul_f32_e32 v48, v20, v26
	s_waitcnt vmcnt(6)
	v_mul_f32_e32 v44, v20, v28
	v_mul_f32_e64 v46, v20, -v27
	v_fmac_f32_e32 v48, v27, v16
	v_mul_f32_e64 v42, v20, -v29
	v_fmac_f32_e32 v44, v29, v16
	v_fmac_f32_e32 v46, v26, v16
	;; [unrolled: 1-line block ×3, first 2 shown]
	v_pk_mul_f32 v[26:27], v[48:49], v[72:73] op_sel_hi:[0,1]
	v_pk_mul_f32 v[28:29], v[44:45], v[74:75] op_sel_hi:[0,1]
	v_pk_fma_f32 v[26:27], v[12:13], v[46:47], v[26:27] op_sel_hi:[1,0,1]
	v_pk_fma_f32 v[28:29], v[8:9], v[42:43], v[28:29] op_sel_hi:[1,0,1]
	s_waitcnt vmcnt(3)
	v_mul_f32_e32 v38, v20, v30
	v_mul_f32_e32 v52, v20, v32
	v_pk_add_f32 v[26:27], v[26:27], v[28:29] neg_lo:[0,1] neg_hi:[0,1]
	v_mul_f32_e64 v36, v20, -v31
	v_fmac_f32_e32 v38, v31, v16
	v_mul_f32_e64 v50, v20, -v33
	v_fmac_f32_e32 v52, v33, v16
	global_store_dwordx2 v[24:25], v[26:27], off
	v_fmac_f32_e32 v36, v30, v16
	v_fmac_f32_e32 v50, v32, v16
	v_pk_mul_f32 v[24:25], v[38:39], v[72:73] op_sel_hi:[0,1]
	v_pk_mul_f32 v[26:27], v[52:53], v[74:75] op_sel_hi:[0,1]
	v_pk_fma_f32 v[24:25], v[12:13], v[36:37], v[24:25] op_sel_hi:[1,0,1]
	v_pk_fma_f32 v[26:27], v[8:9], v[50:51], v[26:27] op_sel_hi:[1,0,1]
	s_waitcnt vmcnt(3)
	v_mul_f32_e32 v28, v20, v62
	v_pk_add_f32 v[24:25], v[24:25], v[26:27] neg_lo:[0,1] neg_hi:[0,1]
	global_store_dwordx2 v[22:23], v[24:25], off
	v_mul_f32_e32 v24, v20, v40
	v_mul_f32_e64 v22, v20, -v41
	v_fmac_f32_e32 v24, v41, v16
	v_mul_f32_e64 v26, v20, -v63
	v_fmac_f32_e32 v28, v63, v16
	v_fmac_f32_e32 v22, v40, v16
	;; [unrolled: 1-line block ×3, first 2 shown]
	v_pk_mul_f32 v[30:31], v[24:25], v[72:73] op_sel_hi:[0,1]
	v_pk_mul_f32 v[32:33], v[28:29], v[74:75] op_sel_hi:[0,1]
	v_pk_fma_f32 v[30:31], v[12:13], v[22:23], v[30:31] op_sel_hi:[1,0,1]
	v_pk_fma_f32 v[32:33], v[8:9], v[26:27], v[32:33] op_sel_hi:[1,0,1]
	s_waitcnt vmcnt(2)
	v_mul_f32_e32 v40, v20, v70
	v_pk_add_f32 v[30:31], v[30:31], v[32:33] neg_lo:[0,1] neg_hi:[0,1]
	v_mul_f32_e32 v32, v20, v66
	global_store_dwordx2 v[34:35], v[30:31], off
	v_mul_f32_e64 v30, v20, -v67
	v_fmac_f32_e32 v32, v67, v16
	v_fmac_f32_e32 v30, v66, v16
	v_mul_f32_e64 v34, v20, -v71
	v_fmac_f32_e32 v40, v71, v16
	v_pk_mul_f32 v[62:63], v[32:33], v[72:73] op_sel_hi:[0,1]
	v_fmac_f32_e32 v34, v70, v16
	v_pk_fma_f32 v[12:13], v[12:13], v[30:31], v[62:63] op_sel_hi:[1,0,1]
	v_pk_mul_f32 v[62:63], v[40:41], v[74:75] op_sel_hi:[0,1]
	v_pk_fma_f32 v[8:9], v[8:9], v[34:35], v[62:63] op_sel_hi:[1,0,1]
	v_pk_mul_f32 v[62:63], v[44:45], v[18:19] op_sel_hi:[0,1]
	v_pk_add_f32 v[8:9], v[12:13], v[8:9] neg_lo:[0,1] neg_hi:[0,1]
	v_pk_add_f32 v[12:13], v[6:7], 0 neg_lo:[1,1] neg_hi:[1,1]
	global_store_dwordx2 v[64:65], v[8:9], off
	v_pk_mov_b32 v[12:13], v[6:7], v[12:13] op_sel:[1,0]
	v_pk_fma_f32 v[62:63], v[4:5], v[42:43], v[62:63] op_sel_hi:[1,0,1]
	v_pk_mul_f32 v[8:9], v[12:13], v[48:49] op_sel_hi:[1,0]
	s_nop 0
	v_pk_fma_f32 v[8:9], v[6:7], v[46:47], v[8:9] op_sel_hi:[1,0,1] neg_lo:[1,0,0] neg_hi:[1,0,0]
	s_nop 0
	v_pk_add_f32 v[62:63], v[8:9], v[62:63]
	global_store_dwordx2 v[54:55], v[62:63], off
	v_pk_mul_f32 v[54:55], v[12:13], v[38:39] op_sel_hi:[1,0]
	v_pk_mul_f32 v[62:63], v[52:53], v[18:19] op_sel_hi:[0,1]
	v_pk_fma_f32 v[54:55], v[6:7], v[36:37], v[54:55] op_sel_hi:[1,0,1] neg_lo:[1,0,0] neg_hi:[1,0,0]
	v_pk_fma_f32 v[62:63], v[4:5], v[50:51], v[62:63] op_sel_hi:[1,0,1]
	v_mov_b32_e32 v8, v4
	v_pk_add_f32 v[54:55], v[54:55], v[62:63]
	global_store_dwordx2 v[58:59], v[54:55], off
	v_pk_mul_f32 v[54:55], v[12:13], v[24:25] op_sel_hi:[1,0]
	v_pk_mul_f32 v[58:59], v[28:29], v[18:19] op_sel_hi:[0,1]
	v_pk_fma_f32 v[54:55], v[6:7], v[22:23], v[54:55] op_sel_hi:[1,0,1] neg_lo:[1,0,0] neg_hi:[1,0,0]
	v_pk_fma_f32 v[58:59], v[4:5], v[26:27], v[58:59] op_sel_hi:[1,0,1]
	v_mov_b32_e32 v9, v4
	v_pk_add_f32 v[54:55], v[54:55], v[58:59]
	global_store_dwordx2 v[60:61], v[54:55], off
	v_pk_mul_f32 v[54:55], v[12:13], v[32:33] op_sel_hi:[1,0]
	v_pk_mul_f32 v[58:59], v[40:41], v[18:19] op_sel_hi:[0,1]
	v_pk_fma_f32 v[54:55], v[6:7], v[30:31], v[54:55] op_sel_hi:[1,0,1] neg_lo:[1,0,0] neg_hi:[1,0,0]
	v_pk_fma_f32 v[58:59], v[4:5], v[34:35], v[58:59] op_sel_hi:[1,0,1]
	s_nop 0
	v_pk_add_f32 v[54:55], v[54:55], v[58:59]
	global_store_dwordx2 v[68:69], v[54:55], off
	v_mov_b64_e32 v[54:55], v[2:3]
	s_and_saveexec_b64 s[20:21], s[2:3]
	s_cbranch_execz .LBB210_16
; %bb.15:                               ;   in Loop: Header=BB210_5 Depth=1
	v_mov_b32_e32 v60, v15
	v_pk_mul_f32 v[12:13], v[60:61], v[12:13] op_sel_hi:[0,1]
	v_pk_fma_f32 v[6:7], v[6:7], v[14:15], v[12:13] op_sel_hi:[1,0,1] neg_lo:[1,0,0] neg_hi:[1,0,0]
	v_pk_mul_f32 v[18:19], v[60:61], v[18:19] op_sel_hi:[0,1]
	v_pk_add_f32 v[60:61], v[6:7], 0 neg_lo:[1,1] neg_hi:[1,1]
	v_mov_b32_e32 v49, v48
	v_pk_mov_b32 v[60:61], v[6:7], v[60:61] op_sel:[1,0]
	v_mov_b32_e32 v47, v46
	v_add_u32_e32 v54, v57, v1
	v_pk_fma_f32 v[18:19], v[4:5], v[14:15], v[18:19] op_sel_hi:[1,0,1]
	v_pk_mul_f32 v[48:49], v[60:61], v[48:49]
	v_mov_b32_e32 v45, v44
	v_add_u32_e32 v2, s28, v54
	v_pk_fma_f32 v[46:47], v[6:7], v[46:47], v[48:49] neg_lo:[1,0,0] neg_hi:[1,0,0]
	v_xor_b32_e32 v48, 0x80000000, v19
	v_mov_b32_e32 v49, v18
	v_mov_b32_e32 v43, v42
	v_lshl_add_u64 v[58:59], v[2:3], 3, s[8:9]
	v_pk_mul_f32 v[44:45], v[44:45], v[48:49]
	v_mov_b32_e32 v53, v52
	v_add_u32_e32 v2, s29, v54
	v_pk_fma_f32 v[42:43], v[18:19], v[42:43], v[44:45]
	global_load_dwordx2 v[44:45], v[58:59], off
	v_mov_b32_e32 v51, v50
	v_lshl_add_u64 v[12:13], v[2:3], 3, s[8:9]
	v_pk_mul_f32 v[52:53], v[52:53], v[48:49]
	v_mov_b32_e32 v39, v38
	v_pk_fma_f32 v[50:51], v[18:19], v[50:51], v[52:53]
	global_load_dwordx2 v[52:53], v[12:13], off
	v_mov_b32_e32 v37, v36
	v_pk_mul_f32 v[38:39], v[60:61], v[38:39]
	v_pk_add_f32 v[42:43], v[46:47], v[42:43] neg_lo:[0,1] neg_hi:[0,1]
	v_add_u32_e32 v2, s30, v54
	v_pk_fma_f32 v[36:37], v[6:7], v[36:37], v[38:39] neg_lo:[1,0,0] neg_hi:[1,0,0]
	v_lshl_add_u64 v[38:39], v[2:3], 3, s[8:9]
	v_pk_add_f32 v[36:37], v[36:37], v[50:51] neg_lo:[0,1] neg_hi:[0,1]
	v_ashrrev_i32_e32 v55, 31, v54
	v_add_u32_e32 v2, s31, v54
	v_lshl_add_u64 v[46:47], v[2:3], 3, s[8:9]
	v_mov_b32_e32 v2, v11
	v_mov_b32_e32 v29, v28
	v_mov_b32_e32 v25, v24
	v_mov_b32_e32 v27, v26
	v_mov_b32_e32 v33, v32
	v_mov_b32_e32 v41, v40
	v_mov_b32_e32 v23, v22
	v_mov_b32_e32 v31, v30
	v_mov_b32_e32 v35, v34
	v_pk_mul_f32 v[24:25], v[60:61], v[24:25]
	s_waitcnt vmcnt(1)
	v_pk_add_f32 v[42:43], v[42:43], v[44:45]
	global_store_dwordx2 v[58:59], v[42:43], off
	global_load_dwordx2 v[42:43], v[38:39], off
	v_xor_b32_e32 v44, 0x80000000, v15
	v_mov_b32_e32 v45, v14
	v_pk_mul_f32 v[4:5], v[4:5], v[44:45] op_sel:[1,0]
	s_waitcnt vmcnt(2)
	v_pk_add_f32 v[36:37], v[36:37], v[52:53]
	global_store_dwordx2 v[12:13], v[36:37], off
	v_lshl_add_u64 v[36:37], v[54:55], 3, s[14:15]
	global_load_dwordx2 v[12:13], v[46:47], off
	v_pk_fma_f32 v[4:5], v[14:15], v[8:9], v[4:5]
	global_load_dwordx2 v[36:37], v[36:37], off
	v_xor_b32_e32 v8, 0x80000000, v5
	v_mov_b32_e32 v9, v4
	v_pk_mul_f32 v[8:9], v[2:3], v[8:9] op_sel_hi:[0,1]
	v_pk_mul_f32 v[14:15], v[28:29], v[48:49]
	v_pk_fma_f32 v[4:5], v[4:5], v[10:11], v[8:9] op_sel_hi:[1,0,1]
	v_pk_mul_f32 v[28:29], v[40:41], v[48:49]
	v_pk_fma_f32 v[14:15], v[18:19], v[26:27], v[14:15]
	v_pk_mul_f32 v[26:27], v[60:61], v[32:33]
	v_xor_b32_e32 v10, 0x80000000, v5
	v_mov_b32_e32 v11, v4
	v_pk_fma_f32 v[18:19], v[18:19], v[34:35], v[28:29]
	v_pk_fma_f32 v[8:9], v[6:7], v[22:23], v[24:25] neg_lo:[1,0,0] neg_hi:[1,0,0]
	v_pk_fma_f32 v[6:7], v[6:7], v[30:31], v[26:27] neg_lo:[1,0,0] neg_hi:[1,0,0]
	v_pk_mul_f32 v[10:11], v[20:21], v[10:11] op_sel_hi:[0,1]
	v_pk_add_f32 v[8:9], v[8:9], v[14:15] neg_lo:[0,1] neg_hi:[0,1]
	v_pk_add_f32 v[6:7], v[6:7], v[18:19] neg_lo:[0,1] neg_hi:[0,1]
	v_pk_fma_f32 v[4:5], v[4:5], v[16:17], v[10:11] op_sel_hi:[1,0,1]
	s_waitcnt vmcnt(3)
	v_pk_add_f32 v[8:9], v[8:9], v[42:43]
	global_store_dwordx2 v[38:39], v[8:9], off
	s_waitcnt vmcnt(2)
	v_pk_add_f32 v[6:7], v[6:7], v[12:13]
	global_store_dwordx2 v[46:47], v[6:7], off
	s_waitcnt vmcnt(2)
	v_pk_add_f32 v[54:55], v[36:37], v[4:5] neg_lo:[0,1] neg_hi:[0,1]
.LBB210_16:                             ;   in Loop: Header=BB210_5 Depth=1
	s_or_b64 exec, exec, s[20:21]
	v_mov_b64_e32 v[4:5], v[54:55]
                                        ; implicit-def: $vgpr8_vgpr9
                                        ; implicit-def: $vgpr6
                                        ; implicit-def: $vgpr12_vgpr13
                                        ; implicit-def: $vgpr22
                                        ; implicit-def: $vgpr20
                                        ; implicit-def: $vgpr18
                                        ; implicit-def: $vgpr16
.LBB210_17:                             ;   in Loop: Header=BB210_5 Depth=1
	s_or_saveexec_b64 s[2:3], s[4:5]
	v_mov_b32_e32 v10, s27
	s_xor_b64 exec, exec, s[2:3]
	s_cbranch_execz .LBB210_4
; %bb.18:                               ;   in Loop: Header=BB210_5 Depth=1
	v_lshl_add_u64 v[24:25], v[2:3], 3, s[8:9]
	v_mov_b32_e32 v23, v3
	global_load_dwordx2 v[14:15], v[24:25], off
	v_lshl_add_u64 v[26:27], v[22:23], 3, s[8:9]
	v_mov_b32_e32 v21, v3
	v_mov_b32_e32 v19, v3
	v_lshl_add_u64 v[28:29], v[20:21], 3, s[8:9]
	v_lshl_add_u64 v[30:31], v[18:19], 3, s[8:9]
	global_load_dwordx2 v[18:19], v[26:27], off
	global_load_dwordx2 v[20:21], v[28:29], off
	;; [unrolled: 1-line block ×3, first 2 shown]
	v_mul_f32_e32 v2, v5, v5
	v_fmac_f32_e32 v2, v4, v4
	v_div_scale_f32 v11, s[4:5], v2, v2, 1.0
	v_rcp_f32_e32 v17, v11
	v_fma_f32 v10, 0, v5, v4
	v_fma_f32 v5, v4, 0, -v5
	v_div_scale_f32 v4, vcc, 1.0, v2, 1.0
	v_fma_f32 v22, -v11, v17, 1.0
	v_fmac_f32_e32 v17, v22, v17
	v_mul_f32_e32 v22, v4, v17
	v_fma_f32 v23, -v11, v22, v4
	v_fmac_f32_e32 v22, v23, v17
	v_fma_f32 v4, -v11, v22, v4
	v_div_fmas_f32 v4, v4, v17, v22
	v_div_fixup_f32 v2, v4, v2, 1.0
	v_mul_f32_e32 v4, v10, v2
	v_mul_f32_e32 v10, v5, v2
	s_waitcnt vmcnt(3)
	v_pk_mul_f32 v[22:23], v[10:11], v[14:15] op_sel:[0,1] op_sel_hi:[0,0] neg_lo:[0,1]
	v_pk_fma_f32 v[14:15], v[14:15], v[4:5], v[22:23] op_sel_hi:[1,0,1]
	global_store_dwordx2 v[24:25], v[14:15], off
	s_waitcnt vmcnt(3)
	v_pk_mul_f32 v[22:23], v[10:11], v[18:19] op_sel:[0,1] op_sel_hi:[0,0] neg_lo:[0,1]
	s_waitcnt vmcnt(2)
	v_pk_mul_f32 v[34:35], v[10:11], v[20:21] op_sel:[0,1] op_sel_hi:[0,0] neg_lo:[0,1]
	;; [unrolled: 2-line block ×3, first 2 shown]
	v_pk_fma_f32 v[22:23], v[18:19], v[4:5], v[22:23] op_sel_hi:[1,0,1]
	v_pk_fma_f32 v[20:21], v[20:21], v[4:5], v[34:35] op_sel_hi:[1,0,1]
	;; [unrolled: 1-line block ×3, first 2 shown]
	global_store_dwordx2 v[26:27], v[22:23], off
	global_store_dwordx2 v[28:29], v[20:21], off
	;; [unrolled: 1-line block ×3, first 2 shown]
	s_and_saveexec_b64 s[4:5], s[0:1]
	s_cbranch_execz .LBB210_3
; %bb.19:                               ;   in Loop: Header=BB210_5 Depth=1
	v_add_u32_e32 v5, v56, v1
	v_add_u32_e32 v2, s28, v5
	v_lshl_add_u64 v[24:25], v[2:3], 3, s[8:9]
	v_add_u32_e32 v2, s29, v5
	global_load_dwordx2 v[26:27], v[24:25], off
	v_lshl_add_u64 v[28:29], v[2:3], 3, s[8:9]
	global_load_dwordx2 v[30:31], v[28:29], off
	v_xor_b32_e32 v32, 0x80000000, v6
	v_mov_b32_e32 v33, v16
	v_mov_b32_e32 v34, v7
	v_mov_b32_e32 v35, v32
	v_add_u32_e32 v2, s30, v5
	v_lshl_add_u64 v[36:37], v[2:3], 3, s[8:9]
	v_add_u32_e32 v2, s31, v5
	v_lshl_add_u64 v[38:39], v[2:3], 3, s[8:9]
	s_waitcnt vmcnt(1)
	v_pk_fma_f32 v[26:27], v[32:33], v[14:15], v[26:27] op_sel_hi:[1,0,1]
	s_nop 0
	v_pk_fma_f32 v[14:15], v[34:35], v[14:15], v[26:27] op_sel:[0,1,0]
	s_waitcnt vmcnt(0)
	v_pk_fma_f32 v[26:27], v[32:33], v[22:23], v[30:31] op_sel_hi:[1,0,1]
	global_store_dwordx2 v[24:25], v[14:15], off
	v_pk_fma_f32 v[14:15], v[34:35], v[22:23], v[26:27] op_sel:[0,1,0]
	global_store_dwordx2 v[28:29], v[14:15], off
	global_load_dwordx2 v[22:23], v[36:37], off
	s_nop 0
	global_load_dwordx2 v[14:15], v[38:39], off
	s_waitcnt vmcnt(1)
	v_pk_fma_f32 v[22:23], v[32:33], v[20:21], v[22:23] op_sel_hi:[1,0,1]
	s_nop 0
	v_pk_fma_f32 v[20:21], v[34:35], v[20:21], v[22:23] op_sel:[0,1,0]
	s_waitcnt vmcnt(0)
	v_pk_fma_f32 v[14:15], v[32:33], v[18:19], v[14:15] op_sel_hi:[1,0,1]
	global_store_dwordx2 v[36:37], v[20:21], off
	v_pk_fma_f32 v[14:15], v[34:35], v[18:19], v[14:15] op_sel:[0,1,0]
	global_store_dwordx2 v[38:39], v[14:15], off
	s_branch .LBB210_3
.LBB210_20:
	s_or_b64 exec, exec, s[18:19]
	s_branch .LBB210_22
.LBB210_21:
	v_mov_b32_e32 v1, 0
.LBB210_22:
	v_subrev_u32_e32 v1, s22, v1
	v_add_u32_e32 v2, v1, v0
	v_ashrrev_i32_e32 v3, 31, v2
	s_waitcnt lgkmcnt(0)
	v_lshl_add_u64 v[2:3], v[2:3], 2, s[6:7]
	buffer_wbl2 sc1
	s_waitcnt vmcnt(0)
	buffer_inv sc1
	global_load_dword v2, v[2:3], off
	s_waitcnt vmcnt(0)
	v_mul_lo_u32 v2, v2, s22
	v_sub_u32_e32 v1, v1, v2
	v_cmp_lt_i32_e32 vcc, -1, v1
	s_and_b64 exec, exec, vcc
	s_cbranch_execz .LBB210_29
; %bb.23:
	s_lshl_b32 s4, s24, 2
	s_add_i32 s5, s4, s23
	s_add_i32 s12, s5, s23
	s_add_i32 s13, s12, s23
	s_lshl_b32 s14, s22, 1
	s_mov_b64 s[0:1], 0
	v_mov_b32_e32 v3, 0
	s_branch .LBB210_25
.LBB210_24:                             ;   in Loop: Header=BB210_25 Depth=1
	s_or_b64 exec, exec, s[2:3]
	v_sub_u32_e32 v1, v1, v2
	v_cmp_gt_i32_e32 vcc, 0, v1
	s_or_b64 s[0:1], vcc, s[0:1]
	s_andn2_b64 exec, exec, s[0:1]
	s_cbranch_execz .LBB210_29
.LBB210_25:                             ; =>This Inner Loop Header: Depth=1
	v_add_u32_e32 v4, v1, v0
	v_ashrrev_i32_e32 v5, 31, v4
	s_waitcnt vmcnt(0)
	v_lshl_add_u64 v[6:7], v[4:5], 2, s[6:7]
	global_load_dword v2, v[6:7], off
	v_lshl_add_u64 v[6:7], v[4:5], 3, s[10:11]
	global_load_dwordx2 v[6:7], v[6:7], off
	s_waitcnt vmcnt(1)
	v_cmp_ne_u32_e32 vcc, 1, v2
	s_and_saveexec_b64 s[2:3], vcc
	s_xor_b64 s[2:3], exec, s[2:3]
	s_cbranch_execz .LBB210_27
; %bb.26:                               ;   in Loop: Header=BB210_25 Depth=1
	v_add_u32_e32 v5, v56, v1
	v_add_u32_e32 v2, s4, v5
	v_lshl_add_u64 v[8:9], v[2:3], 3, s[8:9]
	v_add_u32_e32 v2, s5, v5
	v_lshl_add_u64 v[10:11], v[2:3], 3, s[8:9]
	;; [unrolled: 2-line block ×5, first 2 shown]
	global_load_dwordx2 v[8:9], v[8:9], off
	s_waitcnt vmcnt(1)
	v_pk_add_f32 v[20:21], v[6:7], 0 neg_lo:[1,1] neg_hi:[1,1]
	global_load_dwordx2 v[18:19], v[16:17], off
	v_xor_b32_e32 v23, 0x80000000, v7
	v_mov_b32_e32 v22, v20
	v_pk_mov_b32 v[6:7], v[6:7], v[20:21] op_sel:[1,0]
	global_load_dwordx2 v[20:21], v[10:11], off
	global_load_dwordx2 v[24:25], v[12:13], off
	;; [unrolled: 1-line block ×3, first 2 shown]
	v_add_u32_e32 v2, s5, v4
	v_lshl_add_u64 v[10:11], v[2:3], 3, s[8:9]
	v_add_u32_e32 v2, s12, v4
	v_lshl_add_u64 v[14:15], v[2:3], 3, s[8:9]
	;; [unrolled: 2-line block ×3, first 2 shown]
	v_subrev_u32_e32 v2, s22, v1
	s_waitcnt vmcnt(3)
	v_pk_fma_f32 v[12:13], v[22:23], v[8:9], v[18:19] op_sel_hi:[1,0,1]
	s_nop 0
	v_pk_fma_f32 v[12:13], v[6:7], v[8:9], v[12:13] op_sel:[0,1,0]
	global_store_dwordx2 v[16:17], v[12:13], off
	global_load_dwordx2 v[12:13], v[10:11], off
	s_waitcnt vmcnt(0)
	v_pk_fma_f32 v[12:13], v[22:23], v[20:21], v[12:13] op_sel_hi:[1,0,1]
	s_nop 0
	v_pk_fma_f32 v[12:13], v[6:7], v[20:21], v[12:13] op_sel:[0,1,0]
	global_store_dwordx2 v[10:11], v[12:13], off
	global_load_dwordx2 v[10:11], v[14:15], off
	v_add_u32_e32 v12, v2, v0
	v_ashrrev_i32_e32 v13, 31, v12
	v_add_u32_e32 v2, s4, v12
	v_lshl_add_u64 v[16:17], v[2:3], 3, s[8:9]
	v_add_u32_e32 v2, s5, v12
	s_waitcnt vmcnt(0)
	v_pk_fma_f32 v[10:11], v[22:23], v[24:25], v[10:11] op_sel_hi:[1,0,1]
	s_nop 0
	v_pk_fma_f32 v[10:11], v[6:7], v[24:25], v[10:11] op_sel:[0,1,0]
	global_store_dwordx2 v[14:15], v[10:11], off
	global_load_dwordx2 v[10:11], v[4:5], off
	v_lshl_add_u64 v[14:15], v[12:13], 3, s[10:11]
	global_load_dwordx2 v[14:15], v[14:15], off
	s_waitcnt vmcnt(1)
	v_pk_fma_f32 v[10:11], v[22:23], v[26:27], v[10:11] op_sel_hi:[1,0,1]
	s_nop 0
	v_pk_fma_f32 v[6:7], v[6:7], v[26:27], v[10:11] op_sel:[0,1,0]
	global_store_dwordx2 v[4:5], v[6:7], off
	global_load_dwordx2 v[4:5], v[16:17], off
	s_waitcnt vmcnt(2)
	v_pk_add_f32 v[10:11], v[14:15], 0 neg_lo:[1,1] neg_hi:[1,1]
	v_lshl_add_u64 v[6:7], v[2:3], 3, s[8:9]
	v_pk_mov_b32 v[10:11], v[14:15], v[10:11] op_sel:[1,0]
	v_add_u32_e32 v2, s12, v12
	s_waitcnt vmcnt(0)
	v_pk_fma_f32 v[4:5], v[14:15], v[8:9], v[4:5] op_sel_hi:[1,0,1] neg_lo:[1,0,0] neg_hi:[1,0,0]
	s_nop 0
	v_pk_fma_f32 v[4:5], v[10:11], v[8:9], v[4:5] op_sel:[0,1,0]
	global_store_dwordx2 v[16:17], v[4:5], off
	global_load_dwordx2 v[4:5], v[6:7], off
	v_lshl_add_u64 v[8:9], v[2:3], 3, s[8:9]
	v_add_u32_e32 v2, s13, v12
	s_waitcnt vmcnt(0)
	v_pk_fma_f32 v[4:5], v[14:15], v[20:21], v[4:5] op_sel_hi:[1,0,1] neg_lo:[1,0,0] neg_hi:[1,0,0]
	s_nop 0
	v_pk_fma_f32 v[4:5], v[10:11], v[20:21], v[4:5] op_sel:[0,1,0]
	global_store_dwordx2 v[6:7], v[4:5], off
	global_load_dwordx2 v[4:5], v[8:9], off
	v_lshl_add_u64 v[6:7], v[2:3], 3, s[8:9]
	s_waitcnt vmcnt(0)
	v_pk_fma_f32 v[4:5], v[14:15], v[24:25], v[4:5] op_sel_hi:[1,0,1] neg_lo:[1,0,0] neg_hi:[1,0,0]
	s_nop 0
	v_pk_fma_f32 v[4:5], v[10:11], v[24:25], v[4:5] op_sel:[0,1,0]
	global_store_dwordx2 v[8:9], v[4:5], off
	global_load_dwordx2 v[4:5], v[6:7], off
	s_waitcnt vmcnt(0)
	v_pk_fma_f32 v[4:5], v[14:15], v[26:27], v[4:5] op_sel_hi:[1,0,1] neg_lo:[1,0,0] neg_hi:[1,0,0]
	s_nop 0
	v_pk_fma_f32 v[4:5], v[10:11], v[26:27], v[4:5] op_sel:[0,1,0]
	global_store_dwordx2 v[6:7], v[4:5], off
                                        ; implicit-def: $vgpr4
                                        ; implicit-def: $vgpr6_vgpr7
.LBB210_27:                             ;   in Loop: Header=BB210_25 Depth=1
	s_or_saveexec_b64 s[2:3], s[2:3]
	v_mov_b32_e32 v2, s14
	s_xor_b64 exec, exec, s[2:3]
	s_cbranch_execz .LBB210_24
; %bb.28:                               ;   in Loop: Header=BB210_25 Depth=1
	v_add_u32_e32 v5, v56, v1
	v_add_u32_e32 v2, s4, v5
	v_lshl_add_u64 v[8:9], v[2:3], 3, s[8:9]
	v_add_u32_e32 v2, s4, v4
	v_lshl_add_u64 v[10:11], v[2:3], 3, s[8:9]
	global_load_dwordx2 v[12:13], v[8:9], off
	global_load_dwordx2 v[14:15], v[10:11], off
	s_waitcnt vmcnt(2)
	v_pk_add_f32 v[8:9], v[6:7], 0 neg_lo:[1,1] neg_hi:[1,1]
	v_xor_b32_e32 v17, 0x80000000, v7
	v_mov_b32_e32 v16, v8
	v_pk_mov_b32 v[8:9], v[6:7], v[8:9] op_sel:[1,0]
	v_add_u32_e32 v2, s5, v5
	v_lshl_add_u64 v[18:19], v[2:3], 3, s[8:9]
	v_add_u32_e32 v2, s5, v4
	v_lshl_add_u64 v[20:21], v[2:3], 3, s[8:9]
	v_add_u32_e32 v2, s12, v5
	s_waitcnt vmcnt(0)
	v_pk_fma_f32 v[14:15], v[16:17], v[12:13], v[14:15] op_sel_hi:[1,0,1]
	s_nop 0
	v_pk_fma_f32 v[12:13], v[8:9], v[12:13], v[14:15] op_sel:[0,1,0]
	global_store_dwordx2 v[10:11], v[12:13], off
	global_load_dwordx2 v[10:11], v[18:19], off
	s_nop 0
	global_load_dwordx2 v[12:13], v[20:21], off
	v_lshl_add_u64 v[14:15], v[2:3], 3, s[8:9]
	v_add_u32_e32 v2, s12, v4
	v_lshl_add_u64 v[18:19], v[2:3], 3, s[8:9]
	v_add_u32_e32 v2, s13, v5
	s_waitcnt vmcnt(0)
	v_pk_fma_f32 v[12:13], v[16:17], v[10:11], v[12:13] op_sel_hi:[1,0,1]
	s_nop 0
	v_pk_fma_f32 v[10:11], v[8:9], v[10:11], v[12:13] op_sel:[0,1,0]
	global_store_dwordx2 v[20:21], v[10:11], off
	global_load_dwordx2 v[10:11], v[14:15], off
	s_nop 0
	global_load_dwordx2 v[12:13], v[18:19], off
	v_lshl_add_u64 v[14:15], v[2:3], 3, s[8:9]
	v_add_u32_e32 v2, s13, v4
	v_lshl_add_u64 v[4:5], v[2:3], 3, s[8:9]
	v_mov_b32_e32 v2, s22
	s_waitcnt vmcnt(0)
	v_pk_fma_f32 v[12:13], v[16:17], v[10:11], v[12:13] op_sel_hi:[1,0,1]
	s_nop 0
	v_pk_fma_f32 v[10:11], v[8:9], v[10:11], v[12:13] op_sel:[0,1,0]
	global_store_dwordx2 v[18:19], v[10:11], off
	global_load_dwordx2 v[10:11], v[14:15], off
	s_nop 0
	global_load_dwordx2 v[12:13], v[4:5], off
	s_waitcnt vmcnt(0)
	v_pk_fma_f32 v[6:7], v[6:7], v[10:11], v[12:13] op_sel_hi:[1,0,1] neg_lo:[1,0,0] neg_hi:[1,0,0]
	s_nop 0
	v_pk_fma_f32 v[6:7], v[8:9], v[10:11], v[6:7] op_sel:[0,1,0]
	global_store_dwordx2 v[4:5], v[6:7], off
	s_branch .LBB210_24
.LBB210_29:
	s_endpgm
	.section	.rodata,"a",@progbits
	.p2align	6, 0x0
	.amdhsa_kernel _ZN9rocsparseL19gtsv_LBM_rhs_kernelILj256ELj8ELj4E21rocsparse_complex_numIfEEEviiiPKT2_S5_S5_PS3_S5_PKi
		.amdhsa_group_segment_fixed_size 0
		.amdhsa_private_segment_fixed_size 0
		.amdhsa_kernarg_size 64
		.amdhsa_user_sgpr_count 2
		.amdhsa_user_sgpr_dispatch_ptr 0
		.amdhsa_user_sgpr_queue_ptr 0
		.amdhsa_user_sgpr_kernarg_segment_ptr 1
		.amdhsa_user_sgpr_dispatch_id 0
		.amdhsa_user_sgpr_kernarg_preload_length 0
		.amdhsa_user_sgpr_kernarg_preload_offset 0
		.amdhsa_user_sgpr_private_segment_size 0
		.amdhsa_uses_dynamic_stack 0
		.amdhsa_enable_private_segment 0
		.amdhsa_system_sgpr_workgroup_id_x 1
		.amdhsa_system_sgpr_workgroup_id_y 1
		.amdhsa_system_sgpr_workgroup_id_z 0
		.amdhsa_system_sgpr_workgroup_info 0
		.amdhsa_system_vgpr_workitem_id 0
		.amdhsa_next_free_vgpr 76
		.amdhsa_next_free_sgpr 32
		.amdhsa_accum_offset 76
		.amdhsa_reserve_vcc 1
		.amdhsa_float_round_mode_32 0
		.amdhsa_float_round_mode_16_64 0
		.amdhsa_float_denorm_mode_32 3
		.amdhsa_float_denorm_mode_16_64 3
		.amdhsa_dx10_clamp 1
		.amdhsa_ieee_mode 1
		.amdhsa_fp16_overflow 0
		.amdhsa_tg_split 0
		.amdhsa_exception_fp_ieee_invalid_op 0
		.amdhsa_exception_fp_denorm_src 0
		.amdhsa_exception_fp_ieee_div_zero 0
		.amdhsa_exception_fp_ieee_overflow 0
		.amdhsa_exception_fp_ieee_underflow 0
		.amdhsa_exception_fp_ieee_inexact 0
		.amdhsa_exception_int_div_zero 0
	.end_amdhsa_kernel
	.section	.text._ZN9rocsparseL19gtsv_LBM_rhs_kernelILj256ELj8ELj4E21rocsparse_complex_numIfEEEviiiPKT2_S5_S5_PS3_S5_PKi,"axG",@progbits,_ZN9rocsparseL19gtsv_LBM_rhs_kernelILj256ELj8ELj4E21rocsparse_complex_numIfEEEviiiPKT2_S5_S5_PS3_S5_PKi,comdat
.Lfunc_end210:
	.size	_ZN9rocsparseL19gtsv_LBM_rhs_kernelILj256ELj8ELj4E21rocsparse_complex_numIfEEEviiiPKT2_S5_S5_PS3_S5_PKi, .Lfunc_end210-_ZN9rocsparseL19gtsv_LBM_rhs_kernelILj256ELj8ELj4E21rocsparse_complex_numIfEEEviiiPKT2_S5_S5_PS3_S5_PKi
                                        ; -- End function
	.set _ZN9rocsparseL19gtsv_LBM_rhs_kernelILj256ELj8ELj4E21rocsparse_complex_numIfEEEviiiPKT2_S5_S5_PS3_S5_PKi.num_vgpr, 76
	.set _ZN9rocsparseL19gtsv_LBM_rhs_kernelILj256ELj8ELj4E21rocsparse_complex_numIfEEEviiiPKT2_S5_S5_PS3_S5_PKi.num_agpr, 0
	.set _ZN9rocsparseL19gtsv_LBM_rhs_kernelILj256ELj8ELj4E21rocsparse_complex_numIfEEEviiiPKT2_S5_S5_PS3_S5_PKi.numbered_sgpr, 32
	.set _ZN9rocsparseL19gtsv_LBM_rhs_kernelILj256ELj8ELj4E21rocsparse_complex_numIfEEEviiiPKT2_S5_S5_PS3_S5_PKi.num_named_barrier, 0
	.set _ZN9rocsparseL19gtsv_LBM_rhs_kernelILj256ELj8ELj4E21rocsparse_complex_numIfEEEviiiPKT2_S5_S5_PS3_S5_PKi.private_seg_size, 0
	.set _ZN9rocsparseL19gtsv_LBM_rhs_kernelILj256ELj8ELj4E21rocsparse_complex_numIfEEEviiiPKT2_S5_S5_PS3_S5_PKi.uses_vcc, 1
	.set _ZN9rocsparseL19gtsv_LBM_rhs_kernelILj256ELj8ELj4E21rocsparse_complex_numIfEEEviiiPKT2_S5_S5_PS3_S5_PKi.uses_flat_scratch, 0
	.set _ZN9rocsparseL19gtsv_LBM_rhs_kernelILj256ELj8ELj4E21rocsparse_complex_numIfEEEviiiPKT2_S5_S5_PS3_S5_PKi.has_dyn_sized_stack, 0
	.set _ZN9rocsparseL19gtsv_LBM_rhs_kernelILj256ELj8ELj4E21rocsparse_complex_numIfEEEviiiPKT2_S5_S5_PS3_S5_PKi.has_recursion, 0
	.set _ZN9rocsparseL19gtsv_LBM_rhs_kernelILj256ELj8ELj4E21rocsparse_complex_numIfEEEviiiPKT2_S5_S5_PS3_S5_PKi.has_indirect_call, 0
	.section	.AMDGPU.csdata,"",@progbits
; Kernel info:
; codeLenInByte = 3788
; TotalNumSgprs: 38
; NumVgprs: 76
; NumAgprs: 0
; TotalNumVgprs: 76
; ScratchSize: 0
; MemoryBound: 0
; FloatMode: 240
; IeeeMode: 1
; LDSByteSize: 0 bytes/workgroup (compile time only)
; SGPRBlocks: 4
; VGPRBlocks: 9
; NumSGPRsForWavesPerEU: 38
; NumVGPRsForWavesPerEU: 76
; AccumOffset: 76
; Occupancy: 6
; WaveLimiterHint : 0
; COMPUTE_PGM_RSRC2:SCRATCH_EN: 0
; COMPUTE_PGM_RSRC2:USER_SGPR: 2
; COMPUTE_PGM_RSRC2:TRAP_HANDLER: 0
; COMPUTE_PGM_RSRC2:TGID_X_EN: 1
; COMPUTE_PGM_RSRC2:TGID_Y_EN: 1
; COMPUTE_PGM_RSRC2:TGID_Z_EN: 0
; COMPUTE_PGM_RSRC2:TIDIG_COMP_CNT: 0
; COMPUTE_PGM_RSRC3_GFX90A:ACCUM_OFFSET: 18
; COMPUTE_PGM_RSRC3_GFX90A:TG_SPLIT: 0
	.section	.text._ZN9rocsparseL19gtsv_LBM_rhs_kernelILj256ELj8ELj2E21rocsparse_complex_numIfEEEviiiPKT2_S5_S5_PS3_S5_PKi,"axG",@progbits,_ZN9rocsparseL19gtsv_LBM_rhs_kernelILj256ELj8ELj2E21rocsparse_complex_numIfEEEviiiPKT2_S5_S5_PS3_S5_PKi,comdat
	.globl	_ZN9rocsparseL19gtsv_LBM_rhs_kernelILj256ELj8ELj2E21rocsparse_complex_numIfEEEviiiPKT2_S5_S5_PS3_S5_PKi ; -- Begin function _ZN9rocsparseL19gtsv_LBM_rhs_kernelILj256ELj8ELj2E21rocsparse_complex_numIfEEEviiiPKT2_S5_S5_PS3_S5_PKi
	.p2align	8
	.type	_ZN9rocsparseL19gtsv_LBM_rhs_kernelILj256ELj8ELj2E21rocsparse_complex_numIfEEEviiiPKT2_S5_S5_PS3_S5_PKi,@function
_ZN9rocsparseL19gtsv_LBM_rhs_kernelILj256ELj8ELj2E21rocsparse_complex_numIfEEEviiiPKT2_S5_S5_PS3_S5_PKi: ; @_ZN9rocsparseL19gtsv_LBM_rhs_kernelILj256ELj8ELj2E21rocsparse_complex_numIfEEEviiiPKT2_S5_S5_PS3_S5_PKi
; %bb.0:
	s_load_dword s23, s[0:1], 0x0
	v_lshl_or_b32 v0, s2, 8, v0
	s_waitcnt lgkmcnt(0)
	s_lshr_b32 s22, s23, 3
	v_cmp_gt_i32_e32 vcc, s22, v0
	s_and_saveexec_b64 s[4:5], vcc
	s_cbranch_execz .LBB211_29
; %bb.1:
	s_load_dwordx4 s[8:11], s[0:1], 0x28
	s_load_dwordx2 s[6:7], s[0:1], 0x38
	s_cmp_lt_i32 s23, 1
	v_add_u32_e32 v25, s22, v0
	s_mul_i32 s24, s3, s23
	s_cbranch_scc1 .LBB211_21
; %bb.2:
	s_load_dwordx4 s[12:15], s[0:1], 0x10
	s_load_dwordx2 s[16:17], s[0:1], 0x20
	v_ashrrev_i32_e32 v1, 31, v0
	s_lshl_b32 s28, s24, 1
	s_mul_i32 s25, s22, 7
	s_waitcnt lgkmcnt(0)
	v_lshl_add_u64 v[2:3], v[0:1], 3, s[14:15]
	global_load_dwordx2 v[6:7], v[2:3], off
	s_mul_i32 s26, s22, 6
	s_lshl_b32 s27, s22, 1
	v_add_u32_e32 v42, s22, v25
	s_add_i32 s29, s28, s23
	v_mov_b32_e32 v3, 0
	s_mov_b64 s[18:19], 0
	v_mov_b32_e32 v1, 0
	s_branch .LBB211_5
.LBB211_3:                              ;   in Loop: Header=BB211_5 Depth=1
	s_or_b64 exec, exec, s[4:5]
	v_mov_b32_e32 v21, v4
	v_pk_mul_f32 v[14:15], v[8:9], v[20:21] op_sel:[1,0]
	s_nop 0
	v_pk_fma_f32 v[4:5], v[4:5], v[8:9], v[14:15] op_sel_hi:[1,0,1]
	s_nop 0
	v_xor_b32_e32 v8, 0x80000000, v5
	v_mov_b32_e32 v9, v4
	v_pk_mul_f32 v[8:9], v[12:13], v[8:9] op_sel_hi:[0,1]
	v_pk_fma_f32 v[4:5], v[4:5], v[6:7], v[8:9] op_sel_hi:[1,0,1]
	v_mov_b32_e32 v12, s22
	v_pk_add_f32 v[6:7], v[10:11], v[4:5] neg_lo:[0,1] neg_hi:[0,1]
.LBB211_4:                              ;   in Loop: Header=BB211_5 Depth=1
	s_or_b64 exec, exec, s[2:3]
	v_add_u32_e32 v1, v12, v1
	v_cmp_le_i32_e32 vcc, s23, v1
	s_or_b64 s[18:19], vcc, s[18:19]
	s_andn2_b64 exec, exec, s[18:19]
	s_cbranch_execz .LBB211_20
.LBB211_5:                              ; =>This Inner Loop Header: Depth=1
	v_add_u32_e32 v16, v1, v0
	v_ashrrev_i32_e32 v17, 31, v16
	v_lshl_add_u64 v[4:5], v[16:17], 3, s[16:17]
	global_load_dwordx2 v[8:9], v[4:5], off
	v_cmp_gt_u32_e64 s[0:1], s25, v1
	v_mov_b32_e32 v4, 0
	v_mov_b32_e32 v5, 0
	s_and_saveexec_b64 s[2:3], s[0:1]
	s_cbranch_execz .LBB211_7
; %bb.6:                                ;   in Loop: Header=BB211_5 Depth=1
	v_add_u32_e32 v4, v25, v1
	v_ashrrev_i32_e32 v5, 31, v4
	v_lshl_add_u64 v[4:5], v[4:5], 3, s[12:13]
	global_load_dwordx2 v[4:5], v[4:5], off
.LBB211_7:                              ;   in Loop: Header=BB211_5 Depth=1
	s_or_b64 exec, exec, s[2:3]
	v_mov_b32_e32 v12, 0
	v_mov_b32_e32 v10, 0
	;; [unrolled: 1-line block ×3, first 2 shown]
	s_and_saveexec_b64 s[2:3], s[0:1]
	s_cbranch_execz .LBB211_9
; %bb.8:                                ;   in Loop: Header=BB211_5 Depth=1
	v_add_u32_e32 v10, v25, v1
	v_ashrrev_i32_e32 v11, 31, v10
	v_lshl_add_u64 v[10:11], v[10:11], 3, s[14:15]
	global_load_dwordx2 v[10:11], v[10:11], off
.LBB211_9:                              ;   in Loop: Header=BB211_5 Depth=1
	s_or_b64 exec, exec, s[2:3]
	v_mov_b32_e32 v13, 0
	s_and_saveexec_b64 s[2:3], s[0:1]
	s_cbranch_execz .LBB211_11
; %bb.10:                               ;   in Loop: Header=BB211_5 Depth=1
	v_add_u32_e32 v12, v25, v1
	v_ashrrev_i32_e32 v13, 31, v12
	v_lshl_add_u64 v[12:13], v[12:13], 3, s[16:17]
	global_load_dwordx2 v[12:13], v[12:13], off
.LBB211_11:                             ;   in Loop: Header=BB211_5 Depth=1
	s_or_b64 exec, exec, s[2:3]
	v_cmp_gt_u32_e64 s[2:3], s26, v1
	v_mov_b32_e32 v14, 0
	v_mov_b32_e32 v15, 0
	s_and_saveexec_b64 s[4:5], s[2:3]
	s_cbranch_execz .LBB211_13
; %bb.12:                               ;   in Loop: Header=BB211_5 Depth=1
	v_add_u32_e32 v14, v42, v1
	v_ashrrev_i32_e32 v15, 31, v14
	v_lshl_add_u64 v[14:15], v[14:15], 3, s[12:13]
	global_load_dwordx2 v[14:15], v[14:15], off
.LBB211_13:                             ;   in Loop: Header=BB211_5 Depth=1
	s_or_b64 exec, exec, s[4:5]
	v_lshl_add_u64 v[18:19], v[16:17], 2, s[6:7]
	global_load_dword v17, v[18:19], off
	v_cmp_ne_u32_e32 vcc, s25, v1
	v_add_u32_e32 v2, s28, v16
	v_add_u32_e32 v16, s29, v16
	s_waitcnt vmcnt(1)
	v_xor_b32_e32 v20, 0x80000000, v5
	s_waitcnt vmcnt(0)
	v_cmp_ne_u32_e64 s[4:5], 1, v17
	s_and_b64 s[4:5], vcc, s[4:5]
	s_and_saveexec_b64 s[20:21], s[4:5]
	s_xor_b64 s[4:5], exec, s[20:21]
	s_cbranch_execz .LBB211_17
; %bb.14:                               ;   in Loop: Header=BB211_5 Depth=1
	v_mov_b32_e32 v17, v3
	v_lshl_add_u64 v[46:47], v[16:17], 3, s[8:9]
	v_add_u32_e32 v16, v25, v1
	v_lshl_add_u64 v[44:45], v[2:3], 3, s[8:9]
	v_add_u32_e32 v2, s28, v16
	global_load_dwordx2 v[28:29], v[44:45], off
	global_load_dwordx2 v[34:35], v[46:47], off
	v_lshl_add_u64 v[48:49], v[2:3], 3, s[8:9]
	v_add_u32_e32 v2, s29, v16
	v_lshl_add_u64 v[50:51], v[2:3], 3, s[8:9]
	global_load_dwordx2 v[36:37], v[48:49], off
	global_load_dwordx2 v[52:53], v[50:51], off
	v_xor_b32_e32 v16, 0x80000000, v7
	v_mov_b32_e32 v17, v6
	v_mov_b32_e32 v21, v4
	v_pk_mul_f32 v[26:27], v[10:11], v[16:17] op_sel:[1,0]
	v_pk_mul_f32 v[20:21], v[8:9], v[20:21] op_sel:[1,0]
	v_pk_fma_f32 v[26:27], v[6:7], v[10:11], v[26:27] op_sel_hi:[1,0,1]
	v_pk_fma_f32 v[20:21], v[4:5], v[8:9], v[20:21] op_sel_hi:[1,0,1]
	v_xor_b32_e32 v54, 0x80000000, v11
	v_pk_add_f32 v[20:21], v[26:27], v[20:21] neg_lo:[0,1] neg_hi:[0,1]
	v_xor_b32_e32 v56, 0x80000000, v9
	v_mul_f32_e32 v24, v21, v21
	v_fmac_f32_e32 v24, v20, v20
	v_div_scale_f32 v27, s[20:21], v24, v24, 1.0
	v_rcp_f32_e32 v30, v27
	v_fma_f32 v26, 0, v21, v20
	v_fma_f32 v21, v20, 0, -v21
	v_div_scale_f32 v20, vcc, 1.0, v24, 1.0
	v_fma_f32 v31, -v27, v30, 1.0
	v_fmac_f32_e32 v30, v31, v30
	v_mul_f32_e32 v31, v20, v30
	v_fma_f32 v32, -v27, v31, v20
	v_fmac_f32_e32 v31, v32, v30
	v_fma_f32 v20, -v27, v31, v20
	v_div_fmas_f32 v20, v20, v30, v31
	v_div_fixup_f32 v24, v20, v24, 1.0
	v_mul_f32_e32 v20, v26, v24
	v_mul_f32_e32 v24, v21, v24
	v_pk_add_f32 v[22:23], v[4:5], 0 neg_lo:[1,1] neg_hi:[1,1]
	v_mov_b32_e32 v55, v10
	v_mov_b32_e32 v57, v8
	v_pk_mov_b32 v[22:23], v[4:5], v[22:23] op_sel:[1,0]
	v_mov_b32_e32 v2, v3
	v_mov_b32_e32 v18, v6
	;; [unrolled: 1-line block ×3, first 2 shown]
	s_waitcnt vmcnt(3)
	v_mul_f32_e64 v26, v24, -v29
	v_mul_f32_e32 v30, v24, v28
	v_fmac_f32_e32 v26, v28, v20
	s_waitcnt vmcnt(2)
	v_mul_f32_e64 v28, v24, -v35
	v_mul_f32_e32 v32, v24, v34
	v_fmac_f32_e32 v28, v34, v20
	s_waitcnt vmcnt(1)
	v_mul_f32_e64 v34, v24, -v37
	v_mul_f32_e32 v38, v24, v36
	s_waitcnt vmcnt(0)
	v_mul_f32_e32 v40, v24, v52
	v_fmac_f32_e32 v30, v29, v20
	v_fmac_f32_e32 v32, v35, v20
	;; [unrolled: 1-line block ×4, first 2 shown]
	v_mul_f32_e64 v36, v24, -v53
	v_fmac_f32_e32 v40, v53, v20
	v_pk_mul_f32 v[58:59], v[30:31], v[54:55] op_sel_hi:[0,1]
	v_pk_mul_f32 v[54:55], v[32:33], v[54:55] op_sel_hi:[0,1]
	v_fmac_f32_e32 v36, v52, v20
	v_pk_mul_f32 v[52:53], v[38:39], v[56:57] op_sel_hi:[0,1]
	v_pk_mul_f32 v[56:57], v[40:41], v[56:57] op_sel_hi:[0,1]
	;; [unrolled: 1-line block ×3, first 2 shown]
	v_pk_fma_f32 v[58:59], v[10:11], v[26:27], v[58:59] op_sel_hi:[1,0,1]
	v_pk_mul_f32 v[62:63], v[22:23], v[32:33] op_sel_hi:[1,0]
	v_pk_fma_f32 v[10:11], v[10:11], v[28:29], v[54:55] op_sel_hi:[1,0,1]
	v_pk_mul_f32 v[54:55], v[38:39], v[16:17] op_sel_hi:[0,1]
	v_pk_fma_f32 v[52:53], v[8:9], v[34:35], v[52:53] op_sel_hi:[1,0,1]
	v_pk_mul_f32 v[64:65], v[40:41], v[16:17] op_sel_hi:[0,1]
	v_pk_fma_f32 v[8:9], v[8:9], v[36:37], v[56:57] op_sel_hi:[1,0,1]
	v_pk_fma_f32 v[60:61], v[4:5], v[26:27], v[60:61] op_sel_hi:[1,0,1] neg_lo:[1,0,0] neg_hi:[1,0,0]
	v_pk_fma_f32 v[62:63], v[4:5], v[28:29], v[62:63] op_sel_hi:[1,0,1] neg_lo:[1,0,0] neg_hi:[1,0,0]
	v_pk_fma_f32 v[54:55], v[6:7], v[34:35], v[54:55] op_sel_hi:[1,0,1]
	v_pk_add_f32 v[52:53], v[58:59], v[52:53] neg_lo:[0,1] neg_hi:[0,1]
	v_pk_fma_f32 v[56:57], v[6:7], v[36:37], v[64:65] op_sel_hi:[1,0,1]
	v_pk_add_f32 v[8:9], v[10:11], v[8:9] neg_lo:[0,1] neg_hi:[0,1]
	v_pk_add_f32 v[54:55], v[60:61], v[54:55]
	global_store_dwordx2 v[44:45], v[52:53], off
	v_pk_add_f32 v[10:11], v[62:63], v[56:57]
	global_store_dwordx2 v[46:47], v[8:9], off
	global_store_dwordx2 v[48:49], v[54:55], off
	;; [unrolled: 1-line block ×3, first 2 shown]
	v_mov_b64_e32 v[8:9], v[2:3]
	s_and_saveexec_b64 s[20:21], s[2:3]
	s_cbranch_execz .LBB211_16
; %bb.15:                               ;   in Loop: Header=BB211_5 Depth=1
	v_add_u32_e32 v8, v42, v1
	v_add_u32_e32 v2, s28, v8
	v_ashrrev_i32_e32 v9, 31, v8
	v_lshl_add_u64 v[10:11], v[2:3], 3, s[8:9]
	v_add_u32_e32 v2, s29, v8
	v_lshl_add_u64 v[8:9], v[8:9], 3, s[14:15]
	v_lshl_add_u64 v[44:45], v[2:3], 3, s[8:9]
	global_load_dwordx2 v[46:47], v[10:11], off
	global_load_dwordx2 v[48:49], v[44:45], off
	v_mov_b32_e32 v2, v15
	global_load_dwordx2 v[8:9], v[8:9], off
	v_xor_b32_e32 v50, 0x80000000, v15
	v_mov_b32_e32 v51, v14
	v_pk_mul_f32 v[22:23], v[2:3], v[22:23] op_sel_hi:[0,1]
	v_pk_mul_f32 v[16:17], v[2:3], v[16:17] op_sel_hi:[0,1]
	v_pk_mul_f32 v[50:51], v[6:7], v[50:51] op_sel:[1,0]
	v_pk_fma_f32 v[4:5], v[4:5], v[14:15], v[22:23] op_sel_hi:[1,0,1] neg_lo:[1,0,0] neg_hi:[1,0,0]
	v_pk_fma_f32 v[6:7], v[6:7], v[14:15], v[16:17] op_sel_hi:[1,0,1]
	v_pk_fma_f32 v[14:15], v[14:15], v[18:19], v[50:51]
	v_mov_b32_e32 v52, v13
	v_pk_add_f32 v[16:17], v[4:5], 0 neg_lo:[1,1] neg_hi:[1,1]
	v_xor_b32_e32 v22, 0x80000000, v15
	v_mov_b32_e32 v23, v14
	v_mov_b32_e32 v31, v30
	;; [unrolled: 1-line block ×5, first 2 shown]
	v_xor_b32_e32 v18, 0x80000000, v7
	v_mov_b32_e32 v19, v6
	v_pk_mov_b32 v[16:17], v[4:5], v[16:17] op_sel:[1,0]
	v_pk_mul_f32 v[22:23], v[52:53], v[22:23] op_sel_hi:[0,1]
	v_mov_b32_e32 v27, v26
	v_mov_b32_e32 v35, v34
	v_mov_b32_e32 v29, v28
	v_mov_b32_e32 v37, v36
	v_pk_mul_f32 v[38:39], v[38:39], v[18:19]
	v_pk_mul_f32 v[18:19], v[40:41], v[18:19]
	;; [unrolled: 1-line block ×4, first 2 shown]
	v_pk_fma_f32 v[12:13], v[14:15], v[12:13], v[22:23] op_sel_hi:[1,0,1]
	v_pk_fma_f32 v[34:35], v[6:7], v[34:35], v[38:39]
	v_pk_fma_f32 v[6:7], v[6:7], v[36:37], v[18:19]
	v_pk_fma_f32 v[14:15], v[4:5], v[26:27], v[30:31] neg_lo:[1,0,0] neg_hi:[1,0,0]
	v_pk_fma_f32 v[4:5], v[4:5], v[28:29], v[16:17] neg_lo:[1,0,0] neg_hi:[1,0,0]
	v_xor_b32_e32 v16, 0x80000000, v13
	v_mov_b32_e32 v17, v12
	v_pk_add_f32 v[4:5], v[4:5], v[6:7] neg_lo:[0,1] neg_hi:[0,1]
	v_pk_mul_f32 v[6:7], v[24:25], v[16:17] op_sel_hi:[0,1]
	v_pk_add_f32 v[14:15], v[14:15], v[34:35] neg_lo:[0,1] neg_hi:[0,1]
	v_pk_fma_f32 v[6:7], v[12:13], v[20:21], v[6:7] op_sel_hi:[1,0,1]
	s_waitcnt vmcnt(2)
	v_pk_add_f32 v[12:13], v[14:15], v[46:47]
	s_waitcnt vmcnt(1)
	v_pk_add_f32 v[4:5], v[4:5], v[48:49]
	global_store_dwordx2 v[10:11], v[12:13], off
	s_waitcnt vmcnt(1)
	v_pk_add_f32 v[8:9], v[8:9], v[6:7] neg_lo:[0,1] neg_hi:[0,1]
	global_store_dwordx2 v[44:45], v[4:5], off
.LBB211_16:                             ;   in Loop: Header=BB211_5 Depth=1
	s_or_b64 exec, exec, s[20:21]
	v_mov_b64_e32 v[6:7], v[8:9]
                                        ; implicit-def: $vgpr8_vgpr9
                                        ; implicit-def: $vgpr4
                                        ; implicit-def: $vgpr10_vgpr11
                                        ; implicit-def: $vgpr16
                                        ; implicit-def: $vgpr20
.LBB211_17:                             ;   in Loop: Header=BB211_5 Depth=1
	s_or_saveexec_b64 s[2:3], s[4:5]
	v_mov_b32_e32 v12, s27
	s_xor_b64 exec, exec, s[2:3]
	s_cbranch_execz .LBB211_4
; %bb.18:                               ;   in Loop: Header=BB211_5 Depth=1
	v_lshl_add_u64 v[18:19], v[2:3], 3, s[8:9]
	v_mov_b32_e32 v17, v3
	global_load_dwordx2 v[14:15], v[18:19], off
	v_lshl_add_u64 v[22:23], v[16:17], 3, s[8:9]
	global_load_dwordx2 v[16:17], v[22:23], off
	v_mul_f32_e32 v2, v7, v7
	v_fmac_f32_e32 v2, v6, v6
	v_div_scale_f32 v13, s[4:5], v2, v2, 1.0
	v_rcp_f32_e32 v21, v13
	v_fma_f32 v12, 0, v7, v6
	v_fma_f32 v7, v6, 0, -v7
	v_div_scale_f32 v6, vcc, 1.0, v2, 1.0
	v_fma_f32 v24, -v13, v21, 1.0
	v_fmac_f32_e32 v21, v24, v21
	v_mul_f32_e32 v24, v6, v21
	v_fma_f32 v26, -v13, v24, v6
	v_fmac_f32_e32 v24, v26, v21
	v_fma_f32 v6, -v13, v24, v6
	v_div_fmas_f32 v6, v6, v21, v24
	v_div_fixup_f32 v2, v6, v2, 1.0
	v_mul_f32_e32 v6, v12, v2
	v_mul_f32_e32 v12, v7, v2
	s_waitcnt vmcnt(1)
	v_pk_mul_f32 v[26:27], v[12:13], v[14:15] op_sel:[0,1] op_sel_hi:[0,0] neg_lo:[0,1]
	v_pk_fma_f32 v[14:15], v[14:15], v[6:7], v[26:27] op_sel_hi:[1,0,1]
	s_waitcnt vmcnt(0)
	v_pk_mul_f32 v[26:27], v[12:13], v[16:17] op_sel:[0,1] op_sel_hi:[0,0] neg_lo:[0,1]
	v_pk_fma_f32 v[16:17], v[16:17], v[6:7], v[26:27] op_sel_hi:[1,0,1]
	global_store_dwordx2 v[18:19], v[14:15], off
	global_store_dwordx2 v[22:23], v[16:17], off
	s_and_saveexec_b64 s[4:5], s[0:1]
	s_cbranch_execz .LBB211_3
; %bb.19:                               ;   in Loop: Header=BB211_5 Depth=1
	v_add_u32_e32 v7, v25, v1
	v_add_u32_e32 v2, s28, v7
	v_lshl_add_u64 v[18:19], v[2:3], 3, s[8:9]
	v_add_u32_e32 v2, s29, v7
	global_load_dwordx2 v[22:23], v[18:19], off
	v_lshl_add_u64 v[26:27], v[2:3], 3, s[8:9]
	global_load_dwordx2 v[28:29], v[26:27], off
	v_xor_b32_e32 v30, 0x80000000, v4
	v_mov_b32_e32 v31, v20
	v_mov_b32_e32 v32, v5
	;; [unrolled: 1-line block ×3, first 2 shown]
	s_waitcnt vmcnt(1)
	v_pk_fma_f32 v[22:23], v[30:31], v[14:15], v[22:23] op_sel_hi:[1,0,1]
	s_nop 0
	v_pk_fma_f32 v[14:15], v[32:33], v[14:15], v[22:23] op_sel:[0,1,0]
	s_waitcnt vmcnt(0)
	v_pk_fma_f32 v[22:23], v[30:31], v[16:17], v[28:29] op_sel_hi:[1,0,1]
	global_store_dwordx2 v[18:19], v[14:15], off
	v_pk_fma_f32 v[14:15], v[32:33], v[16:17], v[22:23] op_sel:[0,1,0]
	global_store_dwordx2 v[26:27], v[14:15], off
	s_branch .LBB211_3
.LBB211_20:
	s_or_b64 exec, exec, s[18:19]
	s_branch .LBB211_22
.LBB211_21:
	v_mov_b32_e32 v1, 0
.LBB211_22:
	v_subrev_u32_e32 v1, s22, v1
	v_add_u32_e32 v2, v1, v0
	v_ashrrev_i32_e32 v3, 31, v2
	s_waitcnt lgkmcnt(0)
	v_lshl_add_u64 v[2:3], v[2:3], 2, s[6:7]
	buffer_wbl2 sc1
	s_waitcnt vmcnt(0)
	buffer_inv sc1
	global_load_dword v2, v[2:3], off
	s_waitcnt vmcnt(0)
	v_mul_lo_u32 v2, v2, s22
	v_sub_u32_e32 v1, v1, v2
	v_cmp_lt_i32_e32 vcc, -1, v1
	s_and_b64 exec, exec, vcc
	s_cbranch_execz .LBB211_29
; %bb.23:
	s_lshl_b32 s4, s24, 1
	s_add_i32 s5, s4, s23
	s_lshl_b32 s12, s22, 1
	s_mov_b64 s[0:1], 0
	v_mov_b32_e32 v3, 0
	s_branch .LBB211_25
.LBB211_24:                             ;   in Loop: Header=BB211_25 Depth=1
	s_or_b64 exec, exec, s[2:3]
	v_sub_u32_e32 v1, v1, v2
	v_cmp_gt_i32_e32 vcc, 0, v1
	s_or_b64 s[0:1], vcc, s[0:1]
	s_andn2_b64 exec, exec, s[0:1]
	s_cbranch_execz .LBB211_29
.LBB211_25:                             ; =>This Inner Loop Header: Depth=1
	v_add_u32_e32 v4, v1, v0
	v_ashrrev_i32_e32 v5, 31, v4
	s_waitcnt vmcnt(0)
	v_lshl_add_u64 v[6:7], v[4:5], 2, s[6:7]
	global_load_dword v2, v[6:7], off
	v_lshl_add_u64 v[6:7], v[4:5], 3, s[10:11]
	global_load_dwordx2 v[6:7], v[6:7], off
	s_waitcnt vmcnt(1)
	v_cmp_ne_u32_e32 vcc, 1, v2
	s_and_saveexec_b64 s[2:3], vcc
	s_xor_b64 s[2:3], exec, s[2:3]
	s_cbranch_execz .LBB211_27
; %bb.26:                               ;   in Loop: Header=BB211_25 Depth=1
	v_add_u32_e32 v5, v25, v1
	v_add_u32_e32 v2, s4, v5
	v_lshl_add_u64 v[8:9], v[2:3], 3, s[8:9]
	v_add_u32_e32 v2, s5, v5
	v_lshl_add_u64 v[10:11], v[2:3], 3, s[8:9]
	;; [unrolled: 2-line block ×3, first 2 shown]
	global_load_dwordx2 v[14:15], v[8:9], off
	global_load_dwordx2 v[16:17], v[12:13], off
	;; [unrolled: 1-line block ×3, first 2 shown]
	s_waitcnt vmcnt(3)
	v_pk_add_f32 v[8:9], v[6:7], 0 neg_lo:[1,1] neg_hi:[1,1]
	v_xor_b32_e32 v11, 0x80000000, v7
	v_mov_b32_e32 v10, v8
	v_pk_mov_b32 v[6:7], v[6:7], v[8:9] op_sel:[1,0]
	v_add_u32_e32 v2, s5, v4
	v_lshl_add_u64 v[4:5], v[2:3], 3, s[8:9]
	v_subrev_u32_e32 v2, s22, v1
	s_waitcnt vmcnt(1)
	v_pk_fma_f32 v[8:9], v[10:11], v[14:15], v[16:17] op_sel_hi:[1,0,1]
	s_nop 0
	v_pk_fma_f32 v[8:9], v[6:7], v[14:15], v[8:9] op_sel:[0,1,0]
	global_store_dwordx2 v[12:13], v[8:9], off
	global_load_dwordx2 v[8:9], v[4:5], off
	v_add_u32_e32 v12, v2, v0
	v_ashrrev_i32_e32 v13, 31, v12
	v_lshl_add_u64 v[16:17], v[12:13], 3, s[10:11]
	v_add_u32_e32 v2, s4, v12
	global_load_dwordx2 v[16:17], v[16:17], off
	v_lshl_add_u64 v[20:21], v[2:3], 3, s[8:9]
	v_add_u32_e32 v2, s5, v12
	s_waitcnt vmcnt(1)
	v_pk_fma_f32 v[8:9], v[10:11], v[18:19], v[8:9] op_sel_hi:[1,0,1]
	s_nop 0
	v_pk_fma_f32 v[6:7], v[6:7], v[18:19], v[8:9] op_sel:[0,1,0]
	global_store_dwordx2 v[4:5], v[6:7], off
	global_load_dwordx2 v[4:5], v[20:21], off
	v_lshl_add_u64 v[6:7], v[2:3], 3, s[8:9]
	s_waitcnt vmcnt(2)
	v_pk_add_f32 v[8:9], v[16:17], 0 neg_lo:[1,1] neg_hi:[1,1]
	s_waitcnt vmcnt(0)
	v_pk_fma_f32 v[4:5], v[16:17], v[14:15], v[4:5] op_sel_hi:[1,0,1] neg_lo:[1,0,0] neg_hi:[1,0,0]
	v_pk_mov_b32 v[8:9], v[16:17], v[8:9] op_sel:[1,0]
	s_nop 0
	v_pk_fma_f32 v[4:5], v[8:9], v[14:15], v[4:5] op_sel:[0,1,0]
	global_store_dwordx2 v[20:21], v[4:5], off
	global_load_dwordx2 v[4:5], v[6:7], off
	s_waitcnt vmcnt(0)
	v_pk_fma_f32 v[4:5], v[16:17], v[18:19], v[4:5] op_sel_hi:[1,0,1] neg_lo:[1,0,0] neg_hi:[1,0,0]
	s_nop 0
	v_pk_fma_f32 v[4:5], v[8:9], v[18:19], v[4:5] op_sel:[0,1,0]
	global_store_dwordx2 v[6:7], v[4:5], off
                                        ; implicit-def: $vgpr4
                                        ; implicit-def: $vgpr6_vgpr7
.LBB211_27:                             ;   in Loop: Header=BB211_25 Depth=1
	s_or_saveexec_b64 s[2:3], s[2:3]
	v_mov_b32_e32 v2, s12
	s_xor_b64 exec, exec, s[2:3]
	s_cbranch_execz .LBB211_24
; %bb.28:                               ;   in Loop: Header=BB211_25 Depth=1
	v_add_u32_e32 v5, v25, v1
	v_add_u32_e32 v2, s4, v5
	v_lshl_add_u64 v[8:9], v[2:3], 3, s[8:9]
	v_add_u32_e32 v2, s4, v4
	v_lshl_add_u64 v[10:11], v[2:3], 3, s[8:9]
	global_load_dwordx2 v[12:13], v[8:9], off
	global_load_dwordx2 v[14:15], v[10:11], off
	s_waitcnt vmcnt(2)
	v_pk_add_f32 v[8:9], v[6:7], 0 neg_lo:[1,1] neg_hi:[1,1]
	v_xor_b32_e32 v17, 0x80000000, v7
	v_mov_b32_e32 v16, v8
	v_pk_mov_b32 v[8:9], v[6:7], v[8:9] op_sel:[1,0]
	v_add_u32_e32 v2, s5, v5
	v_lshl_add_u64 v[18:19], v[2:3], 3, s[8:9]
	v_add_u32_e32 v2, s5, v4
	v_lshl_add_u64 v[4:5], v[2:3], 3, s[8:9]
	v_mov_b32_e32 v2, s22
	s_waitcnt vmcnt(0)
	v_pk_fma_f32 v[14:15], v[16:17], v[12:13], v[14:15] op_sel_hi:[1,0,1]
	s_nop 0
	v_pk_fma_f32 v[12:13], v[8:9], v[12:13], v[14:15] op_sel:[0,1,0]
	global_store_dwordx2 v[10:11], v[12:13], off
	global_load_dwordx2 v[10:11], v[18:19], off
	s_nop 0
	global_load_dwordx2 v[12:13], v[4:5], off
	s_waitcnt vmcnt(0)
	v_pk_fma_f32 v[6:7], v[6:7], v[10:11], v[12:13] op_sel_hi:[1,0,1] neg_lo:[1,0,0] neg_hi:[1,0,0]
	s_nop 0
	v_pk_fma_f32 v[6:7], v[8:9], v[10:11], v[6:7] op_sel:[0,1,0]
	global_store_dwordx2 v[4:5], v[6:7], off
	s_branch .LBB211_24
.LBB211_29:
	s_endpgm
	.section	.rodata,"a",@progbits
	.p2align	6, 0x0
	.amdhsa_kernel _ZN9rocsparseL19gtsv_LBM_rhs_kernelILj256ELj8ELj2E21rocsparse_complex_numIfEEEviiiPKT2_S5_S5_PS3_S5_PKi
		.amdhsa_group_segment_fixed_size 0
		.amdhsa_private_segment_fixed_size 0
		.amdhsa_kernarg_size 64
		.amdhsa_user_sgpr_count 2
		.amdhsa_user_sgpr_dispatch_ptr 0
		.amdhsa_user_sgpr_queue_ptr 0
		.amdhsa_user_sgpr_kernarg_segment_ptr 1
		.amdhsa_user_sgpr_dispatch_id 0
		.amdhsa_user_sgpr_kernarg_preload_length 0
		.amdhsa_user_sgpr_kernarg_preload_offset 0
		.amdhsa_user_sgpr_private_segment_size 0
		.amdhsa_uses_dynamic_stack 0
		.amdhsa_enable_private_segment 0
		.amdhsa_system_sgpr_workgroup_id_x 1
		.amdhsa_system_sgpr_workgroup_id_y 1
		.amdhsa_system_sgpr_workgroup_id_z 0
		.amdhsa_system_sgpr_workgroup_info 0
		.amdhsa_system_vgpr_workitem_id 0
		.amdhsa_next_free_vgpr 66
		.amdhsa_next_free_sgpr 30
		.amdhsa_accum_offset 68
		.amdhsa_reserve_vcc 1
		.amdhsa_float_round_mode_32 0
		.amdhsa_float_round_mode_16_64 0
		.amdhsa_float_denorm_mode_32 3
		.amdhsa_float_denorm_mode_16_64 3
		.amdhsa_dx10_clamp 1
		.amdhsa_ieee_mode 1
		.amdhsa_fp16_overflow 0
		.amdhsa_tg_split 0
		.amdhsa_exception_fp_ieee_invalid_op 0
		.amdhsa_exception_fp_denorm_src 0
		.amdhsa_exception_fp_ieee_div_zero 0
		.amdhsa_exception_fp_ieee_overflow 0
		.amdhsa_exception_fp_ieee_underflow 0
		.amdhsa_exception_fp_ieee_inexact 0
		.amdhsa_exception_int_div_zero 0
	.end_amdhsa_kernel
	.section	.text._ZN9rocsparseL19gtsv_LBM_rhs_kernelILj256ELj8ELj2E21rocsparse_complex_numIfEEEviiiPKT2_S5_S5_PS3_S5_PKi,"axG",@progbits,_ZN9rocsparseL19gtsv_LBM_rhs_kernelILj256ELj8ELj2E21rocsparse_complex_numIfEEEviiiPKT2_S5_S5_PS3_S5_PKi,comdat
.Lfunc_end211:
	.size	_ZN9rocsparseL19gtsv_LBM_rhs_kernelILj256ELj8ELj2E21rocsparse_complex_numIfEEEviiiPKT2_S5_S5_PS3_S5_PKi, .Lfunc_end211-_ZN9rocsparseL19gtsv_LBM_rhs_kernelILj256ELj8ELj2E21rocsparse_complex_numIfEEEviiiPKT2_S5_S5_PS3_S5_PKi
                                        ; -- End function
	.set _ZN9rocsparseL19gtsv_LBM_rhs_kernelILj256ELj8ELj2E21rocsparse_complex_numIfEEEviiiPKT2_S5_S5_PS3_S5_PKi.num_vgpr, 66
	.set _ZN9rocsparseL19gtsv_LBM_rhs_kernelILj256ELj8ELj2E21rocsparse_complex_numIfEEEviiiPKT2_S5_S5_PS3_S5_PKi.num_agpr, 0
	.set _ZN9rocsparseL19gtsv_LBM_rhs_kernelILj256ELj8ELj2E21rocsparse_complex_numIfEEEviiiPKT2_S5_S5_PS3_S5_PKi.numbered_sgpr, 30
	.set _ZN9rocsparseL19gtsv_LBM_rhs_kernelILj256ELj8ELj2E21rocsparse_complex_numIfEEEviiiPKT2_S5_S5_PS3_S5_PKi.num_named_barrier, 0
	.set _ZN9rocsparseL19gtsv_LBM_rhs_kernelILj256ELj8ELj2E21rocsparse_complex_numIfEEEviiiPKT2_S5_S5_PS3_S5_PKi.private_seg_size, 0
	.set _ZN9rocsparseL19gtsv_LBM_rhs_kernelILj256ELj8ELj2E21rocsparse_complex_numIfEEEviiiPKT2_S5_S5_PS3_S5_PKi.uses_vcc, 1
	.set _ZN9rocsparseL19gtsv_LBM_rhs_kernelILj256ELj8ELj2E21rocsparse_complex_numIfEEEviiiPKT2_S5_S5_PS3_S5_PKi.uses_flat_scratch, 0
	.set _ZN9rocsparseL19gtsv_LBM_rhs_kernelILj256ELj8ELj2E21rocsparse_complex_numIfEEEviiiPKT2_S5_S5_PS3_S5_PKi.has_dyn_sized_stack, 0
	.set _ZN9rocsparseL19gtsv_LBM_rhs_kernelILj256ELj8ELj2E21rocsparse_complex_numIfEEEviiiPKT2_S5_S5_PS3_S5_PKi.has_recursion, 0
	.set _ZN9rocsparseL19gtsv_LBM_rhs_kernelILj256ELj8ELj2E21rocsparse_complex_numIfEEEviiiPKT2_S5_S5_PS3_S5_PKi.has_indirect_call, 0
	.section	.AMDGPU.csdata,"",@progbits
; Kernel info:
; codeLenInByte = 2604
; TotalNumSgprs: 36
; NumVgprs: 66
; NumAgprs: 0
; TotalNumVgprs: 66
; ScratchSize: 0
; MemoryBound: 0
; FloatMode: 240
; IeeeMode: 1
; LDSByteSize: 0 bytes/workgroup (compile time only)
; SGPRBlocks: 4
; VGPRBlocks: 8
; NumSGPRsForWavesPerEU: 36
; NumVGPRsForWavesPerEU: 66
; AccumOffset: 68
; Occupancy: 7
; WaveLimiterHint : 0
; COMPUTE_PGM_RSRC2:SCRATCH_EN: 0
; COMPUTE_PGM_RSRC2:USER_SGPR: 2
; COMPUTE_PGM_RSRC2:TRAP_HANDLER: 0
; COMPUTE_PGM_RSRC2:TGID_X_EN: 1
; COMPUTE_PGM_RSRC2:TGID_Y_EN: 1
; COMPUTE_PGM_RSRC2:TGID_Z_EN: 0
; COMPUTE_PGM_RSRC2:TIDIG_COMP_CNT: 0
; COMPUTE_PGM_RSRC3_GFX90A:ACCUM_OFFSET: 16
; COMPUTE_PGM_RSRC3_GFX90A:TG_SPLIT: 0
	.section	.text._ZN9rocsparseL19gtsv_LBM_rhs_kernelILj256ELj8ELj1E21rocsparse_complex_numIfEEEviiiPKT2_S5_S5_PS3_S5_PKi,"axG",@progbits,_ZN9rocsparseL19gtsv_LBM_rhs_kernelILj256ELj8ELj1E21rocsparse_complex_numIfEEEviiiPKT2_S5_S5_PS3_S5_PKi,comdat
	.globl	_ZN9rocsparseL19gtsv_LBM_rhs_kernelILj256ELj8ELj1E21rocsparse_complex_numIfEEEviiiPKT2_S5_S5_PS3_S5_PKi ; -- Begin function _ZN9rocsparseL19gtsv_LBM_rhs_kernelILj256ELj8ELj1E21rocsparse_complex_numIfEEEviiiPKT2_S5_S5_PS3_S5_PKi
	.p2align	8
	.type	_ZN9rocsparseL19gtsv_LBM_rhs_kernelILj256ELj8ELj1E21rocsparse_complex_numIfEEEviiiPKT2_S5_S5_PS3_S5_PKi,@function
_ZN9rocsparseL19gtsv_LBM_rhs_kernelILj256ELj8ELj1E21rocsparse_complex_numIfEEEviiiPKT2_S5_S5_PS3_S5_PKi: ; @_ZN9rocsparseL19gtsv_LBM_rhs_kernelILj256ELj8ELj1E21rocsparse_complex_numIfEEEviiiPKT2_S5_S5_PS3_S5_PKi
; %bb.0:
	s_load_dword s24, s[0:1], 0x0
	v_lshl_or_b32 v0, s2, 8, v0
	s_waitcnt lgkmcnt(0)
	s_lshr_b32 s22, s24, 3
	v_cmp_gt_i32_e32 vcc, s22, v0
	s_and_saveexec_b64 s[4:5], vcc
	s_cbranch_execz .LBB212_29
; %bb.1:
	s_load_dwordx4 s[8:11], s[0:1], 0x28
	s_load_dwordx2 s[6:7], s[0:1], 0x38
	s_cmp_lt_i32 s24, 1
	s_mul_i32 s23, s24, s3
	s_cbranch_scc1 .LBB212_21
; %bb.2:
	s_load_dwordx4 s[12:15], s[0:1], 0x10
	s_load_dwordx2 s[16:17], s[0:1], 0x20
	v_ashrrev_i32_e32 v1, 31, v0
	v_add_u32_e32 v25, s22, v0
	s_mul_i32 s25, s22, 7
	s_waitcnt lgkmcnt(0)
	v_lshl_add_u64 v[2:3], v[0:1], 3, s[14:15]
	global_load_dwordx2 v[4:5], v[2:3], off
	s_mul_i32 s26, s22, 6
	s_lshl_b32 s27, s22, 1
	v_add_u32_e32 v34, s22, v25
	v_add_u32_e32 v35, s23, v25
	v_mov_b32_e32 v3, 0
	s_mov_b64 s[18:19], 0
	v_mov_b32_e32 v1, 0
	s_branch .LBB212_5
.LBB212_3:                              ;   in Loop: Header=BB212_5 Depth=1
	s_or_b64 exec, exec, s[4:5]
	v_mov_b32_e32 v17, v6
	v_pk_mul_f32 v[14:15], v[8:9], v[16:17] op_sel:[1,0]
	s_nop 0
	v_pk_fma_f32 v[6:7], v[6:7], v[8:9], v[14:15] op_sel_hi:[1,0,1]
	s_nop 0
	v_xor_b32_e32 v8, 0x80000000, v7
	v_mov_b32_e32 v9, v6
	v_pk_mul_f32 v[4:5], v[4:5], v[8:9] op_sel_hi:[0,1]
	v_pk_fma_f32 v[4:5], v[6:7], v[12:13], v[4:5] op_sel_hi:[1,0,1]
	v_mov_b32_e32 v12, s22
	v_pk_add_f32 v[4:5], v[10:11], v[4:5] neg_lo:[0,1] neg_hi:[0,1]
.LBB212_4:                              ;   in Loop: Header=BB212_5 Depth=1
	s_or_b64 exec, exec, s[2:3]
	v_add_u32_e32 v1, v12, v1
	v_cmp_le_i32_e32 vcc, s24, v1
	s_or_b64 s[18:19], vcc, s[18:19]
	s_andn2_b64 exec, exec, s[18:19]
	s_cbranch_execz .LBB212_20
.LBB212_5:                              ; =>This Inner Loop Header: Depth=1
	v_add_u32_e32 v16, v1, v0
	v_ashrrev_i32_e32 v17, 31, v16
	v_lshl_add_u64 v[6:7], v[16:17], 3, s[16:17]
	global_load_dwordx2 v[8:9], v[6:7], off
	v_cmp_gt_u32_e64 s[0:1], s25, v1
	v_add_u32_e32 v14, v25, v1
	v_mov_b32_e32 v6, 0
	v_mov_b32_e32 v7, 0
	s_and_saveexec_b64 s[2:3], s[0:1]
	s_cbranch_execz .LBB212_7
; %bb.6:                                ;   in Loop: Header=BB212_5 Depth=1
	v_ashrrev_i32_e32 v15, 31, v14
	v_lshl_add_u64 v[6:7], v[14:15], 3, s[12:13]
	global_load_dwordx2 v[6:7], v[6:7], off
.LBB212_7:                              ;   in Loop: Header=BB212_5 Depth=1
	s_or_b64 exec, exec, s[2:3]
	v_mov_b32_e32 v12, 0
	v_mov_b32_e32 v10, 0
	;; [unrolled: 1-line block ×3, first 2 shown]
	s_and_saveexec_b64 s[2:3], s[0:1]
	s_cbranch_execz .LBB212_9
; %bb.8:                                ;   in Loop: Header=BB212_5 Depth=1
	v_ashrrev_i32_e32 v15, 31, v14
	v_lshl_add_u64 v[10:11], v[14:15], 3, s[14:15]
	global_load_dwordx2 v[10:11], v[10:11], off
.LBB212_9:                              ;   in Loop: Header=BB212_5 Depth=1
	s_or_b64 exec, exec, s[2:3]
	v_mov_b32_e32 v13, 0
	s_and_saveexec_b64 s[2:3], s[0:1]
	s_cbranch_execz .LBB212_11
; %bb.10:                               ;   in Loop: Header=BB212_5 Depth=1
	v_ashrrev_i32_e32 v15, 31, v14
	v_lshl_add_u64 v[12:13], v[14:15], 3, s[16:17]
	global_load_dwordx2 v[12:13], v[12:13], off
.LBB212_11:                             ;   in Loop: Header=BB212_5 Depth=1
	s_or_b64 exec, exec, s[2:3]
	v_cmp_gt_u32_e64 s[2:3], s26, v1
	v_mov_b32_e32 v14, 0
	v_mov_b32_e32 v15, 0
	s_and_saveexec_b64 s[4:5], s[2:3]
	s_cbranch_execz .LBB212_13
; %bb.12:                               ;   in Loop: Header=BB212_5 Depth=1
	v_add_u32_e32 v14, v34, v1
	v_ashrrev_i32_e32 v15, 31, v14
	v_lshl_add_u64 v[14:15], v[14:15], 3, s[12:13]
	global_load_dwordx2 v[14:15], v[14:15], off
.LBB212_13:                             ;   in Loop: Header=BB212_5 Depth=1
	s_or_b64 exec, exec, s[4:5]
	v_lshl_add_u64 v[18:19], v[16:17], 2, s[6:7]
	global_load_dword v17, v[18:19], off
	v_cmp_ne_u32_e32 vcc, s25, v1
	v_add_u32_e32 v2, s23, v16
	s_waitcnt vmcnt(1)
	v_xor_b32_e32 v16, 0x80000000, v7
	s_waitcnt vmcnt(0)
	v_cmp_ne_u32_e64 s[4:5], 1, v17
	s_and_b64 s[4:5], vcc, s[4:5]
	s_and_saveexec_b64 s[20:21], s[4:5]
	s_xor_b64 s[4:5], exec, s[20:21]
	s_cbranch_execz .LBB212_17
; %bb.14:                               ;   in Loop: Header=BB212_5 Depth=1
	v_lshl_add_u64 v[36:37], v[2:3], 3, s[8:9]
	v_add_u32_e32 v2, v35, v1
	global_load_dwordx2 v[30:31], v[36:37], off
	v_lshl_add_u64 v[38:39], v[2:3], 3, s[8:9]
	global_load_dwordx2 v[40:41], v[38:39], off
	v_xor_b32_e32 v18, 0x80000000, v5
	v_mov_b32_e32 v19, v4
	v_mov_b32_e32 v17, v6
	v_pk_mul_f32 v[26:27], v[10:11], v[18:19] op_sel:[1,0]
	v_pk_mul_f32 v[16:17], v[8:9], v[16:17] op_sel:[1,0]
	v_pk_fma_f32 v[26:27], v[4:5], v[10:11], v[26:27] op_sel_hi:[1,0,1]
	v_pk_fma_f32 v[16:17], v[6:7], v[8:9], v[16:17] op_sel_hi:[1,0,1]
	v_xor_b32_e32 v42, 0x80000000, v11
	v_pk_add_f32 v[16:17], v[26:27], v[16:17] neg_lo:[0,1] neg_hi:[0,1]
	v_mov_b32_e32 v43, v10
	v_mul_f32_e32 v24, v17, v17
	v_fmac_f32_e32 v24, v16, v16
	v_div_scale_f32 v27, s[20:21], v24, v24, 1.0
	v_rcp_f32_e32 v28, v27
	v_fma_f32 v26, 0, v17, v16
	v_fma_f32 v17, v16, 0, -v17
	v_div_scale_f32 v16, vcc, 1.0, v24, 1.0
	v_fma_f32 v29, -v27, v28, 1.0
	v_fmac_f32_e32 v28, v29, v28
	v_mul_f32_e32 v29, v16, v28
	v_fma_f32 v32, -v27, v29, v16
	v_fmac_f32_e32 v29, v32, v28
	v_fma_f32 v16, -v27, v29, v16
	v_div_fmas_f32 v16, v16, v28, v29
	v_div_fixup_f32 v24, v16, v24, 1.0
	v_mul_f32_e32 v16, v26, v24
	v_mul_f32_e32 v24, v17, v24
	v_xor_b32_e32 v44, 0x80000000, v9
	v_pk_add_f32 v[22:23], v[6:7], 0 neg_lo:[1,1] neg_hi:[1,1]
	v_mov_b32_e32 v45, v8
	v_pk_mov_b32 v[22:23], v[6:7], v[22:23] op_sel:[1,0]
	v_mov_b32_e32 v2, v3
	v_mov_b32_e32 v20, v4
	v_mov_b32_e32 v21, v4
	s_waitcnt vmcnt(1)
	v_mul_f32_e64 v26, v24, -v31
	v_mul_f32_e32 v28, v24, v30
	v_fmac_f32_e32 v26, v30, v16
	v_fmac_f32_e32 v28, v31, v16
	s_waitcnt vmcnt(0)
	v_mul_f32_e64 v30, v24, -v41
	v_mul_f32_e32 v32, v24, v40
	v_fmac_f32_e32 v30, v40, v16
	v_fmac_f32_e32 v32, v41, v16
	v_pk_mul_f32 v[40:41], v[28:29], v[42:43] op_sel_hi:[0,1]
	v_pk_fma_f32 v[10:11], v[10:11], v[26:27], v[40:41] op_sel_hi:[1,0,1]
	v_pk_mul_f32 v[40:41], v[32:33], v[44:45] op_sel_hi:[0,1]
	v_pk_mul_f32 v[42:43], v[22:23], v[28:29] op_sel_hi:[1,0]
	;; [unrolled: 1-line block ×3, first 2 shown]
	v_pk_fma_f32 v[8:9], v[8:9], v[30:31], v[40:41] op_sel_hi:[1,0,1]
	v_pk_fma_f32 v[42:43], v[6:7], v[26:27], v[42:43] op_sel_hi:[1,0,1] neg_lo:[1,0,0] neg_hi:[1,0,0]
	v_pk_fma_f32 v[40:41], v[4:5], v[30:31], v[44:45] op_sel_hi:[1,0,1]
	v_pk_add_f32 v[8:9], v[10:11], v[8:9] neg_lo:[0,1] neg_hi:[0,1]
	v_pk_add_f32 v[10:11], v[42:43], v[40:41]
	global_store_dwordx2 v[36:37], v[8:9], off
	global_store_dwordx2 v[38:39], v[10:11], off
	v_mov_b64_e32 v[8:9], v[2:3]
	s_and_saveexec_b64 s[20:21], s[2:3]
	s_cbranch_execz .LBB212_16
; %bb.15:                               ;   in Loop: Header=BB212_5 Depth=1
	v_add_u32_e32 v8, v34, v1
	v_add_u32_e32 v2, s23, v8
	v_ashrrev_i32_e32 v9, 31, v8
	v_lshl_add_u64 v[10:11], v[2:3], 3, s[8:9]
	v_lshl_add_u64 v[8:9], v[8:9], 3, s[14:15]
	global_load_dwordx2 v[36:37], v[10:11], off
	v_mov_b32_e32 v2, v15
	global_load_dwordx2 v[8:9], v[8:9], off
	v_xor_b32_e32 v38, 0x80000000, v15
	v_mov_b32_e32 v39, v14
	v_pk_mul_f32 v[22:23], v[2:3], v[22:23] op_sel_hi:[0,1]
	v_pk_mul_f32 v[18:19], v[2:3], v[18:19] op_sel_hi:[0,1]
	v_pk_mul_f32 v[38:39], v[4:5], v[38:39] op_sel:[1,0]
	v_pk_fma_f32 v[6:7], v[6:7], v[14:15], v[22:23] op_sel_hi:[1,0,1] neg_lo:[1,0,0] neg_hi:[1,0,0]
	v_pk_fma_f32 v[4:5], v[4:5], v[14:15], v[18:19] op_sel_hi:[1,0,1]
	v_pk_fma_f32 v[14:15], v[14:15], v[20:21], v[38:39]
	v_mov_b32_e32 v40, v13
	v_pk_add_f32 v[18:19], v[6:7], 0 neg_lo:[1,1] neg_hi:[1,1]
	v_xor_b32_e32 v22, 0x80000000, v15
	v_mov_b32_e32 v23, v14
	v_mov_b32_e32 v29, v28
	;; [unrolled: 1-line block ×3, first 2 shown]
	v_xor_b32_e32 v20, 0x80000000, v5
	v_mov_b32_e32 v21, v4
	v_pk_mov_b32 v[18:19], v[6:7], v[18:19] op_sel:[1,0]
	v_pk_mul_f32 v[22:23], v[40:41], v[22:23] op_sel_hi:[0,1]
	v_mov_b32_e32 v27, v26
	v_mov_b32_e32 v31, v30
	v_pk_mul_f32 v[20:21], v[32:33], v[20:21]
	v_pk_mul_f32 v[18:19], v[18:19], v[28:29]
	v_pk_fma_f32 v[12:13], v[14:15], v[12:13], v[22:23] op_sel_hi:[1,0,1]
	v_pk_fma_f32 v[4:5], v[4:5], v[30:31], v[20:21]
	v_pk_fma_f32 v[6:7], v[6:7], v[26:27], v[18:19] neg_lo:[1,0,0] neg_hi:[1,0,0]
	v_xor_b32_e32 v14, 0x80000000, v13
	v_mov_b32_e32 v15, v12
	v_pk_add_f32 v[4:5], v[6:7], v[4:5] neg_lo:[0,1] neg_hi:[0,1]
	v_pk_mul_f32 v[6:7], v[24:25], v[14:15] op_sel_hi:[0,1]
	v_pk_fma_f32 v[6:7], v[12:13], v[16:17], v[6:7] op_sel_hi:[1,0,1]
	s_waitcnt vmcnt(1)
	v_pk_add_f32 v[4:5], v[4:5], v[36:37]
	global_store_dwordx2 v[10:11], v[4:5], off
	s_waitcnt vmcnt(1)
	v_pk_add_f32 v[8:9], v[8:9], v[6:7] neg_lo:[0,1] neg_hi:[0,1]
.LBB212_16:                             ;   in Loop: Header=BB212_5 Depth=1
	s_or_b64 exec, exec, s[20:21]
	v_mov_b64_e32 v[4:5], v[8:9]
                                        ; implicit-def: $vgpr16
                                        ; implicit-def: $vgpr6
                                        ; implicit-def: $vgpr8_vgpr9
                                        ; implicit-def: $vgpr10_vgpr11
.LBB212_17:                             ;   in Loop: Header=BB212_5 Depth=1
	s_or_saveexec_b64 s[2:3], s[4:5]
	v_mov_b32_e32 v12, s27
	s_xor_b64 exec, exec, s[2:3]
	s_cbranch_execz .LBB212_4
; %bb.18:                               ;   in Loop: Header=BB212_5 Depth=1
	v_lshl_add_u64 v[18:19], v[2:3], 3, s[8:9]
	global_load_dwordx2 v[14:15], v[18:19], off
	v_mul_f32_e32 v2, v5, v5
	v_fmac_f32_e32 v2, v4, v4
	v_div_scale_f32 v12, s[4:5], v2, v2, 1.0
	v_rcp_f32_e32 v13, v12
	s_nop 0
	v_fma_f32 v17, -v12, v13, 1.0
	v_fmac_f32_e32 v13, v17, v13
	v_div_scale_f32 v17, vcc, 1.0, v2, 1.0
	v_mul_f32_e32 v20, v17, v13
	v_fma_f32 v21, -v12, v20, v17
	v_fmac_f32_e32 v20, v21, v13
	v_fma_f32 v12, -v12, v20, v17
	v_div_fmas_f32 v12, v12, v13, v20
	v_div_fixup_f32 v2, v12, v2, 1.0
	v_fma_f32 v12, 0, v5, v4
	v_fma_f32 v4, v4, 0, -v5
	v_mul_f32_e32 v4, v4, v2
	v_mul_f32_e32 v12, v12, v2
	s_waitcnt vmcnt(0)
	v_pk_mul_f32 v[20:21], v[4:5], v[14:15] op_sel:[0,1] op_sel_hi:[0,0] neg_lo:[0,1]
	v_pk_fma_f32 v[14:15], v[14:15], v[12:13], v[20:21] op_sel_hi:[1,0,1]
	global_store_dwordx2 v[18:19], v[14:15], off
	s_and_saveexec_b64 s[4:5], s[0:1]
	s_cbranch_execz .LBB212_3
; %bb.19:                               ;   in Loop: Header=BB212_5 Depth=1
	v_add_u32_e32 v2, v35, v1
	v_lshl_add_u64 v[18:19], v[2:3], 3, s[8:9]
	global_load_dwordx2 v[20:21], v[18:19], off
	v_xor_b32_e32 v22, 0x80000000, v6
	v_mov_b32_e32 v23, v16
	v_mov_b32_e32 v26, v7
	;; [unrolled: 1-line block ×3, first 2 shown]
	s_waitcnt vmcnt(0)
	v_pk_fma_f32 v[20:21], v[22:23], v[14:15], v[20:21] op_sel_hi:[1,0,1]
	s_nop 0
	v_pk_fma_f32 v[14:15], v[26:27], v[14:15], v[20:21] op_sel:[0,1,0]
	global_store_dwordx2 v[18:19], v[14:15], off
	s_branch .LBB212_3
.LBB212_20:
	s_or_b64 exec, exec, s[18:19]
	s_branch .LBB212_22
.LBB212_21:
	v_mov_b32_e32 v1, 0
.LBB212_22:
	v_subrev_u32_e32 v1, s22, v1
	v_add_u32_e32 v2, v1, v0
	v_ashrrev_i32_e32 v3, 31, v2
	s_waitcnt lgkmcnt(0)
	v_lshl_add_u64 v[2:3], v[2:3], 2, s[6:7]
	buffer_wbl2 sc1
	s_waitcnt vmcnt(0)
	buffer_inv sc1
	global_load_dword v2, v[2:3], off
	s_waitcnt vmcnt(0)
	v_mul_lo_u32 v2, v2, s22
	v_sub_u32_e32 v1, v1, v2
	v_cmp_lt_i32_e32 vcc, -1, v1
	s_and_b64 exec, exec, vcc
	s_cbranch_execz .LBB212_29
; %bb.23:
	s_add_i32 s0, s23, s22
	v_add_u32_e32 v8, s0, v0
	s_lshl_b32 s4, s22, 1
	s_mov_b64 s[0:1], 0
	v_mov_b32_e32 v3, 0
	s_branch .LBB212_25
.LBB212_24:                             ;   in Loop: Header=BB212_25 Depth=1
	s_or_b64 exec, exec, s[2:3]
	v_sub_u32_e32 v1, v1, v2
	v_cmp_gt_i32_e32 vcc, 0, v1
	s_or_b64 s[0:1], vcc, s[0:1]
	s_andn2_b64 exec, exec, s[0:1]
	s_cbranch_execz .LBB212_29
.LBB212_25:                             ; =>This Inner Loop Header: Depth=1
	v_add_u32_e32 v6, v1, v0
	v_ashrrev_i32_e32 v7, 31, v6
	s_waitcnt vmcnt(0)
	v_lshl_add_u64 v[4:5], v[6:7], 2, s[6:7]
	global_load_dword v2, v[4:5], off
	v_lshl_add_u64 v[4:5], v[6:7], 3, s[10:11]
	global_load_dwordx2 v[4:5], v[4:5], off
	s_waitcnt vmcnt(1)
	v_cmp_ne_u32_e32 vcc, 1, v2
	s_and_saveexec_b64 s[2:3], vcc
	s_xor_b64 s[2:3], exec, s[2:3]
	s_cbranch_execz .LBB212_27
; %bb.26:                               ;   in Loop: Header=BB212_25 Depth=1
	v_add_u32_e32 v2, v8, v1
	v_lshl_add_u64 v[10:11], v[2:3], 3, s[8:9]
	v_add_u32_e32 v2, s23, v6
	v_lshl_add_u64 v[6:7], v[2:3], 3, s[8:9]
	global_load_dwordx2 v[12:13], v[10:11], off
	global_load_dwordx2 v[14:15], v[6:7], off
	v_subrev_u32_e32 v2, s22, v1
	s_waitcnt vmcnt(2)
	v_pk_add_f32 v[10:11], v[4:5], 0 neg_lo:[1,1] neg_hi:[1,1]
	v_add_u32_e32 v16, v2, v0
	v_pk_mov_b32 v[10:11], v[4:5], v[10:11] op_sel:[1,0]
	v_ashrrev_i32_e32 v17, 31, v16
	v_add_u32_e32 v2, s23, v16
	v_lshl_add_u64 v[16:17], v[16:17], 3, s[10:11]
	v_lshl_add_u64 v[18:19], v[2:3], 3, s[8:9]
	global_load_dwordx2 v[16:17], v[16:17], off
	s_waitcnt vmcnt(1)
	v_pk_fma_f32 v[4:5], v[4:5], v[12:13], v[14:15] op_sel_hi:[1,0,1] neg_lo:[1,0,0] neg_hi:[1,0,0]
	s_nop 0
	v_pk_fma_f32 v[4:5], v[10:11], v[12:13], v[4:5] op_sel:[0,1,0]
	global_store_dwordx2 v[6:7], v[4:5], off
	global_load_dwordx2 v[4:5], v[18:19], off
	s_waitcnt vmcnt(2)
	v_pk_add_f32 v[6:7], v[16:17], 0 neg_lo:[1,1] neg_hi:[1,1]
	s_nop 0
	v_pk_mov_b32 v[6:7], v[16:17], v[6:7] op_sel:[1,0]
	s_waitcnt vmcnt(0)
	v_pk_fma_f32 v[4:5], v[16:17], v[12:13], v[4:5] op_sel_hi:[1,0,1] neg_lo:[1,0,0] neg_hi:[1,0,0]
	s_nop 0
	v_pk_fma_f32 v[4:5], v[6:7], v[12:13], v[4:5] op_sel:[0,1,0]
	global_store_dwordx2 v[18:19], v[4:5], off
                                        ; implicit-def: $vgpr6
                                        ; implicit-def: $vgpr4_vgpr5
.LBB212_27:                             ;   in Loop: Header=BB212_25 Depth=1
	s_or_saveexec_b64 s[2:3], s[2:3]
	v_mov_b32_e32 v2, s4
	s_xor_b64 exec, exec, s[2:3]
	s_cbranch_execz .LBB212_24
; %bb.28:                               ;   in Loop: Header=BB212_25 Depth=1
	v_add_u32_e32 v2, v8, v1
	v_lshl_add_u64 v[10:11], v[2:3], 3, s[8:9]
	v_add_u32_e32 v2, s23, v6
	v_lshl_add_u64 v[6:7], v[2:3], 3, s[8:9]
	global_load_dwordx2 v[12:13], v[10:11], off
	global_load_dwordx2 v[14:15], v[6:7], off
	s_waitcnt vmcnt(2)
	v_pk_add_f32 v[10:11], v[4:5], 0 neg_lo:[1,1] neg_hi:[1,1]
	v_mov_b32_e32 v2, s22
	v_pk_mov_b32 v[10:11], v[4:5], v[10:11] op_sel:[1,0]
	s_waitcnt vmcnt(0)
	v_pk_fma_f32 v[4:5], v[4:5], v[12:13], v[14:15] op_sel_hi:[1,0,1] neg_lo:[1,0,0] neg_hi:[1,0,0]
	s_nop 0
	v_pk_fma_f32 v[4:5], v[10:11], v[12:13], v[4:5] op_sel:[0,1,0]
	global_store_dwordx2 v[6:7], v[4:5], off
	s_branch .LBB212_24
.LBB212_29:
	s_endpgm
	.section	.rodata,"a",@progbits
	.p2align	6, 0x0
	.amdhsa_kernel _ZN9rocsparseL19gtsv_LBM_rhs_kernelILj256ELj8ELj1E21rocsparse_complex_numIfEEEviiiPKT2_S5_S5_PS3_S5_PKi
		.amdhsa_group_segment_fixed_size 0
		.amdhsa_private_segment_fixed_size 0
		.amdhsa_kernarg_size 64
		.amdhsa_user_sgpr_count 2
		.amdhsa_user_sgpr_dispatch_ptr 0
		.amdhsa_user_sgpr_queue_ptr 0
		.amdhsa_user_sgpr_kernarg_segment_ptr 1
		.amdhsa_user_sgpr_dispatch_id 0
		.amdhsa_user_sgpr_kernarg_preload_length 0
		.amdhsa_user_sgpr_kernarg_preload_offset 0
		.amdhsa_user_sgpr_private_segment_size 0
		.amdhsa_uses_dynamic_stack 0
		.amdhsa_enable_private_segment 0
		.amdhsa_system_sgpr_workgroup_id_x 1
		.amdhsa_system_sgpr_workgroup_id_y 1
		.amdhsa_system_sgpr_workgroup_id_z 0
		.amdhsa_system_sgpr_workgroup_info 0
		.amdhsa_system_vgpr_workitem_id 0
		.amdhsa_next_free_vgpr 46
		.amdhsa_next_free_sgpr 28
		.amdhsa_accum_offset 48
		.amdhsa_reserve_vcc 1
		.amdhsa_float_round_mode_32 0
		.amdhsa_float_round_mode_16_64 0
		.amdhsa_float_denorm_mode_32 3
		.amdhsa_float_denorm_mode_16_64 3
		.amdhsa_dx10_clamp 1
		.amdhsa_ieee_mode 1
		.amdhsa_fp16_overflow 0
		.amdhsa_tg_split 0
		.amdhsa_exception_fp_ieee_invalid_op 0
		.amdhsa_exception_fp_denorm_src 0
		.amdhsa_exception_fp_ieee_div_zero 0
		.amdhsa_exception_fp_ieee_overflow 0
		.amdhsa_exception_fp_ieee_underflow 0
		.amdhsa_exception_fp_ieee_inexact 0
		.amdhsa_exception_int_div_zero 0
	.end_amdhsa_kernel
	.section	.text._ZN9rocsparseL19gtsv_LBM_rhs_kernelILj256ELj8ELj1E21rocsparse_complex_numIfEEEviiiPKT2_S5_S5_PS3_S5_PKi,"axG",@progbits,_ZN9rocsparseL19gtsv_LBM_rhs_kernelILj256ELj8ELj1E21rocsparse_complex_numIfEEEviiiPKT2_S5_S5_PS3_S5_PKi,comdat
.Lfunc_end212:
	.size	_ZN9rocsparseL19gtsv_LBM_rhs_kernelILj256ELj8ELj1E21rocsparse_complex_numIfEEEviiiPKT2_S5_S5_PS3_S5_PKi, .Lfunc_end212-_ZN9rocsparseL19gtsv_LBM_rhs_kernelILj256ELj8ELj1E21rocsparse_complex_numIfEEEviiiPKT2_S5_S5_PS3_S5_PKi
                                        ; -- End function
	.set _ZN9rocsparseL19gtsv_LBM_rhs_kernelILj256ELj8ELj1E21rocsparse_complex_numIfEEEviiiPKT2_S5_S5_PS3_S5_PKi.num_vgpr, 46
	.set _ZN9rocsparseL19gtsv_LBM_rhs_kernelILj256ELj8ELj1E21rocsparse_complex_numIfEEEviiiPKT2_S5_S5_PS3_S5_PKi.num_agpr, 0
	.set _ZN9rocsparseL19gtsv_LBM_rhs_kernelILj256ELj8ELj1E21rocsparse_complex_numIfEEEviiiPKT2_S5_S5_PS3_S5_PKi.numbered_sgpr, 28
	.set _ZN9rocsparseL19gtsv_LBM_rhs_kernelILj256ELj8ELj1E21rocsparse_complex_numIfEEEviiiPKT2_S5_S5_PS3_S5_PKi.num_named_barrier, 0
	.set _ZN9rocsparseL19gtsv_LBM_rhs_kernelILj256ELj8ELj1E21rocsparse_complex_numIfEEEviiiPKT2_S5_S5_PS3_S5_PKi.private_seg_size, 0
	.set _ZN9rocsparseL19gtsv_LBM_rhs_kernelILj256ELj8ELj1E21rocsparse_complex_numIfEEEviiiPKT2_S5_S5_PS3_S5_PKi.uses_vcc, 1
	.set _ZN9rocsparseL19gtsv_LBM_rhs_kernelILj256ELj8ELj1E21rocsparse_complex_numIfEEEviiiPKT2_S5_S5_PS3_S5_PKi.uses_flat_scratch, 0
	.set _ZN9rocsparseL19gtsv_LBM_rhs_kernelILj256ELj8ELj1E21rocsparse_complex_numIfEEEviiiPKT2_S5_S5_PS3_S5_PKi.has_dyn_sized_stack, 0
	.set _ZN9rocsparseL19gtsv_LBM_rhs_kernelILj256ELj8ELj1E21rocsparse_complex_numIfEEEviiiPKT2_S5_S5_PS3_S5_PKi.has_recursion, 0
	.set _ZN9rocsparseL19gtsv_LBM_rhs_kernelILj256ELj8ELj1E21rocsparse_complex_numIfEEEviiiPKT2_S5_S5_PS3_S5_PKi.has_indirect_call, 0
	.section	.AMDGPU.csdata,"",@progbits
; Kernel info:
; codeLenInByte = 1980
; TotalNumSgprs: 34
; NumVgprs: 46
; NumAgprs: 0
; TotalNumVgprs: 46
; ScratchSize: 0
; MemoryBound: 0
; FloatMode: 240
; IeeeMode: 1
; LDSByteSize: 0 bytes/workgroup (compile time only)
; SGPRBlocks: 4
; VGPRBlocks: 5
; NumSGPRsForWavesPerEU: 34
; NumVGPRsForWavesPerEU: 46
; AccumOffset: 48
; Occupancy: 8
; WaveLimiterHint : 0
; COMPUTE_PGM_RSRC2:SCRATCH_EN: 0
; COMPUTE_PGM_RSRC2:USER_SGPR: 2
; COMPUTE_PGM_RSRC2:TRAP_HANDLER: 0
; COMPUTE_PGM_RSRC2:TGID_X_EN: 1
; COMPUTE_PGM_RSRC2:TGID_Y_EN: 1
; COMPUTE_PGM_RSRC2:TGID_Z_EN: 0
; COMPUTE_PGM_RSRC2:TIDIG_COMP_CNT: 0
; COMPUTE_PGM_RSRC3_GFX90A:ACCUM_OFFSET: 11
; COMPUTE_PGM_RSRC3_GFX90A:TG_SPLIT: 0
	.section	.text._ZN9rocsparseL29gtsv_spike_block_level_kernelILj256ELj8E21rocsparse_complex_numIfEEEviiiPT1_PKS3_S6_S4_S4_S4_S4_S4_,"axG",@progbits,_ZN9rocsparseL29gtsv_spike_block_level_kernelILj256ELj8E21rocsparse_complex_numIfEEEviiiPT1_PKS3_S6_S4_S4_S4_S4_S4_,comdat
	.globl	_ZN9rocsparseL29gtsv_spike_block_level_kernelILj256ELj8E21rocsparse_complex_numIfEEEviiiPT1_PKS3_S6_S4_S4_S4_S4_S4_ ; -- Begin function _ZN9rocsparseL29gtsv_spike_block_level_kernelILj256ELj8E21rocsparse_complex_numIfEEEviiiPT1_PKS3_S6_S4_S4_S4_S4_S4_
	.p2align	8
	.type	_ZN9rocsparseL29gtsv_spike_block_level_kernelILj256ELj8E21rocsparse_complex_numIfEEEviiiPT1_PKS3_S6_S4_S4_S4_S4_S4_,@function
_ZN9rocsparseL29gtsv_spike_block_level_kernelILj256ELj8E21rocsparse_complex_numIfEEEviiiPT1_PKS3_S6_S4_S4_S4_S4_S4_: ; @_ZN9rocsparseL29gtsv_spike_block_level_kernelILj256ELj8E21rocsparse_complex_numIfEEEviiiPT1_PKS3_S6_S4_S4_S4_S4_S4_
; %bb.0:
	s_load_dword s14, s[0:1], 0x0
	s_load_dwordx2 s[8:9], s[0:1], 0x18
	v_lshl_or_b32 v2, s2, 8, v0
	v_mov_b32_e32 v4, 0
	v_mov_b32_e32 v8, 0
	s_waitcnt lgkmcnt(0)
	s_lshr_b32 s18, s14, 3
	v_cmp_gt_i32_e64 s[4:5], s18, v2
	v_mov_b32_e32 v9, 0
	s_and_saveexec_b64 s[6:7], s[4:5]
	s_cbranch_execz .LBB213_2
; %bb.1:
	v_ashrrev_i32_e32 v3, 31, v2
	v_lshl_add_u64 v[6:7], v[2:3], 3, s[8:9]
	global_load_dwordx2 v[8:9], v[6:7], off
.LBB213_2:
	s_or_b64 exec, exec, s[6:7]
	s_load_dwordx2 s[6:7], s[0:1], 0x20
	v_lshlrev_b32_e32 v1, 3, v0
	v_or_b32_e32 v6, 0x1000, v1
	v_mov_b32_e32 v5, 0
	s_waitcnt vmcnt(0)
	ds_write_b64 v1, v[8:9] offset:4096
	s_and_saveexec_b64 s[10:11], s[4:5]
	s_cbranch_execz .LBB213_4
; %bb.3:
	v_mad_u64_u32 v[4:5], s[12:13], s18, 7, v[2:3]
	v_mov_b32_e32 v5, 0
	v_lshl_add_u64 v[4:5], v[4:5], 3, s[8:9]
	global_load_dwordx2 v[4:5], v[4:5], off
.LBB213_4:
	s_or_b64 exec, exec, s[10:11]
	s_waitcnt vmcnt(0)
	ds_write_b64 v6, v[4:5] offset:2048
	v_mov_b32_e32 v4, 0
	v_mov_b32_e32 v8, 0
	;; [unrolled: 1-line block ×3, first 2 shown]
	s_and_saveexec_b64 s[8:9], s[4:5]
	s_cbranch_execz .LBB213_6
; %bb.5:
	v_ashrrev_i32_e32 v3, 31, v2
	s_waitcnt lgkmcnt(0)
	v_lshl_add_u64 v[8:9], v[2:3], 3, s[6:7]
	global_load_dwordx2 v[8:9], v[8:9], off
.LBB213_6:
	s_or_b64 exec, exec, s[8:9]
	s_load_dwordx2 s[12:13], s[0:1], 0x10
	v_mov_b32_e32 v5, 0
	s_waitcnt vmcnt(0)
	ds_write_b64 v1, v[8:9]
	s_and_saveexec_b64 s[8:9], s[4:5]
	s_cbranch_execz .LBB213_8
; %bb.7:
	v_mad_u64_u32 v[4:5], s[10:11], s18, 7, v[2:3]
	v_mov_b32_e32 v5, 0
	s_waitcnt lgkmcnt(0)
	v_lshl_add_u64 v[4:5], v[4:5], 3, s[6:7]
	global_load_dwordx2 v[4:5], v[4:5], off
.LBB213_8:
	s_or_b64 exec, exec, s[8:9]
	s_mul_i32 s14, s14, s3
	s_waitcnt vmcnt(0)
	ds_write_b64 v1, v[4:5] offset:2048
	v_mov_b32_e32 v8, 0
	v_add_u32_e32 v4, s14, v2
	v_mov_b32_e32 v10, 0
	v_mov_b32_e32 v11, 0
	s_waitcnt lgkmcnt(0)
	s_and_saveexec_b64 s[6:7], s[4:5]
	s_cbranch_execz .LBB213_10
; %bb.9:
	v_ashrrev_i32_e32 v5, 31, v4
	v_lshl_add_u64 v[10:11], v[4:5], 3, s[12:13]
	global_load_dwordx2 v[10:11], v[10:11], off
.LBB213_10:
	s_or_b64 exec, exec, s[6:7]
	v_or_b32_e32 v5, 0x2000, v1
	s_mul_i32 s19, s18, 7
	v_mov_b32_e32 v9, 0
	s_waitcnt vmcnt(0)
	ds_write_b64 v1, v[10:11] offset:8192
	s_and_saveexec_b64 s[6:7], s[4:5]
	s_cbranch_execz .LBB213_12
; %bb.11:
	s_mul_i32 s8, s18, 7
	s_add_i32 s8, s8, s14
	v_add_u32_e32 v8, s8, v2
	v_mov_b32_e32 v9, 0
	v_lshl_add_u64 v[8:9], v[8:9], 3, s[12:13]
	global_load_dwordx2 v[8:9], v[8:9], off
.LBB213_12:
	s_or_b64 exec, exec, s[6:7]
	s_movk_i32 s6, 0x80
	v_cmp_gt_u32_e32 vcc, s6, v0
	s_waitcnt vmcnt(0)
	ds_write_b64 v5, v[8:9] offset:2048
	s_waitcnt lgkmcnt(0)
	s_barrier
	s_and_saveexec_b64 s[6:7], vcc
	s_cbranch_execz .LBB213_14
; %bb.13:
	v_add_u32_e32 v3, v6, v1
	ds_read2_b64 v[8:11], v3 offset1:1
	v_add_u32_e32 v7, v1, v1
	ds_read_b128 v[12:15], v7 offset:2048
	ds_read_b64 v[36:37], v3 offset:2056
	s_mov_b64 s[8:9], 0x3f800000
	v_add_u32_e32 v47, v5, v1
	s_waitcnt lgkmcnt(2)
	v_xor_b32_e32 v20, 0x80000000, v11
	v_mov_b32_e32 v21, v10
	s_waitcnt lgkmcnt(1)
	v_pk_mul_f32 v[20:21], v[12:13], v[20:21] op_sel:[1,0]
	ds_read_b128 v[16:19], v7
	v_pk_fma_f32 v[12:13], v[10:11], v[12:13], v[20:21] op_sel_hi:[1,0,1]
	v_add_u32_e32 v28, 0x800, v47
	v_pk_add_f32 v[12:13], v[12:13], s[8:9] neg_lo:[1,0] neg_hi:[1,0]
	s_nop 0
	v_mul_f32_e32 v20, v13, v13
	v_fmac_f32_e32 v20, v12, v12
	v_div_scale_f32 v21, s[8:9], v20, v20, 1.0
	v_rcp_f32_e32 v22, v21
	v_fma_f32 v39, v12, 0, -v13
	v_fmac_f32_e32 v12, 0, v13
	v_add_u32_e32 v13, 0x800, v3
	v_fma_f32 v23, -v21, v22, 1.0
	v_fmac_f32_e32 v22, v23, v22
	v_div_scale_f32 v23, vcc, 1.0, v20, 1.0
	v_mul_f32_e32 v24, v23, v22
	v_fma_f32 v25, -v21, v24, v23
	v_fmac_f32_e32 v24, v25, v22
	v_fma_f32 v21, -v21, v24, v23
	v_div_fmas_f32 v21, v21, v22, v24
	v_div_fixup_f32 v38, v21, v20, 1.0
	ds_read_b128 v[20:23], v47
	ds_read2st64_b64 v[24:27], v7 offset1:4
	ds_read2_b64 v[28:31], v28 offset1:1
	s_waitcnt lgkmcnt(2)
	v_mov_b32_e32 v32, v23
	s_waitcnt lgkmcnt(1)
	v_pk_mul_f32 v[32:33], v[32:33], v[26:27] op_sel:[0,1] op_sel_hi:[0,0] neg_lo:[0,1]
	v_pk_fma_f32 v[32:33], v[26:27], v[22:23], v[32:33] op_sel_hi:[1,0,1]
	s_waitcnt lgkmcnt(0)
	v_pk_mul_f32 v[44:45], v[10:11], v[28:29] op_sel:[1,1] op_sel_hi:[1,0] neg_lo:[0,1]
	v_pk_add_f32 v[40:41], v[28:29], v[32:33] neg_lo:[0,1] neg_hi:[0,1]
	ds_read2_b64 v[32:35], v13 offset1:1
	v_pk_fma_f32 v[28:29], v[28:29], v[10:11], v[44:45] op_sel_hi:[1,0,1]
	v_mov_b32_e32 v13, v39
	v_xor_b32_e32 v42, 0x80000000, v41
	v_mov_b32_e32 v43, v40
	v_pk_add_f32 v[22:23], v[22:23], v[28:29] neg_lo:[0,1] neg_hi:[0,1]
	v_pk_mul_f32 v[38:39], v[12:13], v[38:39] op_sel_hi:[1,0]
	v_xor_b32_e32 v28, 0x80000000, v23
	v_mov_b32_e32 v29, v22
	v_mul_f32_e64 v46, v19, -v27
	v_mul_f32_e32 v48, v19, v26
	v_pk_mul_f32 v[12:13], v[38:39], v[42:43] op_sel:[1,0]
	v_fmac_f32_e32 v46, v26, v18
	v_fmac_f32_e32 v48, v27, v18
	v_pk_fma_f32 v[26:27], v[40:41], v[38:39], v[12:13] op_sel_hi:[1,0,1]
	v_pk_mul_f32 v[12:13], v[38:39], v[28:29] op_sel:[1,0]
	s_waitcnt lgkmcnt(0)
	v_xor_b32_e32 v44, 0x80000000, v35
	v_pk_fma_f32 v[22:23], v[22:23], v[38:39], v[12:13] op_sel_hi:[1,0,1]
	v_mov_b32_e32 v45, v34
	v_pk_mul_f32 v[12:13], v[22:23], v[16:17] op_sel:[1,1] op_sel_hi:[1,0] neg_lo:[0,1]
	s_nop 0
	v_pk_fma_f32 v[12:13], v[16:17], v[22:23], v[12:13] op_sel_hi:[1,0,1]
	v_pk_add_f32 v[16:17], v[38:39], 0 neg_lo:[1,1] neg_hi:[1,1]
	v_pk_add_f32 v[20:21], v[20:21], v[12:13] neg_lo:[0,1] neg_hi:[0,1]
	ds_write_b128 v47, v[20:23]
	v_pk_mov_b32 v[20:21], v[38:39], v[16:17] op_sel:[1,0]
	v_mov_b32_e32 v22, v19
	v_pk_mov_b32 v[16:17], v[16:17], v[38:39] op_sel:[1,0]
	v_pk_mul_f32 v[12:13], v[26:27], v[44:45] op_sel:[1,0]
	v_pk_mul_f32 v[16:17], v[22:23], v[16:17] op_sel_hi:[0,1]
	v_mul_f32_e32 v22, v11, v32
	v_pk_fma_f32 v[18:19], v[38:39], v[18:19], v[16:17] op_sel_hi:[1,0,1]
	v_mul_f32_e64 v16, v11, -v33
	v_fmac_f32_e32 v22, v33, v10
	v_pk_fma_f32 v[12:13], v[34:35], v[26:27], v[12:13] op_sel_hi:[1,0,1]
	v_fmac_f32_e32 v16, v32, v10
	v_pk_mul_f32 v[10:11], v[20:21], v[22:23] op_sel_hi:[1,0]
	v_pk_add_f32 v[28:29], v[30:31], v[12:13] neg_lo:[0,1] neg_hi:[0,1]
	v_pk_fma_f32 v[10:11], v[38:39], v[16:17], v[10:11] op_sel_hi:[1,0,1] neg_lo:[1,0,0] neg_hi:[1,0,0]
	ds_write_b128 v47, v[26:29] offset:2048
	v_xor_b32_e32 v26, 0x80000000, v39
	v_mov_b32_e32 v27, v38
	v_pk_mul_f32 v[22:23], v[10:11], v[24:25] op_sel:[1,1] op_sel_hi:[1,0] neg_lo:[0,1]
	v_pk_mul_f32 v[16:17], v[32:33], v[26:27] op_sel:[1,0]
	v_pk_fma_f32 v[22:23], v[24:25], v[10:11], v[22:23] op_sel_hi:[1,0,1]
	v_pk_mul_f32 v[12:13], v[20:21], v[48:49] op_sel_hi:[1,0]
	v_pk_fma_f32 v[20:21], v[38:39], v[32:33], v[16:17] op_sel_hi:[1,0,1]
	v_pk_add_f32 v[16:17], v[24:25], 0 neg_lo:[1,1] neg_hi:[1,1]
	v_pk_add_f32 v[8:9], v[8:9], v[22:23] neg_lo:[0,1] neg_hi:[0,1]
	ds_write_b128 v3, v[8:11]
	v_pk_mov_b32 v[8:9], v[24:25], v[16:17] op_sel:[1,0]
	v_pk_fma_f32 v[12:13], v[38:39], v[46:47], v[12:13] op_sel_hi:[1,0,1] neg_lo:[1,0,0] neg_hi:[1,0,0]
	v_pk_mul_f32 v[8:9], v[18:19], v[8:9] op_sel:[1,0]
	s_nop 0
	v_pk_fma_f32 v[16:17], v[24:25], v[18:19], v[8:9] op_sel_hi:[1,0,1] neg_lo:[1,0,0] neg_hi:[1,0,0]
	v_xor_b32_e32 v8, 0x80000000, v13
	v_mov_b32_e32 v9, v12
	v_pk_mul_f32 v[8:9], v[36:37], v[8:9] op_sel:[1,0]
	ds_write_b128 v7, v[16:19]
	v_pk_fma_f32 v[8:9], v[12:13], v[36:37], v[8:9] op_sel_hi:[1,0,1]
	s_nop 0
	v_pk_add_f32 v[14:15], v[14:15], v[8:9] neg_lo:[0,1] neg_hi:[0,1]
	v_pk_add_f32 v[8:9], v[36:37], 0 neg_lo:[1,1] neg_hi:[1,1]
	ds_write_b128 v7, v[12:15] offset:2048
	v_pk_mov_b32 v[8:9], v[36:37], v[8:9] op_sel:[1,0]
	s_nop 0
	v_pk_mul_f32 v[8:9], v[20:21], v[8:9] op_sel:[1,0]
	s_nop 0
	v_pk_fma_f32 v[22:23], v[36:37], v[20:21], v[8:9] op_sel_hi:[1,0,1] neg_lo:[1,0,0] neg_hi:[1,0,0]
	ds_write_b128 v3, v[20:23] offset:2048
.LBB213_14:
	s_or_b64 exec, exec, s[6:7]
	v_cmp_gt_u32_e32 vcc, 64, v0
	s_waitcnt lgkmcnt(0)
	s_barrier
	s_and_saveexec_b64 s[6:7], vcc
	s_cbranch_execz .LBB213_16
; %bb.15:
	v_lshlrev_b32_e32 v3, 5, v0
	v_add_u32_e32 v7, 0x1000, v3
	ds_read2_b64 v[8:11], v7 offset1:2
	v_add_u32_e32 v45, 0x800, v3
	ds_read2_b64 v[12:15], v45 offset0:1 offset1:3
	s_mov_b64 s[8:9], 0x3f800000
	v_add_u32_e32 v48, 0x1800, v3
	s_waitcnt lgkmcnt(1)
	v_xor_b32_e32 v16, 0x80000000, v11
	v_mov_b32_e32 v17, v10
	s_waitcnt lgkmcnt(0)
	v_pk_mul_f32 v[16:17], v[12:13], v[16:17] op_sel:[1,0]
	ds_read_b64 v[36:37], v3
	v_pk_fma_f32 v[16:17], v[10:11], v[12:13], v[16:17] op_sel_hi:[1,0,1]
	s_waitcnt lgkmcnt(0)
	v_xor_b32_e32 v40, 0x80000000, v37
	v_pk_add_f32 v[24:25], v[16:17], s[8:9] neg_lo:[1,0] neg_hi:[1,0]
	v_mov_b32_e32 v41, v36
	v_mul_f32_e32 v20, v25, v25
	v_fmac_f32_e32 v20, v24, v24
	v_div_scale_f32 v16, s[8:9], v20, v20, 1.0
	v_rcp_f32_e32 v21, v16
	v_fma_f32 v27, v24, 0, -v25
	v_fmac_f32_e32 v24, 0, v25
	v_mov_b32_e32 v25, v27
	v_fma_f32 v17, -v16, v21, 1.0
	v_fmac_f32_e32 v21, v17, v21
	v_div_scale_f32 v17, vcc, 1.0, v20, 1.0
	v_mul_f32_e32 v22, v17, v21
	v_fma_f32 v18, -v16, v22, v17
	v_fmac_f32_e32 v22, v18, v21
	v_fma_f32 v23, -v16, v22, v17
	v_add_u32_e32 v16, 0x2010, v3
	ds_read2_b64 v[16:19], v16 offset1:255
	v_div_fmas_f32 v21, v23, v21, v22
	v_div_fixup_f32 v26, v21, v20, 1.0
	v_pk_mul_f32 v[46:47], v[24:25], v[26:27] op_sel_hi:[1,0]
	s_waitcnt lgkmcnt(0)
	v_pk_mul_f32 v[20:21], v[16:17], v[12:13] op_sel:[1,1] op_sel_hi:[1,0] neg_lo:[0,1]
	s_nop 0
	v_pk_fma_f32 v[20:21], v[12:13], v[16:17], v[20:21] op_sel_hi:[1,0,1]
	s_nop 0
	v_pk_add_f32 v[28:29], v[18:19], v[20:21] neg_lo:[0,1] neg_hi:[0,1]
	v_pk_mul_f32 v[20:21], v[10:11], v[18:19] op_sel:[1,1] op_sel_hi:[1,0] neg_lo:[0,1]
	v_xor_b32_e32 v30, 0x80000000, v29
	v_pk_fma_f32 v[18:19], v[18:19], v[10:11], v[20:21] op_sel_hi:[1,0,1]
	v_mov_b32_e32 v31, v28
	v_pk_add_f32 v[32:33], v[16:17], v[18:19] neg_lo:[0,1] neg_hi:[0,1]
	ds_read2_b64 v[16:19], v48 offset0:1 offset1:3
	ds_read2_b64 v[20:23], v3 offset1:2
	ds_read_b64 v[38:39], v3 offset:10264
	v_pk_mul_f32 v[24:25], v[46:47], v[30:31] op_sel:[1,0]
	v_xor_b32_e32 v34, 0x80000000, v33
	v_mov_b32_e32 v35, v32
	s_waitcnt lgkmcnt(1)
	v_mul_f32_e64 v44, v23, -v13
	v_fmac_f32_e32 v44, v12, v22
	v_mul_f32_e32 v12, v23, v12
	v_fmac_f32_e32 v12, v13, v22
	v_add_u32_e32 v13, 0x1810, v3
	v_pk_fma_f32 v[28:29], v[28:29], v[46:47], v[24:25] op_sel_hi:[1,0,1]
	ds_read2_b64 v[24:27], v13 offset0:1 offset1:254
	v_pk_mul_f32 v[30:31], v[46:47], v[34:35] op_sel:[1,0]
	v_xor_b32_e32 v42, 0x80000000, v19
	v_pk_fma_f32 v[30:31], v[32:33], v[46:47], v[30:31] op_sel_hi:[1,0,1]
	v_mov_b32_e32 v43, v18
	v_pk_mul_f32 v[32:33], v[30:31], v[40:41] op_sel:[1,0]
	v_add_u32_e32 v13, 0x2000, v3
	v_pk_fma_f32 v[32:33], v[36:37], v[30:31], v[32:33] op_sel_hi:[1,0,1]
	s_waitcnt lgkmcnt(0)
	v_pk_add_f32 v[26:27], v[26:27], v[32:33] neg_lo:[0,1] neg_hi:[0,1]
	ds_write2_b64 v13, v[26:27], v[30:31] offset1:2
	v_pk_mul_f32 v[26:27], v[28:29], v[42:43] op_sel:[1,0]
	v_add_u32_e32 v13, 0x2800, v3
	v_pk_fma_f32 v[18:19], v[18:19], v[28:29], v[26:27] op_sel_hi:[1,0,1]
	s_nop 0
	v_pk_add_f32 v[18:19], v[38:39], v[18:19] neg_lo:[0,1] neg_hi:[0,1]
	ds_write2_b64 v13, v[28:29], v[18:19] offset0:1 offset1:3
	v_pk_add_f32 v[18:19], v[46:47], 0 neg_lo:[1,1] neg_hi:[1,1]
	v_mul_f32_e32 v28, v11, v16
	v_pk_mov_b32 v[26:27], v[46:47], v[18:19] op_sel:[1,0]
	v_pk_mov_b32 v[18:19], v[18:19], v[46:47] op_sel:[1,0]
	v_fmac_f32_e32 v28, v17, v10
	v_pk_mul_f32 v[18:19], v[22:23], v[18:19] op_sel:[1,0]
	v_pk_mul_f32 v[12:13], v[26:27], v[12:13] op_sel_hi:[1,0]
	v_pk_fma_f32 v[18:19], v[46:47], v[22:23], v[18:19] op_sel_hi:[1,0,1]
	v_mul_f32_e64 v22, v11, -v17
	v_fmac_f32_e32 v22, v16, v10
	v_pk_mul_f32 v[26:27], v[26:27], v[28:29] op_sel_hi:[1,0]
	v_xor_b32_e32 v10, 0x80000000, v47
	v_pk_fma_f32 v[22:23], v[46:47], v[22:23], v[26:27] op_sel_hi:[1,0,1] neg_lo:[1,0,0] neg_hi:[1,0,0]
	v_mov_b32_e32 v11, v46
	v_pk_mul_f32 v[26:27], v[22:23], v[20:21] op_sel:[1,1] op_sel_hi:[1,0] neg_lo:[0,1]
	v_pk_mul_f32 v[10:11], v[16:17], v[10:11] op_sel:[1,0]
	v_pk_fma_f32 v[26:27], v[20:21], v[22:23], v[26:27] op_sel_hi:[1,0,1]
	v_pk_fma_f32 v[10:11], v[46:47], v[16:17], v[10:11] op_sel_hi:[1,0,1]
	v_pk_add_f32 v[16:17], v[20:21], 0 neg_lo:[1,1] neg_hi:[1,1]
	v_pk_add_f32 v[8:9], v[8:9], v[26:27] neg_lo:[0,1] neg_hi:[0,1]
	ds_write2_b64 v7, v[8:9], v[22:23] offset1:2
	v_pk_mov_b32 v[8:9], v[20:21], v[16:17] op_sel:[1,0]
	v_pk_fma_f32 v[12:13], v[46:47], v[44:45], v[12:13] op_sel_hi:[1,0,1] neg_lo:[1,0,0] neg_hi:[1,0,0]
	v_pk_mul_f32 v[8:9], v[18:19], v[8:9] op_sel:[1,0]
	s_nop 0
	v_pk_fma_f32 v[8:9], v[20:21], v[18:19], v[8:9] op_sel_hi:[1,0,1] neg_lo:[1,0,0] neg_hi:[1,0,0]
	ds_write2_b64 v3, v[8:9], v[18:19] offset1:2
	v_xor_b32_e32 v8, 0x80000000, v13
	v_mov_b32_e32 v9, v12
	v_pk_mul_f32 v[8:9], v[24:25], v[8:9] op_sel:[1,0]
	s_nop 0
	v_pk_fma_f32 v[8:9], v[12:13], v[24:25], v[8:9] op_sel_hi:[1,0,1]
	s_nop 0
	v_pk_add_f32 v[8:9], v[14:15], v[8:9] neg_lo:[0,1] neg_hi:[0,1]
	ds_write2_b64 v45, v[12:13], v[8:9] offset0:1 offset1:3
	v_pk_add_f32 v[8:9], v[24:25], 0 neg_lo:[1,1] neg_hi:[1,1]
	s_nop 0
	v_pk_mov_b32 v[8:9], v[24:25], v[8:9] op_sel:[1,0]
	s_nop 0
	v_pk_mul_f32 v[8:9], v[10:11], v[8:9] op_sel:[1,0]
	s_nop 0
	v_pk_fma_f32 v[8:9], v[24:25], v[10:11], v[8:9] op_sel_hi:[1,0,1] neg_lo:[1,0,0] neg_hi:[1,0,0]
	ds_write2_b64 v48, v[10:11], v[8:9] offset0:1 offset1:3
.LBB213_16:
	s_or_b64 exec, exec, s[6:7]
	v_cmp_gt_u32_e32 vcc, 32, v0
	s_waitcnt lgkmcnt(0)
	s_barrier
	s_and_saveexec_b64 s[6:7], vcc
	s_cbranch_execz .LBB213_18
; %bb.17:
	v_lshlrev_b32_e32 v3, 6, v0
	v_add_u32_e32 v7, 0x1000, v3
	ds_read2_b64 v[8:11], v7 offset1:4
	v_add_u32_e32 v45, 0x800, v3
	ds_read2_b64 v[12:15], v45 offset0:3 offset1:7
	s_mov_b64 s[8:9], 0x3f800000
	v_add_u32_e32 v48, 0x1800, v3
	s_waitcnt lgkmcnt(1)
	v_xor_b32_e32 v16, 0x80000000, v11
	v_mov_b32_e32 v17, v10
	s_waitcnt lgkmcnt(0)
	v_pk_mul_f32 v[16:17], v[12:13], v[16:17] op_sel:[1,0]
	ds_read_b64 v[36:37], v3
	v_pk_fma_f32 v[16:17], v[10:11], v[12:13], v[16:17] op_sel_hi:[1,0,1]
	s_waitcnt lgkmcnt(0)
	v_xor_b32_e32 v40, 0x80000000, v37
	v_pk_add_f32 v[24:25], v[16:17], s[8:9] neg_lo:[1,0] neg_hi:[1,0]
	v_mov_b32_e32 v41, v36
	v_mul_f32_e32 v20, v25, v25
	v_fmac_f32_e32 v20, v24, v24
	v_div_scale_f32 v16, s[8:9], v20, v20, 1.0
	v_rcp_f32_e32 v21, v16
	v_fma_f32 v27, v24, 0, -v25
	v_fmac_f32_e32 v24, 0, v25
	v_mov_b32_e32 v25, v27
	v_fma_f32 v17, -v16, v21, 1.0
	v_fmac_f32_e32 v21, v17, v21
	v_div_scale_f32 v17, vcc, 1.0, v20, 1.0
	v_mul_f32_e32 v22, v17, v21
	v_fma_f32 v18, -v16, v22, v17
	v_fmac_f32_e32 v22, v18, v21
	v_fma_f32 v23, -v16, v22, v17
	v_add_u32_e32 v16, 0x2020, v3
	ds_read2_b64 v[16:19], v16 offset1:255
	v_div_fmas_f32 v21, v23, v21, v22
	v_div_fixup_f32 v26, v21, v20, 1.0
	v_pk_mul_f32 v[46:47], v[24:25], v[26:27] op_sel_hi:[1,0]
	s_waitcnt lgkmcnt(0)
	v_pk_mul_f32 v[20:21], v[16:17], v[12:13] op_sel:[1,1] op_sel_hi:[1,0] neg_lo:[0,1]
	s_nop 0
	v_pk_fma_f32 v[20:21], v[12:13], v[16:17], v[20:21] op_sel_hi:[1,0,1]
	s_nop 0
	v_pk_add_f32 v[28:29], v[18:19], v[20:21] neg_lo:[0,1] neg_hi:[0,1]
	v_pk_mul_f32 v[20:21], v[10:11], v[18:19] op_sel:[1,1] op_sel_hi:[1,0] neg_lo:[0,1]
	v_xor_b32_e32 v30, 0x80000000, v29
	v_pk_fma_f32 v[18:19], v[18:19], v[10:11], v[20:21] op_sel_hi:[1,0,1]
	v_mov_b32_e32 v31, v28
	v_pk_add_f32 v[32:33], v[16:17], v[18:19] neg_lo:[0,1] neg_hi:[0,1]
	ds_read2_b64 v[16:19], v48 offset0:3 offset1:7
	ds_read2_b64 v[20:23], v3 offset1:4
	ds_read_b64 v[38:39], v3 offset:10296
	v_pk_mul_f32 v[24:25], v[46:47], v[30:31] op_sel:[1,0]
	v_xor_b32_e32 v34, 0x80000000, v33
	v_mov_b32_e32 v35, v32
	s_waitcnt lgkmcnt(1)
	v_mul_f32_e64 v44, v23, -v13
	v_fmac_f32_e32 v44, v12, v22
	v_mul_f32_e32 v12, v23, v12
	v_fmac_f32_e32 v12, v13, v22
	v_add_u32_e32 v13, 0x1820, v3
	v_pk_fma_f32 v[28:29], v[28:29], v[46:47], v[24:25] op_sel_hi:[1,0,1]
	ds_read2_b64 v[24:27], v13 offset0:3 offset1:252
	v_pk_mul_f32 v[30:31], v[46:47], v[34:35] op_sel:[1,0]
	v_xor_b32_e32 v42, 0x80000000, v19
	v_pk_fma_f32 v[30:31], v[32:33], v[46:47], v[30:31] op_sel_hi:[1,0,1]
	v_mov_b32_e32 v43, v18
	v_pk_mul_f32 v[32:33], v[30:31], v[40:41] op_sel:[1,0]
	v_add_u32_e32 v13, 0x2000, v3
	v_pk_fma_f32 v[32:33], v[36:37], v[30:31], v[32:33] op_sel_hi:[1,0,1]
	s_waitcnt lgkmcnt(0)
	v_pk_add_f32 v[26:27], v[26:27], v[32:33] neg_lo:[0,1] neg_hi:[0,1]
	ds_write2_b64 v13, v[26:27], v[30:31] offset1:4
	v_pk_mul_f32 v[26:27], v[28:29], v[42:43] op_sel:[1,0]
	v_add_u32_e32 v13, 0x2800, v3
	v_pk_fma_f32 v[18:19], v[18:19], v[28:29], v[26:27] op_sel_hi:[1,0,1]
	s_nop 0
	v_pk_add_f32 v[18:19], v[38:39], v[18:19] neg_lo:[0,1] neg_hi:[0,1]
	ds_write2_b64 v13, v[28:29], v[18:19] offset0:3 offset1:7
	v_pk_add_f32 v[18:19], v[46:47], 0 neg_lo:[1,1] neg_hi:[1,1]
	v_mul_f32_e32 v28, v11, v16
	v_pk_mov_b32 v[26:27], v[46:47], v[18:19] op_sel:[1,0]
	v_pk_mov_b32 v[18:19], v[18:19], v[46:47] op_sel:[1,0]
	v_fmac_f32_e32 v28, v17, v10
	v_pk_mul_f32 v[18:19], v[22:23], v[18:19] op_sel:[1,0]
	v_pk_mul_f32 v[12:13], v[26:27], v[12:13] op_sel_hi:[1,0]
	v_pk_fma_f32 v[18:19], v[46:47], v[22:23], v[18:19] op_sel_hi:[1,0,1]
	v_mul_f32_e64 v22, v11, -v17
	v_fmac_f32_e32 v22, v16, v10
	v_pk_mul_f32 v[26:27], v[26:27], v[28:29] op_sel_hi:[1,0]
	v_xor_b32_e32 v10, 0x80000000, v47
	v_pk_fma_f32 v[22:23], v[46:47], v[22:23], v[26:27] op_sel_hi:[1,0,1] neg_lo:[1,0,0] neg_hi:[1,0,0]
	v_mov_b32_e32 v11, v46
	v_pk_mul_f32 v[26:27], v[22:23], v[20:21] op_sel:[1,1] op_sel_hi:[1,0] neg_lo:[0,1]
	v_pk_mul_f32 v[10:11], v[16:17], v[10:11] op_sel:[1,0]
	v_pk_fma_f32 v[26:27], v[20:21], v[22:23], v[26:27] op_sel_hi:[1,0,1]
	v_pk_fma_f32 v[10:11], v[46:47], v[16:17], v[10:11] op_sel_hi:[1,0,1]
	v_pk_add_f32 v[16:17], v[20:21], 0 neg_lo:[1,1] neg_hi:[1,1]
	v_pk_add_f32 v[8:9], v[8:9], v[26:27] neg_lo:[0,1] neg_hi:[0,1]
	ds_write2_b64 v7, v[8:9], v[22:23] offset1:4
	v_pk_mov_b32 v[8:9], v[20:21], v[16:17] op_sel:[1,0]
	v_pk_fma_f32 v[12:13], v[46:47], v[44:45], v[12:13] op_sel_hi:[1,0,1] neg_lo:[1,0,0] neg_hi:[1,0,0]
	v_pk_mul_f32 v[8:9], v[18:19], v[8:9] op_sel:[1,0]
	s_nop 0
	v_pk_fma_f32 v[8:9], v[20:21], v[18:19], v[8:9] op_sel_hi:[1,0,1] neg_lo:[1,0,0] neg_hi:[1,0,0]
	ds_write2_b64 v3, v[8:9], v[18:19] offset1:4
	v_xor_b32_e32 v8, 0x80000000, v13
	v_mov_b32_e32 v9, v12
	v_pk_mul_f32 v[8:9], v[24:25], v[8:9] op_sel:[1,0]
	s_nop 0
	v_pk_fma_f32 v[8:9], v[12:13], v[24:25], v[8:9] op_sel_hi:[1,0,1]
	s_nop 0
	v_pk_add_f32 v[8:9], v[14:15], v[8:9] neg_lo:[0,1] neg_hi:[0,1]
	ds_write2_b64 v45, v[12:13], v[8:9] offset0:3 offset1:7
	v_pk_add_f32 v[8:9], v[24:25], 0 neg_lo:[1,1] neg_hi:[1,1]
	s_nop 0
	v_pk_mov_b32 v[8:9], v[24:25], v[8:9] op_sel:[1,0]
	s_nop 0
	v_pk_mul_f32 v[8:9], v[10:11], v[8:9] op_sel:[1,0]
	s_nop 0
	v_pk_fma_f32 v[8:9], v[24:25], v[10:11], v[8:9] op_sel_hi:[1,0,1] neg_lo:[1,0,0] neg_hi:[1,0,0]
	ds_write2_b64 v48, v[10:11], v[8:9] offset0:3 offset1:7
.LBB213_18:
	s_or_b64 exec, exec, s[6:7]
	v_cmp_gt_u32_e32 vcc, 16, v0
	s_waitcnt lgkmcnt(0)
	s_barrier
	s_and_saveexec_b64 s[6:7], vcc
	s_cbranch_execz .LBB213_20
; %bb.19:
	v_lshlrev_b32_e32 v3, 7, v0
	v_add_u32_e32 v7, 0x1000, v3
	ds_read2_b64 v[8:11], v7 offset1:8
	v_add_u32_e32 v45, 0x800, v3
	ds_read2_b64 v[12:15], v45 offset0:7 offset1:15
	s_mov_b64 s[8:9], 0x3f800000
	v_add_u32_e32 v48, 0x1800, v3
	s_waitcnt lgkmcnt(1)
	v_xor_b32_e32 v16, 0x80000000, v11
	v_mov_b32_e32 v17, v10
	s_waitcnt lgkmcnt(0)
	v_pk_mul_f32 v[16:17], v[12:13], v[16:17] op_sel:[1,0]
	ds_read_b64 v[36:37], v3
	v_pk_fma_f32 v[16:17], v[10:11], v[12:13], v[16:17] op_sel_hi:[1,0,1]
	s_waitcnt lgkmcnt(0)
	v_xor_b32_e32 v40, 0x80000000, v37
	v_pk_add_f32 v[24:25], v[16:17], s[8:9] neg_lo:[1,0] neg_hi:[1,0]
	v_mov_b32_e32 v41, v36
	v_mul_f32_e32 v20, v25, v25
	v_fmac_f32_e32 v20, v24, v24
	v_div_scale_f32 v16, s[8:9], v20, v20, 1.0
	v_rcp_f32_e32 v21, v16
	v_fma_f32 v27, v24, 0, -v25
	v_fmac_f32_e32 v24, 0, v25
	v_mov_b32_e32 v25, v27
	v_fma_f32 v17, -v16, v21, 1.0
	v_fmac_f32_e32 v21, v17, v21
	v_div_scale_f32 v17, vcc, 1.0, v20, 1.0
	v_mul_f32_e32 v22, v17, v21
	v_fma_f32 v18, -v16, v22, v17
	v_fmac_f32_e32 v22, v18, v21
	v_fma_f32 v23, -v16, v22, v17
	v_add_u32_e32 v16, 0x2040, v3
	ds_read2_b64 v[16:19], v16 offset1:255
	v_div_fmas_f32 v21, v23, v21, v22
	v_div_fixup_f32 v26, v21, v20, 1.0
	v_pk_mul_f32 v[46:47], v[24:25], v[26:27] op_sel_hi:[1,0]
	s_waitcnt lgkmcnt(0)
	v_pk_mul_f32 v[20:21], v[16:17], v[12:13] op_sel:[1,1] op_sel_hi:[1,0] neg_lo:[0,1]
	s_nop 0
	v_pk_fma_f32 v[20:21], v[12:13], v[16:17], v[20:21] op_sel_hi:[1,0,1]
	s_nop 0
	v_pk_add_f32 v[28:29], v[18:19], v[20:21] neg_lo:[0,1] neg_hi:[0,1]
	v_pk_mul_f32 v[20:21], v[10:11], v[18:19] op_sel:[1,1] op_sel_hi:[1,0] neg_lo:[0,1]
	v_xor_b32_e32 v30, 0x80000000, v29
	v_pk_fma_f32 v[18:19], v[18:19], v[10:11], v[20:21] op_sel_hi:[1,0,1]
	v_mov_b32_e32 v31, v28
	v_pk_add_f32 v[32:33], v[16:17], v[18:19] neg_lo:[0,1] neg_hi:[0,1]
	ds_read2_b64 v[16:19], v48 offset0:7 offset1:15
	ds_read2_b64 v[20:23], v3 offset1:8
	ds_read_b64 v[38:39], v3 offset:10360
	v_pk_mul_f32 v[24:25], v[46:47], v[30:31] op_sel:[1,0]
	v_xor_b32_e32 v34, 0x80000000, v33
	v_mov_b32_e32 v35, v32
	s_waitcnt lgkmcnt(1)
	v_mul_f32_e64 v44, v23, -v13
	v_fmac_f32_e32 v44, v12, v22
	v_mul_f32_e32 v12, v23, v12
	v_fmac_f32_e32 v12, v13, v22
	v_add_u32_e32 v13, 0x1840, v3
	v_pk_fma_f32 v[28:29], v[28:29], v[46:47], v[24:25] op_sel_hi:[1,0,1]
	ds_read2_b64 v[24:27], v13 offset0:7 offset1:248
	v_pk_mul_f32 v[30:31], v[46:47], v[34:35] op_sel:[1,0]
	v_xor_b32_e32 v42, 0x80000000, v19
	v_pk_fma_f32 v[30:31], v[32:33], v[46:47], v[30:31] op_sel_hi:[1,0,1]
	v_mov_b32_e32 v43, v18
	v_pk_mul_f32 v[32:33], v[30:31], v[40:41] op_sel:[1,0]
	v_add_u32_e32 v13, 0x2000, v3
	v_pk_fma_f32 v[32:33], v[36:37], v[30:31], v[32:33] op_sel_hi:[1,0,1]
	s_waitcnt lgkmcnt(0)
	v_pk_add_f32 v[26:27], v[26:27], v[32:33] neg_lo:[0,1] neg_hi:[0,1]
	ds_write2_b64 v13, v[26:27], v[30:31] offset1:8
	v_pk_mul_f32 v[26:27], v[28:29], v[42:43] op_sel:[1,0]
	v_add_u32_e32 v13, 0x2800, v3
	v_pk_fma_f32 v[18:19], v[18:19], v[28:29], v[26:27] op_sel_hi:[1,0,1]
	s_nop 0
	v_pk_add_f32 v[18:19], v[38:39], v[18:19] neg_lo:[0,1] neg_hi:[0,1]
	ds_write2_b64 v13, v[28:29], v[18:19] offset0:7 offset1:15
	v_pk_add_f32 v[18:19], v[46:47], 0 neg_lo:[1,1] neg_hi:[1,1]
	v_mul_f32_e32 v28, v11, v16
	v_pk_mov_b32 v[26:27], v[46:47], v[18:19] op_sel:[1,0]
	v_pk_mov_b32 v[18:19], v[18:19], v[46:47] op_sel:[1,0]
	v_fmac_f32_e32 v28, v17, v10
	v_pk_mul_f32 v[18:19], v[22:23], v[18:19] op_sel:[1,0]
	v_pk_mul_f32 v[12:13], v[26:27], v[12:13] op_sel_hi:[1,0]
	v_pk_fma_f32 v[18:19], v[46:47], v[22:23], v[18:19] op_sel_hi:[1,0,1]
	v_mul_f32_e64 v22, v11, -v17
	v_fmac_f32_e32 v22, v16, v10
	v_pk_mul_f32 v[26:27], v[26:27], v[28:29] op_sel_hi:[1,0]
	v_xor_b32_e32 v10, 0x80000000, v47
	v_pk_fma_f32 v[22:23], v[46:47], v[22:23], v[26:27] op_sel_hi:[1,0,1] neg_lo:[1,0,0] neg_hi:[1,0,0]
	v_mov_b32_e32 v11, v46
	v_pk_mul_f32 v[26:27], v[22:23], v[20:21] op_sel:[1,1] op_sel_hi:[1,0] neg_lo:[0,1]
	v_pk_mul_f32 v[10:11], v[16:17], v[10:11] op_sel:[1,0]
	v_pk_fma_f32 v[26:27], v[20:21], v[22:23], v[26:27] op_sel_hi:[1,0,1]
	v_pk_fma_f32 v[10:11], v[46:47], v[16:17], v[10:11] op_sel_hi:[1,0,1]
	v_pk_add_f32 v[16:17], v[20:21], 0 neg_lo:[1,1] neg_hi:[1,1]
	v_pk_add_f32 v[8:9], v[8:9], v[26:27] neg_lo:[0,1] neg_hi:[0,1]
	ds_write2_b64 v7, v[8:9], v[22:23] offset1:8
	v_pk_mov_b32 v[8:9], v[20:21], v[16:17] op_sel:[1,0]
	v_pk_fma_f32 v[12:13], v[46:47], v[44:45], v[12:13] op_sel_hi:[1,0,1] neg_lo:[1,0,0] neg_hi:[1,0,0]
	v_pk_mul_f32 v[8:9], v[18:19], v[8:9] op_sel:[1,0]
	s_nop 0
	v_pk_fma_f32 v[8:9], v[20:21], v[18:19], v[8:9] op_sel_hi:[1,0,1] neg_lo:[1,0,0] neg_hi:[1,0,0]
	ds_write2_b64 v3, v[8:9], v[18:19] offset1:8
	v_xor_b32_e32 v8, 0x80000000, v13
	v_mov_b32_e32 v9, v12
	v_pk_mul_f32 v[8:9], v[24:25], v[8:9] op_sel:[1,0]
	s_nop 0
	v_pk_fma_f32 v[8:9], v[12:13], v[24:25], v[8:9] op_sel_hi:[1,0,1]
	s_nop 0
	v_pk_add_f32 v[8:9], v[14:15], v[8:9] neg_lo:[0,1] neg_hi:[0,1]
	ds_write2_b64 v45, v[12:13], v[8:9] offset0:7 offset1:15
	v_pk_add_f32 v[8:9], v[24:25], 0 neg_lo:[1,1] neg_hi:[1,1]
	s_nop 0
	v_pk_mov_b32 v[8:9], v[24:25], v[8:9] op_sel:[1,0]
	s_nop 0
	v_pk_mul_f32 v[8:9], v[10:11], v[8:9] op_sel:[1,0]
	s_nop 0
	v_pk_fma_f32 v[8:9], v[24:25], v[10:11], v[8:9] op_sel_hi:[1,0,1] neg_lo:[1,0,0] neg_hi:[1,0,0]
	ds_write2_b64 v48, v[10:11], v[8:9] offset0:7 offset1:15
.LBB213_20:
	s_or_b64 exec, exec, s[6:7]
	v_cmp_gt_u32_e32 vcc, 8, v0
	s_waitcnt lgkmcnt(0)
	s_barrier
	s_and_saveexec_b64 s[6:7], vcc
	s_cbranch_execz .LBB213_22
; %bb.21:
	v_lshlrev_b32_e32 v3, 8, v0
	v_add_u32_e32 v7, 0x1000, v3
	ds_read2_b64 v[8:11], v7 offset1:16
	v_add_u32_e32 v45, 0x800, v3
	ds_read2_b64 v[12:15], v45 offset0:15 offset1:31
	s_mov_b64 s[8:9], 0x3f800000
	v_add_u32_e32 v48, 0x1800, v3
	s_waitcnt lgkmcnt(1)
	v_xor_b32_e32 v16, 0x80000000, v11
	v_mov_b32_e32 v17, v10
	s_waitcnt lgkmcnt(0)
	v_pk_mul_f32 v[16:17], v[12:13], v[16:17] op_sel:[1,0]
	ds_read_b64 v[36:37], v3
	v_pk_fma_f32 v[16:17], v[10:11], v[12:13], v[16:17] op_sel_hi:[1,0,1]
	s_waitcnt lgkmcnt(0)
	v_xor_b32_e32 v40, 0x80000000, v37
	v_pk_add_f32 v[24:25], v[16:17], s[8:9] neg_lo:[1,0] neg_hi:[1,0]
	v_mov_b32_e32 v41, v36
	v_mul_f32_e32 v20, v25, v25
	v_fmac_f32_e32 v20, v24, v24
	v_div_scale_f32 v16, s[8:9], v20, v20, 1.0
	v_rcp_f32_e32 v21, v16
	v_fma_f32 v27, v24, 0, -v25
	v_fmac_f32_e32 v24, 0, v25
	v_mov_b32_e32 v25, v27
	v_fma_f32 v17, -v16, v21, 1.0
	v_fmac_f32_e32 v21, v17, v21
	v_div_scale_f32 v17, vcc, 1.0, v20, 1.0
	v_mul_f32_e32 v22, v17, v21
	v_fma_f32 v18, -v16, v22, v17
	v_fmac_f32_e32 v22, v18, v21
	v_fma_f32 v23, -v16, v22, v17
	v_add_u32_e32 v16, 0x2080, v3
	ds_read2_b64 v[16:19], v16 offset1:255
	v_div_fmas_f32 v21, v23, v21, v22
	v_div_fixup_f32 v26, v21, v20, 1.0
	v_pk_mul_f32 v[46:47], v[24:25], v[26:27] op_sel_hi:[1,0]
	s_waitcnt lgkmcnt(0)
	v_pk_mul_f32 v[20:21], v[16:17], v[12:13] op_sel:[1,1] op_sel_hi:[1,0] neg_lo:[0,1]
	s_nop 0
	v_pk_fma_f32 v[20:21], v[12:13], v[16:17], v[20:21] op_sel_hi:[1,0,1]
	s_nop 0
	v_pk_add_f32 v[28:29], v[18:19], v[20:21] neg_lo:[0,1] neg_hi:[0,1]
	v_pk_mul_f32 v[20:21], v[10:11], v[18:19] op_sel:[1,1] op_sel_hi:[1,0] neg_lo:[0,1]
	v_xor_b32_e32 v30, 0x80000000, v29
	v_pk_fma_f32 v[18:19], v[18:19], v[10:11], v[20:21] op_sel_hi:[1,0,1]
	v_mov_b32_e32 v31, v28
	v_pk_add_f32 v[32:33], v[16:17], v[18:19] neg_lo:[0,1] neg_hi:[0,1]
	ds_read2_b64 v[16:19], v48 offset0:15 offset1:31
	ds_read2_b64 v[20:23], v3 offset1:16
	ds_read_b64 v[38:39], v3 offset:10488
	v_pk_mul_f32 v[24:25], v[46:47], v[30:31] op_sel:[1,0]
	v_xor_b32_e32 v34, 0x80000000, v33
	v_mov_b32_e32 v35, v32
	s_waitcnt lgkmcnt(1)
	v_mul_f32_e64 v44, v23, -v13
	v_fmac_f32_e32 v44, v12, v22
	v_mul_f32_e32 v12, v23, v12
	v_fmac_f32_e32 v12, v13, v22
	v_add_u32_e32 v13, 0x1880, v3
	v_pk_fma_f32 v[28:29], v[28:29], v[46:47], v[24:25] op_sel_hi:[1,0,1]
	ds_read2_b64 v[24:27], v13 offset0:15 offset1:240
	v_pk_mul_f32 v[30:31], v[46:47], v[34:35] op_sel:[1,0]
	v_xor_b32_e32 v42, 0x80000000, v19
	v_pk_fma_f32 v[30:31], v[32:33], v[46:47], v[30:31] op_sel_hi:[1,0,1]
	v_mov_b32_e32 v43, v18
	v_pk_mul_f32 v[32:33], v[30:31], v[40:41] op_sel:[1,0]
	v_add_u32_e32 v13, 0x2000, v3
	v_pk_fma_f32 v[32:33], v[36:37], v[30:31], v[32:33] op_sel_hi:[1,0,1]
	s_waitcnt lgkmcnt(0)
	v_pk_add_f32 v[26:27], v[26:27], v[32:33] neg_lo:[0,1] neg_hi:[0,1]
	ds_write2_b64 v13, v[26:27], v[30:31] offset1:16
	v_pk_mul_f32 v[26:27], v[28:29], v[42:43] op_sel:[1,0]
	v_add_u32_e32 v13, 0x2800, v3
	v_pk_fma_f32 v[18:19], v[18:19], v[28:29], v[26:27] op_sel_hi:[1,0,1]
	s_nop 0
	v_pk_add_f32 v[18:19], v[38:39], v[18:19] neg_lo:[0,1] neg_hi:[0,1]
	ds_write2_b64 v13, v[28:29], v[18:19] offset0:15 offset1:31
	v_pk_add_f32 v[18:19], v[46:47], 0 neg_lo:[1,1] neg_hi:[1,1]
	v_mul_f32_e32 v28, v11, v16
	v_pk_mov_b32 v[26:27], v[46:47], v[18:19] op_sel:[1,0]
	v_pk_mov_b32 v[18:19], v[18:19], v[46:47] op_sel:[1,0]
	v_fmac_f32_e32 v28, v17, v10
	v_pk_mul_f32 v[18:19], v[22:23], v[18:19] op_sel:[1,0]
	v_pk_mul_f32 v[12:13], v[26:27], v[12:13] op_sel_hi:[1,0]
	v_pk_fma_f32 v[18:19], v[46:47], v[22:23], v[18:19] op_sel_hi:[1,0,1]
	v_mul_f32_e64 v22, v11, -v17
	v_fmac_f32_e32 v22, v16, v10
	v_pk_mul_f32 v[26:27], v[26:27], v[28:29] op_sel_hi:[1,0]
	v_xor_b32_e32 v10, 0x80000000, v47
	v_pk_fma_f32 v[22:23], v[46:47], v[22:23], v[26:27] op_sel_hi:[1,0,1] neg_lo:[1,0,0] neg_hi:[1,0,0]
	v_mov_b32_e32 v11, v46
	v_pk_mul_f32 v[26:27], v[22:23], v[20:21] op_sel:[1,1] op_sel_hi:[1,0] neg_lo:[0,1]
	v_pk_mul_f32 v[10:11], v[16:17], v[10:11] op_sel:[1,0]
	v_pk_fma_f32 v[26:27], v[20:21], v[22:23], v[26:27] op_sel_hi:[1,0,1]
	v_pk_fma_f32 v[10:11], v[46:47], v[16:17], v[10:11] op_sel_hi:[1,0,1]
	v_pk_add_f32 v[16:17], v[20:21], 0 neg_lo:[1,1] neg_hi:[1,1]
	v_pk_add_f32 v[8:9], v[8:9], v[26:27] neg_lo:[0,1] neg_hi:[0,1]
	ds_write2_b64 v7, v[8:9], v[22:23] offset1:16
	v_pk_mov_b32 v[8:9], v[20:21], v[16:17] op_sel:[1,0]
	v_pk_fma_f32 v[12:13], v[46:47], v[44:45], v[12:13] op_sel_hi:[1,0,1] neg_lo:[1,0,0] neg_hi:[1,0,0]
	v_pk_mul_f32 v[8:9], v[18:19], v[8:9] op_sel:[1,0]
	s_nop 0
	v_pk_fma_f32 v[8:9], v[20:21], v[18:19], v[8:9] op_sel_hi:[1,0,1] neg_lo:[1,0,0] neg_hi:[1,0,0]
	ds_write2_b64 v3, v[8:9], v[18:19] offset1:16
	v_xor_b32_e32 v8, 0x80000000, v13
	v_mov_b32_e32 v9, v12
	v_pk_mul_f32 v[8:9], v[24:25], v[8:9] op_sel:[1,0]
	s_nop 0
	v_pk_fma_f32 v[8:9], v[12:13], v[24:25], v[8:9] op_sel_hi:[1,0,1]
	s_nop 0
	v_pk_add_f32 v[8:9], v[14:15], v[8:9] neg_lo:[0,1] neg_hi:[0,1]
	ds_write2_b64 v45, v[12:13], v[8:9] offset0:15 offset1:31
	v_pk_add_f32 v[8:9], v[24:25], 0 neg_lo:[1,1] neg_hi:[1,1]
	s_nop 0
	v_pk_mov_b32 v[8:9], v[24:25], v[8:9] op_sel:[1,0]
	s_nop 0
	v_pk_mul_f32 v[8:9], v[10:11], v[8:9] op_sel:[1,0]
	s_nop 0
	v_pk_fma_f32 v[8:9], v[24:25], v[10:11], v[8:9] op_sel_hi:[1,0,1] neg_lo:[1,0,0] neg_hi:[1,0,0]
	ds_write2_b64 v48, v[10:11], v[8:9] offset0:15 offset1:31
.LBB213_22:
	s_or_b64 exec, exec, s[6:7]
	v_cmp_gt_u32_e32 vcc, 4, v0
	s_waitcnt lgkmcnt(0)
	s_barrier
	s_and_saveexec_b64 s[6:7], vcc
	s_cbranch_execz .LBB213_24
; %bb.23:
	v_lshlrev_b32_e32 v3, 9, v0
	v_add_u32_e32 v7, 0x1000, v3
	ds_read2_b64 v[8:11], v7 offset1:32
	v_add_u32_e32 v45, 0x800, v3
	ds_read2_b64 v[12:15], v45 offset0:31 offset1:63
	s_mov_b64 s[8:9], 0x3f800000
	v_add_u32_e32 v48, 0x1800, v3
	s_waitcnt lgkmcnt(1)
	v_xor_b32_e32 v16, 0x80000000, v11
	v_mov_b32_e32 v17, v10
	s_waitcnt lgkmcnt(0)
	v_pk_mul_f32 v[16:17], v[12:13], v[16:17] op_sel:[1,0]
	ds_read_b64 v[36:37], v3
	v_pk_fma_f32 v[16:17], v[10:11], v[12:13], v[16:17] op_sel_hi:[1,0,1]
	s_waitcnt lgkmcnt(0)
	v_xor_b32_e32 v40, 0x80000000, v37
	v_pk_add_f32 v[24:25], v[16:17], s[8:9] neg_lo:[1,0] neg_hi:[1,0]
	v_mov_b32_e32 v41, v36
	v_mul_f32_e32 v20, v25, v25
	v_fmac_f32_e32 v20, v24, v24
	v_div_scale_f32 v16, s[8:9], v20, v20, 1.0
	v_rcp_f32_e32 v21, v16
	v_fma_f32 v27, v24, 0, -v25
	v_fmac_f32_e32 v24, 0, v25
	v_mov_b32_e32 v25, v27
	v_fma_f32 v17, -v16, v21, 1.0
	v_fmac_f32_e32 v21, v17, v21
	v_div_scale_f32 v17, vcc, 1.0, v20, 1.0
	v_mul_f32_e32 v22, v17, v21
	v_fma_f32 v18, -v16, v22, v17
	v_fmac_f32_e32 v22, v18, v21
	v_fma_f32 v23, -v16, v22, v17
	v_add_u32_e32 v16, 0x2100, v3
	ds_read2_b64 v[16:19], v16 offset1:255
	v_div_fmas_f32 v21, v23, v21, v22
	v_div_fixup_f32 v26, v21, v20, 1.0
	v_pk_mul_f32 v[46:47], v[24:25], v[26:27] op_sel_hi:[1,0]
	s_waitcnt lgkmcnt(0)
	v_pk_mul_f32 v[20:21], v[16:17], v[12:13] op_sel:[1,1] op_sel_hi:[1,0] neg_lo:[0,1]
	s_nop 0
	v_pk_fma_f32 v[20:21], v[12:13], v[16:17], v[20:21] op_sel_hi:[1,0,1]
	s_nop 0
	v_pk_add_f32 v[28:29], v[18:19], v[20:21] neg_lo:[0,1] neg_hi:[0,1]
	v_pk_mul_f32 v[20:21], v[10:11], v[18:19] op_sel:[1,1] op_sel_hi:[1,0] neg_lo:[0,1]
	v_xor_b32_e32 v30, 0x80000000, v29
	v_pk_fma_f32 v[18:19], v[18:19], v[10:11], v[20:21] op_sel_hi:[1,0,1]
	v_mov_b32_e32 v31, v28
	v_pk_add_f32 v[32:33], v[16:17], v[18:19] neg_lo:[0,1] neg_hi:[0,1]
	ds_read2_b64 v[16:19], v48 offset0:31 offset1:63
	ds_read2_b64 v[20:23], v3 offset1:32
	ds_read_b64 v[38:39], v3 offset:10744
	v_pk_mul_f32 v[24:25], v[46:47], v[30:31] op_sel:[1,0]
	v_xor_b32_e32 v34, 0x80000000, v33
	v_mov_b32_e32 v35, v32
	s_waitcnt lgkmcnt(1)
	v_mul_f32_e64 v44, v23, -v13
	v_fmac_f32_e32 v44, v12, v22
	v_mul_f32_e32 v12, v23, v12
	v_fmac_f32_e32 v12, v13, v22
	v_add_u32_e32 v13, 0x1900, v3
	v_pk_fma_f32 v[28:29], v[28:29], v[46:47], v[24:25] op_sel_hi:[1,0,1]
	ds_read2_b64 v[24:27], v13 offset0:31 offset1:224
	v_pk_mul_f32 v[30:31], v[46:47], v[34:35] op_sel:[1,0]
	v_xor_b32_e32 v42, 0x80000000, v19
	v_pk_fma_f32 v[30:31], v[32:33], v[46:47], v[30:31] op_sel_hi:[1,0,1]
	v_mov_b32_e32 v43, v18
	v_pk_mul_f32 v[32:33], v[30:31], v[40:41] op_sel:[1,0]
	v_add_u32_e32 v13, 0x2000, v3
	v_pk_fma_f32 v[32:33], v[36:37], v[30:31], v[32:33] op_sel_hi:[1,0,1]
	s_waitcnt lgkmcnt(0)
	v_pk_add_f32 v[26:27], v[26:27], v[32:33] neg_lo:[0,1] neg_hi:[0,1]
	ds_write2_b64 v13, v[26:27], v[30:31] offset1:32
	v_pk_mul_f32 v[26:27], v[28:29], v[42:43] op_sel:[1,0]
	v_add_u32_e32 v13, 0x2800, v3
	v_pk_fma_f32 v[18:19], v[18:19], v[28:29], v[26:27] op_sel_hi:[1,0,1]
	s_nop 0
	v_pk_add_f32 v[18:19], v[38:39], v[18:19] neg_lo:[0,1] neg_hi:[0,1]
	ds_write2_b64 v13, v[28:29], v[18:19] offset0:31 offset1:63
	v_pk_add_f32 v[18:19], v[46:47], 0 neg_lo:[1,1] neg_hi:[1,1]
	v_mul_f32_e32 v28, v11, v16
	v_pk_mov_b32 v[26:27], v[46:47], v[18:19] op_sel:[1,0]
	v_pk_mov_b32 v[18:19], v[18:19], v[46:47] op_sel:[1,0]
	v_fmac_f32_e32 v28, v17, v10
	v_pk_mul_f32 v[18:19], v[22:23], v[18:19] op_sel:[1,0]
	v_pk_mul_f32 v[12:13], v[26:27], v[12:13] op_sel_hi:[1,0]
	v_pk_fma_f32 v[18:19], v[46:47], v[22:23], v[18:19] op_sel_hi:[1,0,1]
	v_mul_f32_e64 v22, v11, -v17
	v_fmac_f32_e32 v22, v16, v10
	v_pk_mul_f32 v[26:27], v[26:27], v[28:29] op_sel_hi:[1,0]
	v_xor_b32_e32 v10, 0x80000000, v47
	v_pk_fma_f32 v[22:23], v[46:47], v[22:23], v[26:27] op_sel_hi:[1,0,1] neg_lo:[1,0,0] neg_hi:[1,0,0]
	v_mov_b32_e32 v11, v46
	v_pk_mul_f32 v[26:27], v[22:23], v[20:21] op_sel:[1,1] op_sel_hi:[1,0] neg_lo:[0,1]
	v_pk_mul_f32 v[10:11], v[16:17], v[10:11] op_sel:[1,0]
	v_pk_fma_f32 v[26:27], v[20:21], v[22:23], v[26:27] op_sel_hi:[1,0,1]
	v_pk_fma_f32 v[10:11], v[46:47], v[16:17], v[10:11] op_sel_hi:[1,0,1]
	v_pk_add_f32 v[16:17], v[20:21], 0 neg_lo:[1,1] neg_hi:[1,1]
	v_pk_add_f32 v[8:9], v[8:9], v[26:27] neg_lo:[0,1] neg_hi:[0,1]
	ds_write2_b64 v7, v[8:9], v[22:23] offset1:32
	v_pk_mov_b32 v[8:9], v[20:21], v[16:17] op_sel:[1,0]
	v_pk_fma_f32 v[12:13], v[46:47], v[44:45], v[12:13] op_sel_hi:[1,0,1] neg_lo:[1,0,0] neg_hi:[1,0,0]
	v_pk_mul_f32 v[8:9], v[18:19], v[8:9] op_sel:[1,0]
	s_nop 0
	v_pk_fma_f32 v[8:9], v[20:21], v[18:19], v[8:9] op_sel_hi:[1,0,1] neg_lo:[1,0,0] neg_hi:[1,0,0]
	ds_write2_b64 v3, v[8:9], v[18:19] offset1:32
	v_xor_b32_e32 v8, 0x80000000, v13
	v_mov_b32_e32 v9, v12
	v_pk_mul_f32 v[8:9], v[24:25], v[8:9] op_sel:[1,0]
	s_nop 0
	v_pk_fma_f32 v[8:9], v[12:13], v[24:25], v[8:9] op_sel_hi:[1,0,1]
	s_nop 0
	v_pk_add_f32 v[8:9], v[14:15], v[8:9] neg_lo:[0,1] neg_hi:[0,1]
	ds_write2_b64 v45, v[12:13], v[8:9] offset0:31 offset1:63
	v_pk_add_f32 v[8:9], v[24:25], 0 neg_lo:[1,1] neg_hi:[1,1]
	s_nop 0
	v_pk_mov_b32 v[8:9], v[24:25], v[8:9] op_sel:[1,0]
	s_nop 0
	v_pk_mul_f32 v[8:9], v[10:11], v[8:9] op_sel:[1,0]
	s_nop 0
	v_pk_fma_f32 v[8:9], v[24:25], v[10:11], v[8:9] op_sel_hi:[1,0,1] neg_lo:[1,0,0] neg_hi:[1,0,0]
	ds_write2_b64 v48, v[10:11], v[8:9] offset0:31 offset1:63
.LBB213_24:
	s_or_b64 exec, exec, s[6:7]
	v_cmp_gt_u32_e32 vcc, 2, v0
	s_waitcnt lgkmcnt(0)
	s_barrier
	s_and_saveexec_b64 s[6:7], vcc
	s_cbranch_execz .LBB213_26
; %bb.25:
	v_lshlrev_b32_e32 v3, 10, v0
	ds_read2st64_b64 v[8:11], v3 offset0:8 offset1:9
	v_add_u32_e32 v7, 0x1f8, v3
	ds_read2st64_b64 v[12:15], v7 offset0:4 offset1:5
	ds_read_b64 v[28:29], v3 offset:11256
	s_mov_b64 s[8:9], 0x3f800000
	ds_read2st64_b64 v[16:19], v7 offset0:12 offset1:13
	s_waitcnt lgkmcnt(3)
	v_xor_b32_e32 v20, 0x80000000, v11
	v_mov_b32_e32 v21, v10
	s_waitcnt lgkmcnt(2)
	v_pk_mul_f32 v[20:21], v[12:13], v[20:21] op_sel:[1,0]
	s_waitcnt lgkmcnt(0)
	v_xor_b32_e32 v42, 0x80000000, v19
	v_pk_fma_f32 v[20:21], v[10:11], v[12:13], v[20:21] op_sel_hi:[1,0,1]
	v_mov_b32_e32 v43, v18
	v_pk_add_f32 v[24:25], v[20:21], s[8:9] neg_lo:[1,0] neg_hi:[1,0]
	s_nop 0
	v_mul_f32_e32 v26, v25, v25
	v_fmac_f32_e32 v26, v24, v24
	v_div_scale_f32 v20, s[8:9], v26, v26, 1.0
	v_rcp_f32_e32 v27, v20
	s_nop 0
	v_fma_f32 v21, -v20, v27, 1.0
	v_fmac_f32_e32 v27, v21, v27
	v_div_scale_f32 v21, vcc, 1.0, v26, 1.0
	v_mul_f32_e32 v30, v21, v27
	v_fma_f32 v22, -v20, v30, v21
	v_fmac_f32_e32 v30, v22, v27
	v_fma_f32 v31, -v20, v30, v21
	v_add_u32_e32 v20, 0x2200, v3
	ds_read2_b64 v[20:23], v20 offset1:255
	v_div_fmas_f32 v27, v31, v27, v30
	v_div_fixup_f32 v26, v27, v26, 1.0
	v_fma_f32 v27, v24, 0, -v25
	v_fmac_f32_e32 v24, 0, v25
	s_waitcnt lgkmcnt(0)
	v_pk_mul_f32 v[30:31], v[20:21], v[12:13] op_sel:[1,1] op_sel_hi:[1,0] neg_lo:[0,1]
	v_pk_mul_f32 v[34:35], v[10:11], v[22:23] op_sel:[1,1] op_sel_hi:[1,0] neg_lo:[0,1]
	v_pk_fma_f32 v[30:31], v[12:13], v[20:21], v[30:31] op_sel_hi:[1,0,1]
	v_mov_b32_e32 v25, v27
	v_pk_add_f32 v[30:31], v[22:23], v[30:31] neg_lo:[0,1] neg_hi:[0,1]
	v_pk_fma_f32 v[22:23], v[22:23], v[10:11], v[34:35] op_sel_hi:[1,0,1]
	ds_read_b64 v[34:35], v3
	v_pk_add_f32 v[36:37], v[20:21], v[22:23] neg_lo:[0,1] neg_hi:[0,1]
	ds_read2st64_b64 v[20:23], v3 offset1:1
	v_xor_b32_e32 v32, 0x80000000, v31
	v_mov_b32_e32 v33, v30
	v_pk_mul_f32 v[46:47], v[24:25], v[26:27] op_sel_hi:[1,0]
	v_xor_b32_e32 v38, 0x80000000, v37
	s_waitcnt lgkmcnt(0)
	v_mul_f32_e64 v44, v23, -v13
	v_fmac_f32_e32 v44, v12, v22
	v_mul_f32_e32 v12, v23, v12
	v_fmac_f32_e32 v12, v13, v22
	v_pk_mul_f32 v[24:25], v[46:47], v[32:33] op_sel:[1,0]
	v_add_u32_e32 v13, 0x1a00, v3
	v_mov_b32_e32 v39, v36
	v_pk_fma_f32 v[30:31], v[30:31], v[46:47], v[24:25] op_sel_hi:[1,0,1]
	ds_read2_b64 v[24:27], v13 offset0:63 offset1:192
	v_pk_mul_f32 v[32:33], v[46:47], v[38:39] op_sel:[1,0]
	v_xor_b32_e32 v40, 0x80000000, v35
	v_mov_b32_e32 v41, v34
	v_pk_fma_f32 v[32:33], v[36:37], v[46:47], v[32:33] op_sel_hi:[1,0,1]
	s_nop 0
	v_pk_mul_f32 v[36:37], v[32:33], v[40:41] op_sel:[1,0]
	s_nop 0
	v_pk_fma_f32 v[34:35], v[34:35], v[32:33], v[36:37] op_sel_hi:[1,0,1]
	s_waitcnt lgkmcnt(0)
	v_pk_add_f32 v[26:27], v[26:27], v[34:35] neg_lo:[0,1] neg_hi:[0,1]
	ds_write2st64_b64 v3, v[26:27], v[32:33] offset0:16 offset1:17
	v_pk_mul_f32 v[26:27], v[30:31], v[42:43] op_sel:[1,0]
	s_nop 0
	v_pk_fma_f32 v[18:19], v[18:19], v[30:31], v[26:27] op_sel_hi:[1,0,1]
	s_nop 0
	v_pk_add_f32 v[18:19], v[28:29], v[18:19] neg_lo:[0,1] neg_hi:[0,1]
	ds_write2st64_b64 v7, v[30:31], v[18:19] offset0:20 offset1:21
	v_pk_add_f32 v[18:19], v[46:47], 0 neg_lo:[1,1] neg_hi:[1,1]
	v_mul_f32_e32 v28, v11, v16
	v_pk_mov_b32 v[26:27], v[46:47], v[18:19] op_sel:[1,0]
	v_pk_mov_b32 v[18:19], v[18:19], v[46:47] op_sel:[1,0]
	v_fmac_f32_e32 v28, v17, v10
	v_pk_mul_f32 v[18:19], v[22:23], v[18:19] op_sel:[1,0]
	v_pk_mul_f32 v[12:13], v[26:27], v[12:13] op_sel_hi:[1,0]
	v_pk_fma_f32 v[18:19], v[46:47], v[22:23], v[18:19] op_sel_hi:[1,0,1]
	v_mul_f32_e64 v22, v11, -v17
	v_fmac_f32_e32 v22, v16, v10
	v_pk_mul_f32 v[26:27], v[26:27], v[28:29] op_sel_hi:[1,0]
	v_xor_b32_e32 v10, 0x80000000, v47
	v_pk_fma_f32 v[22:23], v[46:47], v[22:23], v[26:27] op_sel_hi:[1,0,1] neg_lo:[1,0,0] neg_hi:[1,0,0]
	v_mov_b32_e32 v11, v46
	v_pk_mul_f32 v[26:27], v[22:23], v[20:21] op_sel:[1,1] op_sel_hi:[1,0] neg_lo:[0,1]
	v_pk_mul_f32 v[10:11], v[16:17], v[10:11] op_sel:[1,0]
	v_pk_fma_f32 v[26:27], v[20:21], v[22:23], v[26:27] op_sel_hi:[1,0,1]
	v_pk_fma_f32 v[10:11], v[46:47], v[16:17], v[10:11] op_sel_hi:[1,0,1]
	v_pk_add_f32 v[16:17], v[20:21], 0 neg_lo:[1,1] neg_hi:[1,1]
	v_pk_add_f32 v[8:9], v[8:9], v[26:27] neg_lo:[0,1] neg_hi:[0,1]
	ds_write2st64_b64 v3, v[8:9], v[22:23] offset0:8 offset1:9
	v_pk_mov_b32 v[8:9], v[20:21], v[16:17] op_sel:[1,0]
	v_pk_fma_f32 v[12:13], v[46:47], v[44:45], v[12:13] op_sel_hi:[1,0,1] neg_lo:[1,0,0] neg_hi:[1,0,0]
	v_pk_mul_f32 v[8:9], v[18:19], v[8:9] op_sel:[1,0]
	s_nop 0
	v_pk_fma_f32 v[8:9], v[20:21], v[18:19], v[8:9] op_sel_hi:[1,0,1] neg_lo:[1,0,0] neg_hi:[1,0,0]
	ds_write2st64_b64 v3, v[8:9], v[18:19] offset1:1
	v_xor_b32_e32 v8, 0x80000000, v13
	v_mov_b32_e32 v9, v12
	v_pk_mul_f32 v[8:9], v[24:25], v[8:9] op_sel:[1,0]
	s_nop 0
	v_pk_fma_f32 v[8:9], v[12:13], v[24:25], v[8:9] op_sel_hi:[1,0,1]
	s_nop 0
	v_pk_add_f32 v[8:9], v[14:15], v[8:9] neg_lo:[0,1] neg_hi:[0,1]
	ds_write2st64_b64 v7, v[12:13], v[8:9] offset0:4 offset1:5
	v_pk_add_f32 v[8:9], v[24:25], 0 neg_lo:[1,1] neg_hi:[1,1]
	s_nop 0
	v_pk_mov_b32 v[8:9], v[24:25], v[8:9] op_sel:[1,0]
	s_nop 0
	v_pk_mul_f32 v[8:9], v[10:11], v[8:9] op_sel:[1,0]
	s_nop 0
	v_pk_fma_f32 v[8:9], v[24:25], v[10:11], v[8:9] op_sel_hi:[1,0,1] neg_lo:[1,0,0] neg_hi:[1,0,0]
	ds_write2st64_b64 v7, v[10:11], v[8:9] offset0:12 offset1:13
.LBB213_26:
	s_or_b64 exec, exec, s[6:7]
	s_mov_b32 s11, 0
	v_cmp_eq_u32_e64 s[6:7], 0, v0
	s_waitcnt lgkmcnt(0)
	s_barrier
	s_and_saveexec_b64 s[8:9], s[6:7]
	s_cbranch_execz .LBB213_28
; %bb.27:
	v_mov_b32_e32 v3, 0
	s_movk_i32 s10, 0x1f8
	ds_read2st64_b64 v[8:11], v3 offset0:8 offset1:10
	v_add_u32_e64 v7, s10, 0
	ds_read2st64_b64 v[12:15], v7 offset0:5 offset1:7
	s_mov_b32 s10, 1.0
	s_waitcnt lgkmcnt(1)
	v_xor_b32_e32 v16, 0x80000000, v11
	v_mov_b32_e32 v17, v10
	s_waitcnt lgkmcnt(0)
	v_pk_mul_f32 v[16:17], v[12:13], v[16:17] op_sel:[1,0]
	s_nop 0
	v_pk_fma_f32 v[16:17], v[10:11], v[12:13], v[16:17] op_sel_hi:[1,0,1]
	s_nop 0
	v_pk_add_f32 v[26:27], v[16:17], s[10:11] neg_lo:[1,0] neg_hi:[1,0]
	s_nop 0
	v_mul_f32_e32 v0, v27, v27
	v_fmac_f32_e32 v0, v26, v26
	v_div_scale_f32 v16, s[10:11], v0, v0, 1.0
	v_rcp_f32_e32 v20, v16
	s_movk_i32 s10, 0x2400
	v_add_u32_e64 v39, s10, 0
	v_fma_f32 v40, v26, 0, -v27
	v_fma_f32 v17, -v16, v20, 1.0
	v_fmac_f32_e32 v20, v17, v20
	v_div_scale_f32 v17, vcc, 1.0, v0, 1.0
	v_mul_f32_e32 v21, v17, v20
	v_fma_f32 v18, -v16, v21, v17
	v_fmac_f32_e32 v21, v18, v20
	v_fma_f32 v22, -v16, v21, v17
	ds_read2_b64 v[16:19], v39 offset1:255
	v_div_fmas_f32 v20, v22, v20, v21
	v_div_fixup_f32 v0, v20, v0, 1.0
	v_fmac_f32_e32 v26, 0, v27
	v_mov_b32_e32 v27, v40
	s_waitcnt lgkmcnt(0)
	v_pk_mul_f32 v[20:21], v[16:17], v[12:13] op_sel:[1,1] op_sel_hi:[1,0] neg_lo:[0,1]
	v_pk_mul_f32 v[40:41], v[26:27], v[0:1] op_sel_hi:[1,0]
	v_pk_fma_f32 v[20:21], v[12:13], v[16:17], v[20:21] op_sel_hi:[1,0,1]
	s_movk_i32 s10, 0x1400
	v_pk_add_f32 v[28:29], v[18:19], v[20:21] neg_lo:[0,1] neg_hi:[0,1]
	v_pk_mul_f32 v[20:21], v[10:11], v[18:19] op_sel:[1,1] op_sel_hi:[1,0] neg_lo:[0,1]
	v_xor_b32_e32 v30, 0x80000000, v29
	v_pk_fma_f32 v[22:23], v[18:19], v[10:11], v[20:21] op_sel_hi:[1,0,1]
	ds_read2st64_b64 v[18:21], v3 offset1:2
	v_mov_b32_e32 v31, v28
	v_pk_add_f32 v[16:17], v[16:17], v[22:23] neg_lo:[0,1] neg_hi:[0,1]
	v_pk_mul_f32 v[26:27], v[40:41], v[30:31] op_sel:[1,0]
	v_xor_b32_e32 v32, 0x80000000, v17
	v_mov_b32_e32 v33, v16
	ds_read2st64_b64 v[22:25], v7 offset0:13 offset1:15
	v_pk_fma_f32 v[30:31], v[28:29], v[40:41], v[26:27] op_sel_hi:[1,0,1]
	v_pk_mul_f32 v[26:27], v[40:41], v[32:33] op_sel:[1,0]
	v_mov_b32_e32 v7, 0x1ff8
	v_pk_fma_f32 v[16:17], v[16:17], v[40:41], v[26:27] op_sel_hi:[1,0,1]
	ds_read2_b64 v[26:29], v7 offset1:1
	s_waitcnt lgkmcnt(2)
	v_xor_b32_e32 v34, 0x80000000, v19
	v_mov_b32_e32 v35, v18
	v_pk_mul_f32 v[32:33], v[16:17], v[34:35] op_sel:[1,0]
	ds_read_b64 v[34:35], v3 offset:12280
	s_waitcnt lgkmcnt(2)
	v_xor_b32_e32 v36, 0x80000000, v25
	v_mov_b32_e32 v37, v24
	ds_write2_b64 v39, v[16:17], v[30:31] offset1:255
	v_pk_fma_f32 v[16:17], v[18:19], v[16:17], v[32:33] op_sel_hi:[1,0,1]
	v_mul_f32_e64 v38, v21, -v13
	s_waitcnt lgkmcnt(2)
	v_pk_add_f32 v[16:17], v[28:29], v[16:17] neg_lo:[0,1] neg_hi:[0,1]
	v_pk_mul_f32 v[28:29], v[30:31], v[36:37] op_sel:[1,0]
	v_fmac_f32_e32 v38, v12, v20
	v_pk_fma_f32 v[24:25], v[24:25], v[30:31], v[28:29] op_sel_hi:[1,0,1]
	v_mul_f32_e32 v12, v21, v12
	s_waitcnt lgkmcnt(1)
	v_pk_add_f32 v[24:25], v[34:35], v[24:25] neg_lo:[0,1] neg_hi:[0,1]
	ds_write_b64 v3, v[24:25] offset:12280
	v_xor_b32_e32 v24, 0x80000000, v41
	v_mov_b32_e32 v25, v40
	v_pk_mul_f32 v[30:31], v[20:21], v[24:25] op_sel:[1,0]
	v_fmac_f32_e32 v12, v13, v20
	v_pk_fma_f32 v[20:21], v[40:41], v[20:21], v[30:31] op_sel_hi:[1,0,1]
	v_mul_f32_e32 v30, v11, v22
	v_xor_b32_e32 v29, 0x80000000, v40
	v_mov_b32_e32 v28, v41
	v_mul_f32_e64 v0, v11, -v23
	v_fmac_f32_e32 v30, v23, v10
	v_fmac_f32_e32 v0, v22, v10
	v_pk_mul_f32 v[10:11], v[28:29], v[30:31] op_sel_hi:[1,0]
	v_pk_mul_f32 v[24:25], v[22:23], v[24:25] op_sel:[1,0]
	v_pk_fma_f32 v[10:11], v[40:41], v[0:1], v[10:11] op_sel_hi:[1,0,1] neg_lo:[1,0,0] neg_hi:[1,0,0]
	v_pk_mul_f32 v[12:13], v[28:29], v[12:13] op_sel_hi:[1,0]
	v_pk_fma_f32 v[22:23], v[40:41], v[22:23], v[24:25] op_sel_hi:[1,0,1]
	v_add_u32_e64 v0, s10, 0
	v_pk_mul_f32 v[28:29], v[10:11], v[18:19] op_sel:[1,1] op_sel_hi:[1,0] neg_lo:[0,1]
	ds_write2_b64 v0, v[10:11], v[22:23] offset1:255
	v_xor_b32_e32 v25, 0x80000000, v18
	v_pk_fma_f32 v[10:11], v[18:19], v[10:11], v[28:29] op_sel_hi:[1,0,1]
	v_mov_b32_e32 v24, v19
	v_pk_add_f32 v[8:9], v[8:9], v[10:11] neg_lo:[0,1] neg_hi:[0,1]
	v_pk_mul_f32 v[10:11], v[20:21], v[24:25] op_sel:[1,0]
	v_pk_fma_f32 v[12:13], v[40:41], v[38:39], v[12:13] op_sel_hi:[1,0,1] neg_lo:[1,0,0] neg_hi:[1,0,0]
	v_pk_fma_f32 v[10:11], v[18:19], v[20:21], v[10:11] op_sel_hi:[1,0,1] neg_lo:[1,0,0] neg_hi:[1,0,0]
	ds_write2st64_b64 v3, v[10:11], v[20:21] offset1:2
	v_xor_b32_e32 v10, 0x80000000, v13
	v_mov_b32_e32 v11, v12
	v_pk_mul_f32 v[10:11], v[26:27], v[10:11] op_sel:[1,0]
	v_mov_b32_e32 v0, 0xff8
	v_pk_fma_f32 v[10:11], v[12:13], v[26:27], v[10:11] op_sel_hi:[1,0,1]
	ds_write_b64 v3, v[12:13] offset:3064
	v_pk_add_f32 v[10:11], v[14:15], v[10:11] neg_lo:[0,1] neg_hi:[0,1]
	ds_write2_b64 v0, v[10:11], v[8:9] offset1:1
	v_xor_b32_e32 v9, 0x80000000, v26
	v_mov_b32_e32 v8, v27
	v_pk_mul_f32 v[8:9], v[22:23], v[8:9] op_sel:[1,0]
	s_nop 0
	v_pk_fma_f32 v[8:9], v[26:27], v[22:23], v[8:9] op_sel_hi:[1,0,1] neg_lo:[1,0,0] neg_hi:[1,0,0]
	ds_write2_b64 v7, v[8:9], v[16:17] offset1:1
.LBB213_28:
	s_or_b64 exec, exec, s[8:9]
	s_load_dwordx2 s[14:15], s[0:1], 0x48
	s_load_dwordx4 s[8:11], s[0:1], 0x38
	s_waitcnt lgkmcnt(0)
	s_barrier
	s_and_saveexec_b64 s[16:17], s[4:5]
	s_cbranch_execnz .LBB213_31
; %bb.29:
	s_or_b64 exec, exec, s[16:17]
	s_and_saveexec_b64 s[4:5], s[6:7]
	s_cbranch_execnz .LBB213_35
.LBB213_30:
	s_endpgm
.LBB213_31:
	s_cmp_eq_u32 s3, 0
	s_cbranch_scc1 .LBB213_39
; %bb.32:
	s_mul_i32 s18, s18, 7
	s_cbranch_execnz .LBB213_34
.LBB213_33:
	s_load_dwordx4 s[20:23], s[0:1], 0x28
	ds_read2st64_b64 v[6:9], v6 offset1:4
	v_ashrrev_i32_e32 v3, 31, v2
	v_lshlrev_b64 v[12:13], 3, v[2:3]
	v_add_u32_e32 v10, s19, v2
	s_waitcnt lgkmcnt(0)
	v_lshl_add_u64 v[2:3], s[20:21], 0, v[12:13]
	global_store_dwordx2 v[2:3], v[6:7], off
	ds_read2st64_b64 v[0:3], v1 offset1:4
	v_mov_b32_e32 v11, 0
	v_lshlrev_b64 v[6:7], 3, v[10:11]
	v_lshl_add_u64 v[10:11], s[20:21], 0, v[6:7]
	global_store_dwordx2 v[10:11], v[8:9], off
	v_lshl_add_u64 v[8:9], s[22:23], 0, v[12:13]
	s_waitcnt lgkmcnt(0)
	global_store_dwordx2 v[8:9], v[0:1], off
	v_lshl_add_u64 v[0:1], s[22:23], 0, v[6:7]
	s_mov_b32 s18, s19
	global_store_dwordx2 v[0:1], v[2:3], off
.LBB213_34:
	ds_read2st64_b64 v[0:3], v5 offset1:4
	v_ashrrev_i32_e32 v5, 31, v4
	v_add_u32_e32 v6, s18, v4
	v_mov_b32_e32 v7, 0
	v_lshl_add_u64 v[4:5], v[4:5], 3, s[12:13]
	s_waitcnt lgkmcnt(0)
	global_store_dwordx2 v[4:5], v[0:1], off
	v_lshl_add_u64 v[0:1], v[6:7], 3, s[12:13]
	global_store_dwordx2 v[0:1], v[2:3], off
	s_or_b64 exec, exec, s[16:17]
	s_and_saveexec_b64 s[4:5], s[6:7]
	s_cbranch_execz .LBB213_30
.LBB213_35:
	s_cmp_eq_u32 s3, 0
	s_cbranch_scc1 .LBB213_40
; %bb.36:
	s_load_dword s6, s[0:1], 0x50
	s_cbranch_execnz .LBB213_38
.LBB213_37:
	s_waitcnt lgkmcnt(0)
	s_load_dword s6, s[0:1], 0x50
	v_mov_b32_e32 v0, 0xff8
	s_mov_b32 s4, s3
	s_ashr_i32 s3, s2, 31
	ds_read2_b64 v[6:9], v0 offset1:1
	s_lshl_b64 s[12:13], s[2:3], 3
	v_mov_b32_e32 v4, 0
	s_mov_b32 s3, s4
	s_add_u32 s4, s10, s12
	ds_read_b64 v[2:3], v4 offset:8184
	s_addc_u32 s5, s11, s13
	s_waitcnt lgkmcnt(0)
	s_add_i32 s0, s6, s2
	s_mov_b32 s1, 0
	s_lshl_b64 s[0:1], s[0:1], 3
	global_store_dwordx2 v4, v[8:9], s[4:5]
	s_add_u32 s4, s10, s0
	ds_read_b64 v[0:1], v4
	s_addc_u32 s5, s11, s1
	global_store_dwordx2 v4, v[2:3], s[4:5]
	s_add_u32 s4, s14, s12
	s_addc_u32 s5, s15, s13
	s_add_u32 s0, s14, s0
	s_addc_u32 s1, s15, s1
	s_waitcnt lgkmcnt(0)
	global_store_dwordx2 v4, v[0:1], s[4:5]
	global_store_dwordx2 v4, v[6:7], s[0:1]
.LBB213_38:
	s_waitcnt lgkmcnt(0)
	s_mul_i32 s0, s6, s3
	s_lshl_b32 s0, s0, 1
	s_add_i32 s0, s0, s2
	s_mov_b32 s1, 0
	v_mov_b32_e32 v4, 0
	s_lshl_b64 s[2:3], s[0:1], 3
	ds_read_b64 v[0:1], v4 offset:8192
	ds_read_b64 v[2:3], v4 offset:12280
	s_add_u32 s2, s8, s2
	s_addc_u32 s3, s9, s3
	s_add_i32 s0, s0, s6
	s_lshl_b64 s[0:1], s[0:1], 3
	s_add_u32 s0, s8, s0
	s_addc_u32 s1, s9, s1
	s_waitcnt lgkmcnt(1)
	global_store_dwordx2 v4, v[0:1], s[2:3]
	s_waitcnt lgkmcnt(0)
	global_store_dwordx2 v4, v[2:3], s[0:1]
	s_endpgm
.LBB213_39:
                                        ; implicit-def: $sgpr18
	s_branch .LBB213_33
.LBB213_40:
                                        ; implicit-def: $sgpr6
	s_branch .LBB213_37
	.section	.rodata,"a",@progbits
	.p2align	6, 0x0
	.amdhsa_kernel _ZN9rocsparseL29gtsv_spike_block_level_kernelILj256ELj8E21rocsparse_complex_numIfEEEviiiPT1_PKS3_S6_S4_S4_S4_S4_S4_
		.amdhsa_group_segment_fixed_size 12288
		.amdhsa_private_segment_fixed_size 0
		.amdhsa_kernarg_size 336
		.amdhsa_user_sgpr_count 2
		.amdhsa_user_sgpr_dispatch_ptr 0
		.amdhsa_user_sgpr_queue_ptr 0
		.amdhsa_user_sgpr_kernarg_segment_ptr 1
		.amdhsa_user_sgpr_dispatch_id 0
		.amdhsa_user_sgpr_kernarg_preload_length 0
		.amdhsa_user_sgpr_kernarg_preload_offset 0
		.amdhsa_user_sgpr_private_segment_size 0
		.amdhsa_uses_dynamic_stack 0
		.amdhsa_enable_private_segment 0
		.amdhsa_system_sgpr_workgroup_id_x 1
		.amdhsa_system_sgpr_workgroup_id_y 1
		.amdhsa_system_sgpr_workgroup_id_z 0
		.amdhsa_system_sgpr_workgroup_info 0
		.amdhsa_system_vgpr_workitem_id 0
		.amdhsa_next_free_vgpr 50
		.amdhsa_next_free_sgpr 24
		.amdhsa_accum_offset 52
		.amdhsa_reserve_vcc 1
		.amdhsa_float_round_mode_32 0
		.amdhsa_float_round_mode_16_64 0
		.amdhsa_float_denorm_mode_32 3
		.amdhsa_float_denorm_mode_16_64 3
		.amdhsa_dx10_clamp 1
		.amdhsa_ieee_mode 1
		.amdhsa_fp16_overflow 0
		.amdhsa_tg_split 0
		.amdhsa_exception_fp_ieee_invalid_op 0
		.amdhsa_exception_fp_denorm_src 0
		.amdhsa_exception_fp_ieee_div_zero 0
		.amdhsa_exception_fp_ieee_overflow 0
		.amdhsa_exception_fp_ieee_underflow 0
		.amdhsa_exception_fp_ieee_inexact 0
		.amdhsa_exception_int_div_zero 0
	.end_amdhsa_kernel
	.section	.text._ZN9rocsparseL29gtsv_spike_block_level_kernelILj256ELj8E21rocsparse_complex_numIfEEEviiiPT1_PKS3_S6_S4_S4_S4_S4_S4_,"axG",@progbits,_ZN9rocsparseL29gtsv_spike_block_level_kernelILj256ELj8E21rocsparse_complex_numIfEEEviiiPT1_PKS3_S6_S4_S4_S4_S4_S4_,comdat
.Lfunc_end213:
	.size	_ZN9rocsparseL29gtsv_spike_block_level_kernelILj256ELj8E21rocsparse_complex_numIfEEEviiiPT1_PKS3_S6_S4_S4_S4_S4_S4_, .Lfunc_end213-_ZN9rocsparseL29gtsv_spike_block_level_kernelILj256ELj8E21rocsparse_complex_numIfEEEviiiPT1_PKS3_S6_S4_S4_S4_S4_S4_
                                        ; -- End function
	.set _ZN9rocsparseL29gtsv_spike_block_level_kernelILj256ELj8E21rocsparse_complex_numIfEEEviiiPT1_PKS3_S6_S4_S4_S4_S4_S4_.num_vgpr, 50
	.set _ZN9rocsparseL29gtsv_spike_block_level_kernelILj256ELj8E21rocsparse_complex_numIfEEEviiiPT1_PKS3_S6_S4_S4_S4_S4_S4_.num_agpr, 0
	.set _ZN9rocsparseL29gtsv_spike_block_level_kernelILj256ELj8E21rocsparse_complex_numIfEEEviiiPT1_PKS3_S6_S4_S4_S4_S4_S4_.numbered_sgpr, 24
	.set _ZN9rocsparseL29gtsv_spike_block_level_kernelILj256ELj8E21rocsparse_complex_numIfEEEviiiPT1_PKS3_S6_S4_S4_S4_S4_S4_.num_named_barrier, 0
	.set _ZN9rocsparseL29gtsv_spike_block_level_kernelILj256ELj8E21rocsparse_complex_numIfEEEviiiPT1_PKS3_S6_S4_S4_S4_S4_S4_.private_seg_size, 0
	.set _ZN9rocsparseL29gtsv_spike_block_level_kernelILj256ELj8E21rocsparse_complex_numIfEEEviiiPT1_PKS3_S6_S4_S4_S4_S4_S4_.uses_vcc, 1
	.set _ZN9rocsparseL29gtsv_spike_block_level_kernelILj256ELj8E21rocsparse_complex_numIfEEEviiiPT1_PKS3_S6_S4_S4_S4_S4_S4_.uses_flat_scratch, 0
	.set _ZN9rocsparseL29gtsv_spike_block_level_kernelILj256ELj8E21rocsparse_complex_numIfEEEviiiPT1_PKS3_S6_S4_S4_S4_S4_S4_.has_dyn_sized_stack, 0
	.set _ZN9rocsparseL29gtsv_spike_block_level_kernelILj256ELj8E21rocsparse_complex_numIfEEEviiiPT1_PKS3_S6_S4_S4_S4_S4_S4_.has_recursion, 0
	.set _ZN9rocsparseL29gtsv_spike_block_level_kernelILj256ELj8E21rocsparse_complex_numIfEEEviiiPT1_PKS3_S6_S4_S4_S4_S4_S4_.has_indirect_call, 0
	.section	.AMDGPU.csdata,"",@progbits
; Kernel info:
; codeLenInByte = 7624
; TotalNumSgprs: 30
; NumVgprs: 50
; NumAgprs: 0
; TotalNumVgprs: 50
; ScratchSize: 0
; MemoryBound: 0
; FloatMode: 240
; IeeeMode: 1
; LDSByteSize: 12288 bytes/workgroup (compile time only)
; SGPRBlocks: 3
; VGPRBlocks: 6
; NumSGPRsForWavesPerEU: 30
; NumVGPRsForWavesPerEU: 50
; AccumOffset: 52
; Occupancy: 8
; WaveLimiterHint : 0
; COMPUTE_PGM_RSRC2:SCRATCH_EN: 0
; COMPUTE_PGM_RSRC2:USER_SGPR: 2
; COMPUTE_PGM_RSRC2:TRAP_HANDLER: 0
; COMPUTE_PGM_RSRC2:TGID_X_EN: 1
; COMPUTE_PGM_RSRC2:TGID_Y_EN: 1
; COMPUTE_PGM_RSRC2:TGID_Z_EN: 0
; COMPUTE_PGM_RSRC2:TIDIG_COMP_CNT: 0
; COMPUTE_PGM_RSRC3_GFX90A:ACCUM_OFFSET: 12
; COMPUTE_PGM_RSRC3_GFX90A:TG_SPLIT: 0
	.section	.text._ZN9rocsparseL33gtsv_solve_spike_propagate_kernelILj256ELj8E21rocsparse_complex_numIfEEEviiiPT1_PKS3_S6_S6_,"axG",@progbits,_ZN9rocsparseL33gtsv_solve_spike_propagate_kernelILj256ELj8E21rocsparse_complex_numIfEEEviiiPT1_PKS3_S6_S6_,comdat
	.globl	_ZN9rocsparseL33gtsv_solve_spike_propagate_kernelILj256ELj8E21rocsparse_complex_numIfEEEviiiPT1_PKS3_S6_S6_ ; -- Begin function _ZN9rocsparseL33gtsv_solve_spike_propagate_kernelILj256ELj8E21rocsparse_complex_numIfEEEviiiPT1_PKS3_S6_S6_
	.p2align	8
	.type	_ZN9rocsparseL33gtsv_solve_spike_propagate_kernelILj256ELj8E21rocsparse_complex_numIfEEEviiiPT1_PKS3_S6_S6_,@function
_ZN9rocsparseL33gtsv_solve_spike_propagate_kernelILj256ELj8E21rocsparse_complex_numIfEEEviiiPT1_PKS3_S6_S6_: ; @_ZN9rocsparseL33gtsv_solve_spike_propagate_kernelILj256ELj8E21rocsparse_complex_numIfEEEviiiPT1_PKS3_S6_S6_
; %bb.0:
	s_load_dword s8, s[0:1], 0x0
	v_lshl_or_b32 v2, s2, 8, v0
	v_lshlrev_b32_e32 v1, 3, v0
	s_waitcnt lgkmcnt(0)
	s_lshr_b32 s14, s8, 3
	v_cmp_gt_i32_e32 vcc, s14, v2
	v_cmp_le_i32_e64 s[4:5], s14, v2
	s_and_saveexec_b64 s[6:7], s[4:5]
	s_xor_b64 s[6:7], exec, s[6:7]
; %bb.1:
	v_mov_b32_e32 v4, 0
	v_mov_b32_e32 v5, v4
	ds_write_b64 v1, v[4:5] offset:8208
; %bb.2:
	s_or_saveexec_b64 s[6:7], s[6:7]
	v_mov_b32_e32 v4, 0
	v_ashrrev_i32_e32 v3, 31, v2
	v_mov_b32_e32 v5, 0
	s_xor_b64 exec, exec, s[6:7]
	s_cbranch_execz .LBB214_4
; %bb.3:
	s_load_dwordx2 s[10:11], s[0:1], 0x18
	v_mad_u64_u32 v[4:5], s[12:13], s14, 7, v[2:3]
	v_mov_b32_e32 v5, 0
	s_waitcnt lgkmcnt(0)
	v_lshl_add_u64 v[6:7], v[2:3], 3, s[10:11]
	v_lshl_add_u64 v[8:9], v[4:5], 3, s[10:11]
	global_load_dwordx2 v[10:11], v[6:7], off
	global_load_dwordx2 v[4:5], v[8:9], off
	s_waitcnt vmcnt(1)
	ds_write_b64 v1, v[10:11] offset:8208
.LBB214_4:
	s_or_b64 exec, exec, s[6:7]
	s_load_dwordx2 s[6:7], s[0:1], 0x10
	s_waitcnt vmcnt(0)
	ds_write_b64 v1, v[4:5] offset:10256
	s_and_saveexec_b64 s[10:11], s[4:5]
	s_xor_b64 s[4:5], exec, s[10:11]
; %bb.5:
	s_mov_b32 s10, 0
	s_mov_b32 s11, s10
	v_mov_b64_e32 v[4:5], s[10:11]
	v_add_u32_e32 v3, 16, v1
	ds_write2st64_b64 v3, v[4:5], v[4:5] offset0:8 offset1:12
; %bb.6:
	s_or_saveexec_b64 s[4:5], s[4:5]
	v_mov_b32_e32 v4, 0
	s_mul_i32 s8, s8, s3
	v_mov_b32_e32 v6, 0
	v_mov_b32_e32 v7, 0
	s_xor_b64 exec, exec, s[4:5]
	s_cbranch_execz .LBB214_8
; %bb.7:
	s_load_dwordx2 s[10:11], s[0:1], 0x20
	v_mad_u64_u32 v[6:7], s[12:13], s14, 7, v[2:3]
	v_mov_b32_e32 v7, 0
	s_waitcnt lgkmcnt(0)
	v_lshl_add_u64 v[10:11], v[6:7], 3, s[10:11]
	v_add_u32_e32 v6, s8, v6
	v_lshl_add_u64 v[8:9], v[2:3], 3, s[10:11]
	v_lshl_add_u64 v[6:7], v[6:7], 3, s[6:7]
	global_load_dwordx2 v[12:13], v[8:9], off
	global_load_dwordx2 v[14:15], v[10:11], off
	v_add_u32_e32 v3, 16, v1
	global_load_dwordx2 v[6:7], v[6:7], off
	s_waitcnt vmcnt(1)
	ds_write2st64_b64 v3, v[12:13], v[14:15] offset0:8 offset1:12
.LBB214_8:
	s_or_b64 exec, exec, s[4:5]
	v_add_u32_e32 v2, s8, v2
	v_mov_b32_e32 v5, 0
	s_waitcnt vmcnt(0)
	ds_write_b64 v1, v[6:7] offset:8
	s_and_saveexec_b64 s[4:5], vcc
	s_cbranch_execz .LBB214_10
; %bb.9:
	v_ashrrev_i32_e32 v3, 31, v2
	s_waitcnt lgkmcnt(0)
	v_lshl_add_u64 v[4:5], v[2:3], 3, s[6:7]
	global_load_dwordx2 v[4:5], v[4:5], off
.LBB214_10:
	s_or_b64 exec, exec, s[4:5]
	s_mov_b32 s12, 0
	v_cmp_eq_u32_e64 s[4:5], 0, v0
	s_waitcnt vmcnt(0)
	ds_write_b64 v1, v[4:5] offset:2056
	s_waitcnt lgkmcnt(0)
	s_barrier
	s_and_saveexec_b64 s[8:9], s[4:5]
	s_cbranch_execz .LBB214_16
; %bb.11:
	s_load_dword s15, s[0:1], 0x30
	s_load_dwordx2 s[10:11], s[0:1], 0x28
	s_cmp_lt_i32 s2, 1
	s_mov_b32 s13, 0
	s_waitcnt lgkmcnt(0)
	s_mul_i32 s3, s3, s15
	s_cbranch_scc1 .LBB214_13
; %bb.12:
	s_lshl_b32 s0, s3, 1
	s_add_i32 s1, s2, s15
	s_add_i32 s0, s1, s0
	s_add_i32 s0, s0, -1
	s_mov_b32 s1, 0
	s_lshl_b64 s[0:1], s[0:1], 3
	s_add_u32 s0, s10, s0
	s_addc_u32 s1, s11, s1
	s_load_dwordx2 s[12:13], s[0:1], 0x0
.LBB214_13:
	s_add_i32 s0, s15, -1
	s_waitcnt lgkmcnt(0)
	v_mov_b32_e32 v4, s12
	v_mov_b32_e32 v5, s13
	;; [unrolled: 1-line block ×3, first 2 shown]
	s_mov_b32 s1, 0
	s_cmp_ge_u32 s2, s0
	s_mov_b32 s12, 0
	s_mov_b32 s13, 0
	ds_write_b64 v3, v[4:5]
	s_cbranch_scc1 .LBB214_15
; %bb.14:
	s_lshl_b32 s0, s3, 1
	s_add_i32 s0, s2, s0
	s_add_i32 s12, s0, 1
	s_lshl_b64 s[12:13], s[12:13], 3
	s_add_u32 s16, s10, s12
	s_addc_u32 s17, s11, s13
	s_load_dwordx2 s[12:13], s[16:17], 0x0
.LBB214_15:
	s_lshl_b32 s0, s3, 1
	s_add_i32 s0, s0, s2
	s_lshl_b64 s[2:3], s[0:1], 3
	s_add_u32 s2, s10, s2
	s_addc_u32 s3, s11, s3
	s_add_i32 s0, s0, s15
	s_lshl_b64 s[0:1], s[0:1], 3
	s_add_u32 s0, s10, s0
	s_addc_u32 s1, s11, s1
	s_load_dwordx2 s[10:11], s[0:1], 0x0
	s_load_dwordx2 s[16:17], s[2:3], 0x0
	s_waitcnt lgkmcnt(0)
	v_mov_b32_e32 v4, s12
	v_mov_b32_e32 v5, s13
	ds_write_b64 v3, v[4:5] offset:4104
	v_mov_b32_e32 v4, s10
	v_mov_b32_e32 v5, s11
	;; [unrolled: 1-line block ×4, first 2 shown]
	ds_write_b128 v3, v[4:7] offset:2048
.LBB214_16:
	s_or_b64 exec, exec, s[8:9]
	s_waitcnt lgkmcnt(0)
	s_barrier
	s_and_saveexec_b64 s[0:1], s[4:5]
	s_cbranch_execz .LBB214_18
; %bb.17:
	s_movk_i32 s2, 0x1410
	v_add_u32_e64 v3, s2, 0
	ds_read2_b64 v[4:7], v3 offset1:255
	v_add_u32_e64 v8, 8, 0
	s_movk_i32 s2, 0x2410
	v_mov_b32_e32 v3, 0
	ds_read2st64_b64 v[8:11], v8 offset0:6 offset1:8
	ds_read2st64_b64 v[12:15], v3 offset1:2
	v_add_u32_e64 v16, s2, 0
	ds_read2_b64 v[16:19], v16 offset1:255
	s_waitcnt lgkmcnt(3)
	v_xor_b32_e32 v20, 0x80000000, v7
	v_mov_b32_e32 v21, v6
	s_waitcnt lgkmcnt(2)
	v_pk_mul_f32 v[20:21], v[10:11], v[20:21] op_sel:[1,0]
	s_nop 0
	v_pk_fma_f32 v[6:7], v[6:7], v[10:11], v[20:21] op_sel_hi:[1,0,1]
	s_waitcnt lgkmcnt(1)
	v_pk_add_f32 v[6:7], v[14:15], v[6:7] neg_lo:[0,1] neg_hi:[0,1]
	s_waitcnt lgkmcnt(0)
	v_xor_b32_e32 v14, 0x80000000, v19
	v_mov_b32_e32 v15, v18
	v_pk_mul_f32 v[14:15], v[12:13], v[14:15] op_sel:[1,0]
	s_nop 0
	v_pk_fma_f32 v[14:15], v[18:19], v[12:13], v[14:15] op_sel_hi:[1,0,1]
	s_nop 0
	v_pk_add_f32 v[6:7], v[6:7], v[14:15] neg_lo:[0,1] neg_hi:[0,1]
	ds_write_b64 v3, v[6:7] offset:1024
	v_xor_b32_e32 v6, 0x80000000, v5
	v_mov_b32_e32 v7, v4
	v_pk_mul_f32 v[6:7], v[10:11], v[6:7] op_sel:[1,0]
	s_nop 0
	v_pk_fma_f32 v[4:5], v[4:5], v[10:11], v[6:7] op_sel_hi:[1,0,1]
	v_xor_b32_e32 v6, 0x80000000, v17
	v_mov_b32_e32 v7, v16
	v_pk_mul_f32 v[6:7], v[12:13], v[6:7] op_sel:[1,0]
	v_pk_add_f32 v[4:5], v[8:9], v[4:5] neg_lo:[0,1] neg_hi:[0,1]
	v_pk_fma_f32 v[6:7], v[16:17], v[12:13], v[6:7] op_sel_hi:[1,0,1]
	s_nop 0
	v_pk_add_f32 v[4:5], v[4:5], v[6:7] neg_lo:[0,1] neg_hi:[0,1]
	ds_write_b64 v3, v[4:5] offset:3080
.LBB214_18:
	s_or_b64 exec, exec, s[0:1]
	v_cmp_gt_u32_e64 s[0:1], 2, v0
	s_waitcnt lgkmcnt(0)
	s_barrier
	s_and_saveexec_b64 s[2:3], s[0:1]
	s_cbranch_execz .LBB214_20
; %bb.19:
	v_lshlrev_b32_e32 v3, 10, v0
	v_add_u32_e32 v4, 0x1210, v3
	ds_read2_b64 v[4:7], v4 offset1:255
	v_add_u32_e32 v12, 8, v3
	ds_read2st64_b64 v[8:11], v3 offset1:1
	ds_read2st64_b64 v[12:15], v12 offset0:5 offset1:6
	v_add_u32_e32 v16, 0x2210, v3
	ds_read2_b64 v[16:19], v16 offset1:255
	s_waitcnt lgkmcnt(3)
	v_xor_b32_e32 v20, 0x80000000, v7
	v_mov_b32_e32 v21, v6
	s_waitcnt lgkmcnt(1)
	v_pk_mul_f32 v[20:21], v[14:15], v[20:21] op_sel:[1,0]
	s_nop 0
	v_pk_fma_f32 v[6:7], v[6:7], v[14:15], v[20:21] op_sel_hi:[1,0,1]
	s_nop 0
	v_pk_add_f32 v[6:7], v[10:11], v[6:7] neg_lo:[0,1] neg_hi:[0,1]
	s_waitcnt lgkmcnt(0)
	v_xor_b32_e32 v10, 0x80000000, v19
	v_mov_b32_e32 v11, v18
	v_pk_mul_f32 v[10:11], v[8:9], v[10:11] op_sel:[1,0]
	s_nop 0
	v_pk_fma_f32 v[10:11], v[18:19], v[8:9], v[10:11] op_sel_hi:[1,0,1]
	s_nop 0
	v_pk_add_f32 v[6:7], v[6:7], v[10:11] neg_lo:[0,1] neg_hi:[0,1]
	ds_write_b64 v3, v[6:7] offset:512
	v_xor_b32_e32 v6, 0x80000000, v5
	v_mov_b32_e32 v7, v4
	v_pk_mul_f32 v[6:7], v[14:15], v[6:7] op_sel:[1,0]
	s_nop 0
	v_pk_fma_f32 v[4:5], v[4:5], v[14:15], v[6:7] op_sel_hi:[1,0,1]
	v_xor_b32_e32 v6, 0x80000000, v17
	v_mov_b32_e32 v7, v16
	v_pk_mul_f32 v[6:7], v[8:9], v[6:7] op_sel:[1,0]
	v_pk_add_f32 v[4:5], v[12:13], v[4:5] neg_lo:[0,1] neg_hi:[0,1]
	v_pk_fma_f32 v[6:7], v[16:17], v[8:9], v[6:7] op_sel_hi:[1,0,1]
	s_nop 0
	v_pk_add_f32 v[4:5], v[4:5], v[6:7] neg_lo:[0,1] neg_hi:[0,1]
	ds_write_b64 v3, v[4:5] offset:2568
.LBB214_20:
	s_or_b64 exec, exec, s[2:3]
	v_cmp_gt_u32_e64 s[0:1], 4, v0
	s_waitcnt lgkmcnt(0)
	s_barrier
	s_and_saveexec_b64 s[2:3], s[0:1]
	s_cbranch_execz .LBB214_22
; %bb.21:
	v_lshlrev_b32_e32 v3, 9, v0
	v_add_u32_e32 v4, 0x1110, v3
	ds_read2_b64 v[4:7], v4 offset1:255
	v_add_u32_e32 v12, 0x800, v3
	ds_read2_b64 v[8:11], v3 offset1:32
	ds_read2_b64 v[12:15], v12 offset0:33 offset1:65
	v_add_u32_e32 v16, 0x2110, v3
	ds_read2_b64 v[16:19], v16 offset1:255
	s_waitcnt lgkmcnt(3)
	v_xor_b32_e32 v20, 0x80000000, v7
	v_mov_b32_e32 v21, v6
	s_waitcnt lgkmcnt(1)
	v_pk_mul_f32 v[20:21], v[14:15], v[20:21] op_sel:[1,0]
	s_nop 0
	v_pk_fma_f32 v[6:7], v[6:7], v[14:15], v[20:21] op_sel_hi:[1,0,1]
	s_nop 0
	v_pk_add_f32 v[6:7], v[10:11], v[6:7] neg_lo:[0,1] neg_hi:[0,1]
	s_waitcnt lgkmcnt(0)
	v_xor_b32_e32 v10, 0x80000000, v19
	v_mov_b32_e32 v11, v18
	v_pk_mul_f32 v[10:11], v[8:9], v[10:11] op_sel:[1,0]
	s_nop 0
	v_pk_fma_f32 v[10:11], v[18:19], v[8:9], v[10:11] op_sel_hi:[1,0,1]
	s_nop 0
	v_pk_add_f32 v[6:7], v[6:7], v[10:11] neg_lo:[0,1] neg_hi:[0,1]
	ds_write_b64 v3, v[6:7] offset:256
	v_xor_b32_e32 v6, 0x80000000, v5
	v_mov_b32_e32 v7, v4
	v_pk_mul_f32 v[6:7], v[14:15], v[6:7] op_sel:[1,0]
	s_nop 0
	v_pk_fma_f32 v[4:5], v[4:5], v[14:15], v[6:7] op_sel_hi:[1,0,1]
	v_xor_b32_e32 v6, 0x80000000, v17
	v_mov_b32_e32 v7, v16
	v_pk_mul_f32 v[6:7], v[8:9], v[6:7] op_sel:[1,0]
	v_pk_add_f32 v[4:5], v[12:13], v[4:5] neg_lo:[0,1] neg_hi:[0,1]
	v_pk_fma_f32 v[6:7], v[16:17], v[8:9], v[6:7] op_sel_hi:[1,0,1]
	s_nop 0
	v_pk_add_f32 v[4:5], v[4:5], v[6:7] neg_lo:[0,1] neg_hi:[0,1]
	ds_write_b64 v3, v[4:5] offset:2312
.LBB214_22:
	s_or_b64 exec, exec, s[2:3]
	v_cmp_gt_u32_e64 s[0:1], 8, v0
	s_waitcnt lgkmcnt(0)
	s_barrier
	s_and_saveexec_b64 s[2:3], s[0:1]
	s_cbranch_execz .LBB214_24
; %bb.23:
	v_lshlrev_b32_e32 v3, 8, v0
	v_add_u32_e32 v4, 0x1090, v3
	ds_read2_b64 v[4:7], v4 offset1:255
	v_add_u32_e32 v12, 0x800, v3
	ds_read2_b64 v[8:11], v3 offset1:16
	ds_read2_b64 v[12:15], v12 offset0:17 offset1:33
	v_add_u32_e32 v16, 0x2090, v3
	ds_read2_b64 v[16:19], v16 offset1:255
	s_waitcnt lgkmcnt(3)
	v_xor_b32_e32 v20, 0x80000000, v7
	v_mov_b32_e32 v21, v6
	s_waitcnt lgkmcnt(1)
	v_pk_mul_f32 v[20:21], v[14:15], v[20:21] op_sel:[1,0]
	s_nop 0
	v_pk_fma_f32 v[6:7], v[6:7], v[14:15], v[20:21] op_sel_hi:[1,0,1]
	s_nop 0
	v_pk_add_f32 v[6:7], v[10:11], v[6:7] neg_lo:[0,1] neg_hi:[0,1]
	s_waitcnt lgkmcnt(0)
	v_xor_b32_e32 v10, 0x80000000, v19
	v_mov_b32_e32 v11, v18
	v_pk_mul_f32 v[10:11], v[8:9], v[10:11] op_sel:[1,0]
	s_nop 0
	v_pk_fma_f32 v[10:11], v[18:19], v[8:9], v[10:11] op_sel_hi:[1,0,1]
	s_nop 0
	v_pk_add_f32 v[6:7], v[6:7], v[10:11] neg_lo:[0,1] neg_hi:[0,1]
	ds_write_b64 v3, v[6:7] offset:128
	v_xor_b32_e32 v6, 0x80000000, v5
	v_mov_b32_e32 v7, v4
	v_pk_mul_f32 v[6:7], v[14:15], v[6:7] op_sel:[1,0]
	s_nop 0
	v_pk_fma_f32 v[4:5], v[4:5], v[14:15], v[6:7] op_sel_hi:[1,0,1]
	v_xor_b32_e32 v6, 0x80000000, v17
	v_mov_b32_e32 v7, v16
	v_pk_mul_f32 v[6:7], v[8:9], v[6:7] op_sel:[1,0]
	v_pk_add_f32 v[4:5], v[12:13], v[4:5] neg_lo:[0,1] neg_hi:[0,1]
	v_pk_fma_f32 v[6:7], v[16:17], v[8:9], v[6:7] op_sel_hi:[1,0,1]
	s_nop 0
	v_pk_add_f32 v[4:5], v[4:5], v[6:7] neg_lo:[0,1] neg_hi:[0,1]
	ds_write_b64 v3, v[4:5] offset:2184
.LBB214_24:
	;; [unrolled: 47-line block ×5, first 2 shown]
	s_or_b64 exec, exec, s[2:3]
	s_movk_i32 s0, 0x80
	v_cmp_gt_u32_e64 s[0:1], s0, v0
	s_waitcnt lgkmcnt(0)
	s_barrier
	s_and_saveexec_b64 s[2:3], s[0:1]
	s_cbranch_execz .LBB214_32
; %bb.31:
	v_lshlrev_b32_e32 v3, 4, v0
	v_add_u32_e32 v0, 0x1018, v3
	ds_read_b128 v[4:7], v3 offset:2064
	ds_read2_b64 v[8:11], v0 offset1:255
	ds_read_b128 v[12:15], v3
	v_add_u32_e32 v16, 0x2018, v3
	ds_read2_b64 v[16:19], v16 offset1:255
	s_waitcnt lgkmcnt(3)
	v_mov_b32_e32 v0, v7
	s_waitcnt lgkmcnt(2)
	v_xor_b32_e32 v20, 0x80000000, v11
	v_mov_b32_e32 v21, v10
	v_pk_mul_f32 v[20:21], v[0:1], v[20:21] op_sel_hi:[0,1]
	v_pk_fma_f32 v[10:11], v[10:11], v[6:7], v[20:21] op_sel_hi:[1,0,1]
	s_waitcnt lgkmcnt(1)
	v_pk_add_f32 v[10:11], v[14:15], v[10:11] neg_lo:[0,1] neg_hi:[0,1]
	s_waitcnt lgkmcnt(0)
	v_xor_b32_e32 v14, 0x80000000, v19
	v_mov_b32_e32 v15, v18
	v_pk_mul_f32 v[14:15], v[12:13], v[14:15] op_sel:[1,0]
	s_nop 0
	v_pk_fma_f32 v[14:15], v[18:19], v[12:13], v[14:15] op_sel_hi:[1,0,1]
	s_nop 0
	v_pk_add_f32 v[10:11], v[10:11], v[14:15] neg_lo:[0,1] neg_hi:[0,1]
	ds_write_b64 v3, v[10:11] offset:8
	v_xor_b32_e32 v10, 0x80000000, v9
	v_mov_b32_e32 v11, v8
	v_pk_mul_f32 v[10:11], v[0:1], v[10:11] op_sel_hi:[0,1]
	v_pk_fma_f32 v[6:7], v[8:9], v[6:7], v[10:11] op_sel_hi:[1,0,1]
	s_nop 0
	v_pk_add_f32 v[4:5], v[4:5], v[6:7] neg_lo:[0,1] neg_hi:[0,1]
	v_xor_b32_e32 v6, 0x80000000, v17
	v_mov_b32_e32 v7, v16
	v_pk_mul_f32 v[6:7], v[12:13], v[6:7] op_sel:[1,0]
	s_nop 0
	v_pk_fma_f32 v[6:7], v[16:17], v[12:13], v[6:7] op_sel_hi:[1,0,1]
	s_nop 0
	v_pk_add_f32 v[4:5], v[4:5], v[6:7] neg_lo:[0,1] neg_hi:[0,1]
	ds_write_b64 v3, v[4:5] offset:2064
.LBB214_32:
	s_or_b64 exec, exec, s[2:3]
	s_waitcnt lgkmcnt(0)
	s_barrier
	s_and_saveexec_b64 s[0:1], vcc
	s_cbranch_execz .LBB214_34
; %bb.33:
	v_add_u32_e32 v0, 8, v1
	ds_read2st64_b64 v[4:7], v0 offset1:4
	v_ashrrev_i32_e32 v3, 31, v2
	v_lshl_add_u64 v[0:1], v[2:3], 3, s[6:7]
	v_mad_u64_u32 v[2:3], s[0:1], s14, 7, v[2:3]
	v_mov_b32_e32 v3, 0
	s_waitcnt lgkmcnt(0)
	global_store_dwordx2 v[0:1], v[6:7], off
	v_lshl_add_u64 v[0:1], v[2:3], 3, s[6:7]
	global_store_dwordx2 v[0:1], v[4:5], off
.LBB214_34:
	s_endpgm
	.section	.rodata,"a",@progbits
	.p2align	6, 0x0
	.amdhsa_kernel _ZN9rocsparseL33gtsv_solve_spike_propagate_kernelILj256ELj8E21rocsparse_complex_numIfEEEviiiPT1_PKS3_S6_S6_
		.amdhsa_group_segment_fixed_size 12304
		.amdhsa_private_segment_fixed_size 0
		.amdhsa_kernarg_size 304
		.amdhsa_user_sgpr_count 2
		.amdhsa_user_sgpr_dispatch_ptr 0
		.amdhsa_user_sgpr_queue_ptr 0
		.amdhsa_user_sgpr_kernarg_segment_ptr 1
		.amdhsa_user_sgpr_dispatch_id 0
		.amdhsa_user_sgpr_kernarg_preload_length 0
		.amdhsa_user_sgpr_kernarg_preload_offset 0
		.amdhsa_user_sgpr_private_segment_size 0
		.amdhsa_uses_dynamic_stack 0
		.amdhsa_enable_private_segment 0
		.amdhsa_system_sgpr_workgroup_id_x 1
		.amdhsa_system_sgpr_workgroup_id_y 1
		.amdhsa_system_sgpr_workgroup_id_z 0
		.amdhsa_system_sgpr_workgroup_info 0
		.amdhsa_system_vgpr_workitem_id 0
		.amdhsa_next_free_vgpr 22
		.amdhsa_next_free_sgpr 18
		.amdhsa_accum_offset 24
		.amdhsa_reserve_vcc 1
		.amdhsa_float_round_mode_32 0
		.amdhsa_float_round_mode_16_64 0
		.amdhsa_float_denorm_mode_32 3
		.amdhsa_float_denorm_mode_16_64 3
		.amdhsa_dx10_clamp 1
		.amdhsa_ieee_mode 1
		.amdhsa_fp16_overflow 0
		.amdhsa_tg_split 0
		.amdhsa_exception_fp_ieee_invalid_op 0
		.amdhsa_exception_fp_denorm_src 0
		.amdhsa_exception_fp_ieee_div_zero 0
		.amdhsa_exception_fp_ieee_overflow 0
		.amdhsa_exception_fp_ieee_underflow 0
		.amdhsa_exception_fp_ieee_inexact 0
		.amdhsa_exception_int_div_zero 0
	.end_amdhsa_kernel
	.section	.text._ZN9rocsparseL33gtsv_solve_spike_propagate_kernelILj256ELj8E21rocsparse_complex_numIfEEEviiiPT1_PKS3_S6_S6_,"axG",@progbits,_ZN9rocsparseL33gtsv_solve_spike_propagate_kernelILj256ELj8E21rocsparse_complex_numIfEEEviiiPT1_PKS3_S6_S6_,comdat
.Lfunc_end214:
	.size	_ZN9rocsparseL33gtsv_solve_spike_propagate_kernelILj256ELj8E21rocsparse_complex_numIfEEEviiiPT1_PKS3_S6_S6_, .Lfunc_end214-_ZN9rocsparseL33gtsv_solve_spike_propagate_kernelILj256ELj8E21rocsparse_complex_numIfEEEviiiPT1_PKS3_S6_S6_
                                        ; -- End function
	.set _ZN9rocsparseL33gtsv_solve_spike_propagate_kernelILj256ELj8E21rocsparse_complex_numIfEEEviiiPT1_PKS3_S6_S6_.num_vgpr, 22
	.set _ZN9rocsparseL33gtsv_solve_spike_propagate_kernelILj256ELj8E21rocsparse_complex_numIfEEEviiiPT1_PKS3_S6_S6_.num_agpr, 0
	.set _ZN9rocsparseL33gtsv_solve_spike_propagate_kernelILj256ELj8E21rocsparse_complex_numIfEEEviiiPT1_PKS3_S6_S6_.numbered_sgpr, 18
	.set _ZN9rocsparseL33gtsv_solve_spike_propagate_kernelILj256ELj8E21rocsparse_complex_numIfEEEviiiPT1_PKS3_S6_S6_.num_named_barrier, 0
	.set _ZN9rocsparseL33gtsv_solve_spike_propagate_kernelILj256ELj8E21rocsparse_complex_numIfEEEviiiPT1_PKS3_S6_S6_.private_seg_size, 0
	.set _ZN9rocsparseL33gtsv_solve_spike_propagate_kernelILj256ELj8E21rocsparse_complex_numIfEEEviiiPT1_PKS3_S6_S6_.uses_vcc, 1
	.set _ZN9rocsparseL33gtsv_solve_spike_propagate_kernelILj256ELj8E21rocsparse_complex_numIfEEEviiiPT1_PKS3_S6_S6_.uses_flat_scratch, 0
	.set _ZN9rocsparseL33gtsv_solve_spike_propagate_kernelILj256ELj8E21rocsparse_complex_numIfEEEviiiPT1_PKS3_S6_S6_.has_dyn_sized_stack, 0
	.set _ZN9rocsparseL33gtsv_solve_spike_propagate_kernelILj256ELj8E21rocsparse_complex_numIfEEEviiiPT1_PKS3_S6_S6_.has_recursion, 0
	.set _ZN9rocsparseL33gtsv_solve_spike_propagate_kernelILj256ELj8E21rocsparse_complex_numIfEEEviiiPT1_PKS3_S6_S6_.has_indirect_call, 0
	.section	.AMDGPU.csdata,"",@progbits
; Kernel info:
; codeLenInByte = 3040
; TotalNumSgprs: 24
; NumVgprs: 22
; NumAgprs: 0
; TotalNumVgprs: 22
; ScratchSize: 0
; MemoryBound: 0
; FloatMode: 240
; IeeeMode: 1
; LDSByteSize: 12304 bytes/workgroup (compile time only)
; SGPRBlocks: 2
; VGPRBlocks: 2
; NumSGPRsForWavesPerEU: 24
; NumVGPRsForWavesPerEU: 22
; AccumOffset: 24
; Occupancy: 8
; WaveLimiterHint : 0
; COMPUTE_PGM_RSRC2:SCRATCH_EN: 0
; COMPUTE_PGM_RSRC2:USER_SGPR: 2
; COMPUTE_PGM_RSRC2:TRAP_HANDLER: 0
; COMPUTE_PGM_RSRC2:TGID_X_EN: 1
; COMPUTE_PGM_RSRC2:TGID_Y_EN: 1
; COMPUTE_PGM_RSRC2:TGID_Z_EN: 0
; COMPUTE_PGM_RSRC2:TIDIG_COMP_CNT: 0
; COMPUTE_PGM_RSRC3_GFX90A:ACCUM_OFFSET: 5
; COMPUTE_PGM_RSRC3_GFX90A:TG_SPLIT: 0
	.section	.text._ZN9rocsparseL39gtsv_spike_backward_substitution_kernelILj256ELj8E21rocsparse_complex_numIfEEEviiiPT1_PKS3_S6_,"axG",@progbits,_ZN9rocsparseL39gtsv_spike_backward_substitution_kernelILj256ELj8E21rocsparse_complex_numIfEEEviiiPT1_PKS3_S6_,comdat
	.globl	_ZN9rocsparseL39gtsv_spike_backward_substitution_kernelILj256ELj8E21rocsparse_complex_numIfEEEviiiPT1_PKS3_S6_ ; -- Begin function _ZN9rocsparseL39gtsv_spike_backward_substitution_kernelILj256ELj8E21rocsparse_complex_numIfEEEviiiPT1_PKS3_S6_
	.p2align	8
	.type	_ZN9rocsparseL39gtsv_spike_backward_substitution_kernelILj256ELj8E21rocsparse_complex_numIfEEEviiiPT1_PKS3_S6_,@function
_ZN9rocsparseL39gtsv_spike_backward_substitution_kernelILj256ELj8E21rocsparse_complex_numIfEEEviiiPT1_PKS3_S6_: ; @_ZN9rocsparseL39gtsv_spike_backward_substitution_kernelILj256ELj8E21rocsparse_complex_numIfEEEviiiPT1_PKS3_S6_
; %bb.0:
	s_load_dword s6, s[0:1], 0x0
	v_lshl_or_b32 v8, s2, 8, v0
	s_waitcnt lgkmcnt(0)
	s_lshr_b32 s12, s6, 3
	v_cmp_gt_i32_e32 vcc, s12, v8
	s_and_saveexec_b64 s[4:5], vcc
	s_cbranch_execz .LBB215_6
; %bb.1:
	s_load_dwordx2 s[8:9], s[0:1], 0x10
	v_cmp_lt_i32_e32 vcc, 0, v8
	v_mov_b32_e32 v0, 0
	s_mul_i32 s2, s6, s3
	v_mov_b32_e32 v2, 0
	s_and_saveexec_b64 s[4:5], vcc
	s_cbranch_execz .LBB215_3
; %bb.2:
	s_mul_i32 s7, s12, 7
	s_mul_i32 s3, s6, s3
	s_add_i32 s7, s7, s3
	v_add3_u32 v0, v8, s7, -1
	v_mov_b32_e32 v1, 0
	s_waitcnt lgkmcnt(0)
	v_lshl_add_u64 v[0:1], v[0:1], 3, s[8:9]
	global_load_dwordx2 v[0:1], v[0:1], off
	s_waitcnt vmcnt(0)
	v_mov_b32_e32 v2, v1
.LBB215_3:
	s_or_b64 exec, exec, s[4:5]
	v_add_u32_e32 v1, 8, v8
	v_cmp_le_u32_e32 vcc, s6, v1
	s_and_saveexec_b64 s[4:5], vcc
	s_xor_b64 s[4:5], exec, s[4:5]
	s_or_saveexec_b64 s[10:11], s[4:5]
	s_load_dwordx4 s[4:7], s[0:1], 0x18
	v_mov_b32_e32 v4, 0
	v_mov_b32_e32 v1, s2
	;; [unrolled: 1-line block ×3, first 2 shown]
	s_xor_b64 exec, exec, s[10:11]
	s_cbranch_execz .LBB215_5
; %bb.4:
	s_ashr_i32 s3, s2, 31
	v_ashrrev_i32_e32 v9, 31, v8
	v_lshl_add_u64 v[4:5], v[8:9], 0, s[2:3]
	s_waitcnt lgkmcnt(0)
	v_lshl_add_u64 v[4:5], v[4:5], 3, s[8:9]
	global_load_dwordx2 v[4:5], v[4:5], off offset:8
	v_mov_b32_e32 v1, s2
	s_waitcnt vmcnt(0)
	v_mov_b32_e32 v6, v5
.LBB215_5:
	s_or_b64 exec, exec, s[10:11]
	v_add_u32_e32 v8, s12, v8
	v_ashrrev_i32_e32 v9, 31, v8
	v_lshlrev_b64 v[10:11], 3, v[8:9]
	s_waitcnt lgkmcnt(0)
	v_lshl_add_u64 v[12:13], s[4:5], 0, v[10:11]
	global_load_dwordx2 v[12:13], v[12:13], off
	v_lshl_add_u64 v[10:11], s[6:7], 0, v[10:11]
	v_add_u32_e32 v14, v8, v1
	global_load_dwordx2 v[10:11], v[10:11], off
	v_ashrrev_i32_e32 v15, 31, v14
	v_lshl_add_u64 v[14:15], v[14:15], 3, s[8:9]
	global_load_dwordx2 v[16:17], v[14:15], off
	v_add_u32_e32 v8, s12, v8
	v_ashrrev_i32_e32 v9, 31, v8
	v_lshlrev_b64 v[20:21], 3, v[8:9]
	v_lshl_add_u64 v[22:23], s[4:5], 0, v[20:21]
	v_lshl_add_u64 v[20:21], s[6:7], 0, v[20:21]
	global_load_dwordx2 v[24:25], v[22:23], off
	global_load_dwordx2 v[26:27], v[20:21], off
	v_add_u32_e32 v18, v8, v1
	v_ashrrev_i32_e32 v19, 31, v18
	v_lshl_add_u64 v[18:19], v[18:19], 3, s[8:9]
	v_add_u32_e32 v8, s12, v8
	v_ashrrev_i32_e32 v9, 31, v8
	s_waitcnt vmcnt(4)
	v_xor_b32_e32 v20, 0x80000000, v13
	v_mov_b32_e32 v21, v12
	v_pk_mul_f32 v[20:21], v[2:3], v[20:21] op_sel_hi:[0,1]
	s_waitcnt vmcnt(3)
	v_xor_b32_e32 v22, 0x80000000, v11
	v_mov_b32_e32 v23, v10
	v_pk_mul_f32 v[22:23], v[6:7], v[22:23] op_sel_hi:[0,1]
	v_pk_fma_f32 v[12:13], v[12:13], v[0:1], v[20:21] op_sel_hi:[1,0,1]
	v_pk_fma_f32 v[10:11], v[10:11], v[4:5], v[22:23] op_sel_hi:[1,0,1]
	s_waitcnt vmcnt(2)
	v_pk_add_f32 v[12:13], v[16:17], v[12:13] neg_lo:[0,1] neg_hi:[0,1]
	s_nop 0
	v_pk_add_f32 v[10:11], v[12:13], v[10:11] neg_lo:[0,1] neg_hi:[0,1]
	global_store_dwordx2 v[14:15], v[10:11], off
	global_load_dwordx2 v[10:11], v[18:19], off
	v_lshlrev_b64 v[14:15], 3, v[8:9]
	v_lshl_add_u64 v[16:17], s[4:5], 0, v[14:15]
	v_lshl_add_u64 v[14:15], s[6:7], 0, v[14:15]
	global_load_dwordx2 v[20:21], v[16:17], off
	global_load_dwordx2 v[22:23], v[14:15], off
	s_waitcnt vmcnt(5)
	v_xor_b32_e32 v14, 0x80000000, v25
	v_mov_b32_e32 v15, v24
	s_waitcnt vmcnt(4)
	v_xor_b32_e32 v16, 0x80000000, v27
	v_mov_b32_e32 v17, v26
	v_pk_mul_f32 v[14:15], v[2:3], v[14:15] op_sel_hi:[0,1]
	v_pk_mul_f32 v[16:17], v[6:7], v[16:17] op_sel_hi:[0,1]
	v_pk_fma_f32 v[14:15], v[24:25], v[0:1], v[14:15] op_sel_hi:[1,0,1]
	v_add_u32_e32 v12, v8, v1
	v_pk_fma_f32 v[16:17], v[26:27], v[4:5], v[16:17] op_sel_hi:[1,0,1]
	v_ashrrev_i32_e32 v13, 31, v12
	v_lshl_add_u64 v[12:13], v[12:13], 3, s[8:9]
	v_add_u32_e32 v8, s12, v8
	v_ashrrev_i32_e32 v9, 31, v8
	s_waitcnt vmcnt(2)
	v_pk_add_f32 v[10:11], v[10:11], v[14:15] neg_lo:[0,1] neg_hi:[0,1]
	s_nop 0
	v_pk_add_f32 v[10:11], v[10:11], v[16:17] neg_lo:[0,1] neg_hi:[0,1]
	global_store_dwordx2 v[18:19], v[10:11], off
	global_load_dwordx2 v[10:11], v[12:13], off
	v_lshlrev_b64 v[16:17], 3, v[8:9]
	v_lshl_add_u64 v[18:19], s[4:5], 0, v[16:17]
	v_lshl_add_u64 v[16:17], s[6:7], 0, v[16:17]
	global_load_dwordx2 v[24:25], v[18:19], off
	global_load_dwordx2 v[26:27], v[16:17], off
	s_waitcnt vmcnt(5)
	v_xor_b32_e32 v16, 0x80000000, v21
	v_mov_b32_e32 v17, v20
	s_waitcnt vmcnt(4)
	v_xor_b32_e32 v18, 0x80000000, v23
	v_mov_b32_e32 v19, v22
	v_pk_mul_f32 v[16:17], v[2:3], v[16:17] op_sel_hi:[0,1]
	v_pk_mul_f32 v[18:19], v[6:7], v[18:19] op_sel_hi:[0,1]
	v_pk_fma_f32 v[16:17], v[20:21], v[0:1], v[16:17] op_sel_hi:[1,0,1]
	v_add_u32_e32 v14, v8, v1
	v_pk_fma_f32 v[18:19], v[22:23], v[4:5], v[18:19] op_sel_hi:[1,0,1]
	v_ashrrev_i32_e32 v15, 31, v14
	v_lshl_add_u64 v[14:15], v[14:15], 3, s[8:9]
	v_add_u32_e32 v8, s12, v8
	v_ashrrev_i32_e32 v9, 31, v8
	;; [unrolled: 26-line block ×3, first 2 shown]
	s_waitcnt vmcnt(2)
	v_pk_add_f32 v[10:11], v[10:11], v[16:17] neg_lo:[0,1] neg_hi:[0,1]
	s_nop 0
	v_pk_add_f32 v[10:11], v[10:11], v[18:19] neg_lo:[0,1] neg_hi:[0,1]
	global_store_dwordx2 v[14:15], v[10:11], off
	global_load_dwordx2 v[10:11], v[12:13], off
	v_add_u32_e32 v14, v8, v1
	v_lshlrev_b64 v[8:9], 3, v[8:9]
	v_lshl_add_u64 v[16:17], s[4:5], 0, v[8:9]
	v_lshl_add_u64 v[8:9], s[6:7], 0, v[8:9]
	global_load_dwordx2 v[18:19], v[16:17], off
	global_load_dwordx2 v[24:25], v[8:9], off
	s_waitcnt vmcnt(5)
	v_xor_b32_e32 v8, 0x80000000, v21
	v_mov_b32_e32 v9, v20
	s_waitcnt vmcnt(4)
	v_xor_b32_e32 v16, 0x80000000, v23
	v_mov_b32_e32 v17, v22
	v_pk_mul_f32 v[8:9], v[2:3], v[8:9] op_sel_hi:[0,1]
	v_pk_mul_f32 v[16:17], v[6:7], v[16:17] op_sel_hi:[0,1]
	v_pk_fma_f32 v[8:9], v[20:21], v[0:1], v[8:9] op_sel_hi:[1,0,1]
	v_pk_fma_f32 v[16:17], v[22:23], v[4:5], v[16:17] op_sel_hi:[1,0,1]
	v_ashrrev_i32_e32 v15, 31, v14
	v_lshl_add_u64 v[14:15], v[14:15], 3, s[8:9]
	s_waitcnt vmcnt(2)
	v_pk_add_f32 v[8:9], v[10:11], v[8:9] neg_lo:[0,1] neg_hi:[0,1]
	global_store_dwordx2 v[12:13], v[8:9], off
	v_pk_add_f32 v[8:9], v[8:9], v[16:17] neg_lo:[0,1] neg_hi:[0,1]
	global_store_dwordx2 v[12:13], v[8:9], off
	global_load_dwordx2 v[8:9], v[14:15], off
	s_waitcnt vmcnt(4)
	v_xor_b32_e32 v10, 0x80000000, v19
	v_mov_b32_e32 v11, v18
	s_waitcnt vmcnt(3)
	v_xor_b32_e32 v12, 0x80000000, v25
	v_mov_b32_e32 v13, v24
	v_pk_mul_f32 v[2:3], v[2:3], v[10:11] op_sel_hi:[0,1]
	v_pk_mul_f32 v[6:7], v[6:7], v[12:13] op_sel_hi:[0,1]
	v_pk_fma_f32 v[0:1], v[18:19], v[0:1], v[2:3] op_sel_hi:[1,0,1]
	v_pk_fma_f32 v[2:3], v[24:25], v[4:5], v[6:7] op_sel_hi:[1,0,1]
	s_waitcnt vmcnt(0)
	v_pk_add_f32 v[0:1], v[8:9], v[0:1] neg_lo:[0,1] neg_hi:[0,1]
	global_store_dwordx2 v[14:15], v[0:1], off
	v_pk_add_f32 v[0:1], v[0:1], v[2:3] neg_lo:[0,1] neg_hi:[0,1]
	global_store_dwordx2 v[14:15], v[0:1], off
.LBB215_6:
	s_endpgm
	.section	.rodata,"a",@progbits
	.p2align	6, 0x0
	.amdhsa_kernel _ZN9rocsparseL39gtsv_spike_backward_substitution_kernelILj256ELj8E21rocsparse_complex_numIfEEEviiiPT1_PKS3_S6_
		.amdhsa_group_segment_fixed_size 0
		.amdhsa_private_segment_fixed_size 0
		.amdhsa_kernarg_size 40
		.amdhsa_user_sgpr_count 2
		.amdhsa_user_sgpr_dispatch_ptr 0
		.amdhsa_user_sgpr_queue_ptr 0
		.amdhsa_user_sgpr_kernarg_segment_ptr 1
		.amdhsa_user_sgpr_dispatch_id 0
		.amdhsa_user_sgpr_kernarg_preload_length 0
		.amdhsa_user_sgpr_kernarg_preload_offset 0
		.amdhsa_user_sgpr_private_segment_size 0
		.amdhsa_uses_dynamic_stack 0
		.amdhsa_enable_private_segment 0
		.amdhsa_system_sgpr_workgroup_id_x 1
		.amdhsa_system_sgpr_workgroup_id_y 1
		.amdhsa_system_sgpr_workgroup_id_z 0
		.amdhsa_system_sgpr_workgroup_info 0
		.amdhsa_system_vgpr_workitem_id 0
		.amdhsa_next_free_vgpr 28
		.amdhsa_next_free_sgpr 13
		.amdhsa_accum_offset 28
		.amdhsa_reserve_vcc 1
		.amdhsa_float_round_mode_32 0
		.amdhsa_float_round_mode_16_64 0
		.amdhsa_float_denorm_mode_32 3
		.amdhsa_float_denorm_mode_16_64 3
		.amdhsa_dx10_clamp 1
		.amdhsa_ieee_mode 1
		.amdhsa_fp16_overflow 0
		.amdhsa_tg_split 0
		.amdhsa_exception_fp_ieee_invalid_op 0
		.amdhsa_exception_fp_denorm_src 0
		.amdhsa_exception_fp_ieee_div_zero 0
		.amdhsa_exception_fp_ieee_overflow 0
		.amdhsa_exception_fp_ieee_underflow 0
		.amdhsa_exception_fp_ieee_inexact 0
		.amdhsa_exception_int_div_zero 0
	.end_amdhsa_kernel
	.section	.text._ZN9rocsparseL39gtsv_spike_backward_substitution_kernelILj256ELj8E21rocsparse_complex_numIfEEEviiiPT1_PKS3_S6_,"axG",@progbits,_ZN9rocsparseL39gtsv_spike_backward_substitution_kernelILj256ELj8E21rocsparse_complex_numIfEEEviiiPT1_PKS3_S6_,comdat
.Lfunc_end215:
	.size	_ZN9rocsparseL39gtsv_spike_backward_substitution_kernelILj256ELj8E21rocsparse_complex_numIfEEEviiiPT1_PKS3_S6_, .Lfunc_end215-_ZN9rocsparseL39gtsv_spike_backward_substitution_kernelILj256ELj8E21rocsparse_complex_numIfEEEviiiPT1_PKS3_S6_
                                        ; -- End function
	.set _ZN9rocsparseL39gtsv_spike_backward_substitution_kernelILj256ELj8E21rocsparse_complex_numIfEEEviiiPT1_PKS3_S6_.num_vgpr, 28
	.set _ZN9rocsparseL39gtsv_spike_backward_substitution_kernelILj256ELj8E21rocsparse_complex_numIfEEEviiiPT1_PKS3_S6_.num_agpr, 0
	.set _ZN9rocsparseL39gtsv_spike_backward_substitution_kernelILj256ELj8E21rocsparse_complex_numIfEEEviiiPT1_PKS3_S6_.numbered_sgpr, 13
	.set _ZN9rocsparseL39gtsv_spike_backward_substitution_kernelILj256ELj8E21rocsparse_complex_numIfEEEviiiPT1_PKS3_S6_.num_named_barrier, 0
	.set _ZN9rocsparseL39gtsv_spike_backward_substitution_kernelILj256ELj8E21rocsparse_complex_numIfEEEviiiPT1_PKS3_S6_.private_seg_size, 0
	.set _ZN9rocsparseL39gtsv_spike_backward_substitution_kernelILj256ELj8E21rocsparse_complex_numIfEEEviiiPT1_PKS3_S6_.uses_vcc, 1
	.set _ZN9rocsparseL39gtsv_spike_backward_substitution_kernelILj256ELj8E21rocsparse_complex_numIfEEEviiiPT1_PKS3_S6_.uses_flat_scratch, 0
	.set _ZN9rocsparseL39gtsv_spike_backward_substitution_kernelILj256ELj8E21rocsparse_complex_numIfEEEviiiPT1_PKS3_S6_.has_dyn_sized_stack, 0
	.set _ZN9rocsparseL39gtsv_spike_backward_substitution_kernelILj256ELj8E21rocsparse_complex_numIfEEEviiiPT1_PKS3_S6_.has_recursion, 0
	.set _ZN9rocsparseL39gtsv_spike_backward_substitution_kernelILj256ELj8E21rocsparse_complex_numIfEEEviiiPT1_PKS3_S6_.has_indirect_call, 0
	.section	.AMDGPU.csdata,"",@progbits
; Kernel info:
; codeLenInByte = 1248
; TotalNumSgprs: 19
; NumVgprs: 28
; NumAgprs: 0
; TotalNumVgprs: 28
; ScratchSize: 0
; MemoryBound: 0
; FloatMode: 240
; IeeeMode: 1
; LDSByteSize: 0 bytes/workgroup (compile time only)
; SGPRBlocks: 2
; VGPRBlocks: 3
; NumSGPRsForWavesPerEU: 19
; NumVGPRsForWavesPerEU: 28
; AccumOffset: 28
; Occupancy: 8
; WaveLimiterHint : 0
; COMPUTE_PGM_RSRC2:SCRATCH_EN: 0
; COMPUTE_PGM_RSRC2:USER_SGPR: 2
; COMPUTE_PGM_RSRC2:TRAP_HANDLER: 0
; COMPUTE_PGM_RSRC2:TGID_X_EN: 1
; COMPUTE_PGM_RSRC2:TGID_Y_EN: 1
; COMPUTE_PGM_RSRC2:TGID_Z_EN: 0
; COMPUTE_PGM_RSRC2:TIDIG_COMP_CNT: 0
; COMPUTE_PGM_RSRC3_GFX90A:ACCUM_OFFSET: 6
; COMPUTE_PGM_RSRC3_GFX90A:TG_SPLIT: 0
	.section	.text._ZN9rocsparseL32gtsv_transpose_back_array_kernelILj256ELj8E21rocsparse_complex_numIfEEEviiiPKT1_PS3_,"axG",@progbits,_ZN9rocsparseL32gtsv_transpose_back_array_kernelILj256ELj8E21rocsparse_complex_numIfEEEviiiPKT1_PS3_,comdat
	.globl	_ZN9rocsparseL32gtsv_transpose_back_array_kernelILj256ELj8E21rocsparse_complex_numIfEEEviiiPKT1_PS3_ ; -- Begin function _ZN9rocsparseL32gtsv_transpose_back_array_kernelILj256ELj8E21rocsparse_complex_numIfEEEviiiPKT1_PS3_
	.p2align	8
	.type	_ZN9rocsparseL32gtsv_transpose_back_array_kernelILj256ELj8E21rocsparse_complex_numIfEEEviiiPKT1_PS3_,@function
_ZN9rocsparseL32gtsv_transpose_back_array_kernelILj256ELj8E21rocsparse_complex_numIfEEEviiiPKT1_PS3_: ; @_ZN9rocsparseL32gtsv_transpose_back_array_kernelILj256ELj8E21rocsparse_complex_numIfEEEviiiPKT1_PS3_
; %bb.0:
	s_load_dwordx4 s[4:7], s[0:1], 0x0
	v_lshl_or_b32 v0, s2, 8, v0
	v_lshlrev_b32_e32 v2, 3, v0
	s_waitcnt lgkmcnt(0)
	v_cvt_f32_u32_e32 v1, s5
	s_sub_i32 s2, 0, s5
	v_rcp_iflag_f32_e32 v1, v1
	s_nop 0
	v_mul_f32_e32 v1, 0x4f7ffffe, v1
	v_cvt_u32_f32_e32 v1, v1
	v_mul_lo_u32 v3, s2, v1
	v_mul_hi_u32 v3, v1, v3
	v_add_u32_e32 v1, v1, v3
	v_mul_hi_u32 v1, v2, v1
	v_mul_lo_u32 v3, v1, s5
	v_sub_u32_e32 v3, v2, v3
	v_add_u32_e32 v4, 1, v1
	v_cmp_le_u32_e32 vcc, s5, v3
	s_nop 1
	v_cndmask_b32_e32 v1, v1, v4, vcc
	v_subrev_u32_e32 v4, s5, v3
	v_cndmask_b32_e32 v3, v3, v4, vcc
	v_add_u32_e32 v4, 1, v1
	v_cmp_le_u32_e32 vcc, s5, v3
	s_nop 1
	v_cndmask_b32_e32 v1, v1, v4, vcc
	v_mul_lo_u32 v3, v1, s5
	v_sub_u32_e32 v2, v2, v3
	v_add_u32_e32 v1, v1, v2
	v_cmp_gt_i32_e32 vcc, s4, v1
	s_and_saveexec_b64 s[8:9], vcc
	s_cbranch_execz .LBB216_2
; %bb.1:
	s_load_dwordx4 s[8:11], s[0:1], 0x10
	s_mul_i32 s0, s5, s3
	v_add_u32_e32 v2, s0, v0
	v_ashrrev_i32_e32 v3, 31, v2
	s_mul_i32 s0, s6, s3
	s_waitcnt lgkmcnt(0)
	v_lshl_add_u64 v[2:3], v[2:3], 3, s[8:9]
	global_load_dwordx2 v[2:3], v[2:3], off
	v_add_u32_e32 v0, s0, v1
	v_ashrrev_i32_e32 v1, 31, v0
	v_lshl_add_u64 v[0:1], v[0:1], 3, s[10:11]
	s_waitcnt vmcnt(0)
	global_store_dwordx2 v[0:1], v[2:3], off
.LBB216_2:
	s_endpgm
	.section	.rodata,"a",@progbits
	.p2align	6, 0x0
	.amdhsa_kernel _ZN9rocsparseL32gtsv_transpose_back_array_kernelILj256ELj8E21rocsparse_complex_numIfEEEviiiPKT1_PS3_
		.amdhsa_group_segment_fixed_size 0
		.amdhsa_private_segment_fixed_size 0
		.amdhsa_kernarg_size 32
		.amdhsa_user_sgpr_count 2
		.amdhsa_user_sgpr_dispatch_ptr 0
		.amdhsa_user_sgpr_queue_ptr 0
		.amdhsa_user_sgpr_kernarg_segment_ptr 1
		.amdhsa_user_sgpr_dispatch_id 0
		.amdhsa_user_sgpr_kernarg_preload_length 0
		.amdhsa_user_sgpr_kernarg_preload_offset 0
		.amdhsa_user_sgpr_private_segment_size 0
		.amdhsa_uses_dynamic_stack 0
		.amdhsa_enable_private_segment 0
		.amdhsa_system_sgpr_workgroup_id_x 1
		.amdhsa_system_sgpr_workgroup_id_y 1
		.amdhsa_system_sgpr_workgroup_id_z 0
		.amdhsa_system_sgpr_workgroup_info 0
		.amdhsa_system_vgpr_workitem_id 0
		.amdhsa_next_free_vgpr 5
		.amdhsa_next_free_sgpr 12
		.amdhsa_accum_offset 8
		.amdhsa_reserve_vcc 1
		.amdhsa_float_round_mode_32 0
		.amdhsa_float_round_mode_16_64 0
		.amdhsa_float_denorm_mode_32 3
		.amdhsa_float_denorm_mode_16_64 3
		.amdhsa_dx10_clamp 1
		.amdhsa_ieee_mode 1
		.amdhsa_fp16_overflow 0
		.amdhsa_tg_split 0
		.amdhsa_exception_fp_ieee_invalid_op 0
		.amdhsa_exception_fp_denorm_src 0
		.amdhsa_exception_fp_ieee_div_zero 0
		.amdhsa_exception_fp_ieee_overflow 0
		.amdhsa_exception_fp_ieee_underflow 0
		.amdhsa_exception_fp_ieee_inexact 0
		.amdhsa_exception_int_div_zero 0
	.end_amdhsa_kernel
	.section	.text._ZN9rocsparseL32gtsv_transpose_back_array_kernelILj256ELj8E21rocsparse_complex_numIfEEEviiiPKT1_PS3_,"axG",@progbits,_ZN9rocsparseL32gtsv_transpose_back_array_kernelILj256ELj8E21rocsparse_complex_numIfEEEviiiPKT1_PS3_,comdat
.Lfunc_end216:
	.size	_ZN9rocsparseL32gtsv_transpose_back_array_kernelILj256ELj8E21rocsparse_complex_numIfEEEviiiPKT1_PS3_, .Lfunc_end216-_ZN9rocsparseL32gtsv_transpose_back_array_kernelILj256ELj8E21rocsparse_complex_numIfEEEviiiPKT1_PS3_
                                        ; -- End function
	.set _ZN9rocsparseL32gtsv_transpose_back_array_kernelILj256ELj8E21rocsparse_complex_numIfEEEviiiPKT1_PS3_.num_vgpr, 5
	.set _ZN9rocsparseL32gtsv_transpose_back_array_kernelILj256ELj8E21rocsparse_complex_numIfEEEviiiPKT1_PS3_.num_agpr, 0
	.set _ZN9rocsparseL32gtsv_transpose_back_array_kernelILj256ELj8E21rocsparse_complex_numIfEEEviiiPKT1_PS3_.numbered_sgpr, 12
	.set _ZN9rocsparseL32gtsv_transpose_back_array_kernelILj256ELj8E21rocsparse_complex_numIfEEEviiiPKT1_PS3_.num_named_barrier, 0
	.set _ZN9rocsparseL32gtsv_transpose_back_array_kernelILj256ELj8E21rocsparse_complex_numIfEEEviiiPKT1_PS3_.private_seg_size, 0
	.set _ZN9rocsparseL32gtsv_transpose_back_array_kernelILj256ELj8E21rocsparse_complex_numIfEEEviiiPKT1_PS3_.uses_vcc, 1
	.set _ZN9rocsparseL32gtsv_transpose_back_array_kernelILj256ELj8E21rocsparse_complex_numIfEEEviiiPKT1_PS3_.uses_flat_scratch, 0
	.set _ZN9rocsparseL32gtsv_transpose_back_array_kernelILj256ELj8E21rocsparse_complex_numIfEEEviiiPKT1_PS3_.has_dyn_sized_stack, 0
	.set _ZN9rocsparseL32gtsv_transpose_back_array_kernelILj256ELj8E21rocsparse_complex_numIfEEEviiiPKT1_PS3_.has_recursion, 0
	.set _ZN9rocsparseL32gtsv_transpose_back_array_kernelILj256ELj8E21rocsparse_complex_numIfEEEviiiPKT1_PS3_.has_indirect_call, 0
	.section	.AMDGPU.csdata,"",@progbits
; Kernel info:
; codeLenInByte = 236
; TotalNumSgprs: 18
; NumVgprs: 5
; NumAgprs: 0
; TotalNumVgprs: 5
; ScratchSize: 0
; MemoryBound: 0
; FloatMode: 240
; IeeeMode: 1
; LDSByteSize: 0 bytes/workgroup (compile time only)
; SGPRBlocks: 2
; VGPRBlocks: 0
; NumSGPRsForWavesPerEU: 18
; NumVGPRsForWavesPerEU: 5
; AccumOffset: 8
; Occupancy: 8
; WaveLimiterHint : 0
; COMPUTE_PGM_RSRC2:SCRATCH_EN: 0
; COMPUTE_PGM_RSRC2:USER_SGPR: 2
; COMPUTE_PGM_RSRC2:TRAP_HANDLER: 0
; COMPUTE_PGM_RSRC2:TGID_X_EN: 1
; COMPUTE_PGM_RSRC2:TGID_Y_EN: 1
; COMPUTE_PGM_RSRC2:TGID_Z_EN: 0
; COMPUTE_PGM_RSRC2:TIDIG_COMP_CNT: 0
; COMPUTE_PGM_RSRC3_GFX90A:ACCUM_OFFSET: 1
; COMPUTE_PGM_RSRC3_GFX90A:TG_SPLIT: 0
	.section	.text._ZN9rocsparseL42gtsv_transpose_and_pad_array_shared_kernelILj256ELj16E21rocsparse_complex_numIfEEEviiiPKT1_PS3_S3_,"axG",@progbits,_ZN9rocsparseL42gtsv_transpose_and_pad_array_shared_kernelILj256ELj16E21rocsparse_complex_numIfEEEviiiPKT1_PS3_S3_,comdat
	.globl	_ZN9rocsparseL42gtsv_transpose_and_pad_array_shared_kernelILj256ELj16E21rocsparse_complex_numIfEEEviiiPKT1_PS3_S3_ ; -- Begin function _ZN9rocsparseL42gtsv_transpose_and_pad_array_shared_kernelILj256ELj16E21rocsparse_complex_numIfEEEviiiPKT1_PS3_S3_
	.p2align	8
	.type	_ZN9rocsparseL42gtsv_transpose_and_pad_array_shared_kernelILj256ELj16E21rocsparse_complex_numIfEEEviiiPKT1_PS3_S3_,@function
_ZN9rocsparseL42gtsv_transpose_and_pad_array_shared_kernelILj256ELj16E21rocsparse_complex_numIfEEEviiiPKT1_PS3_S3_: ; @_ZN9rocsparseL42gtsv_transpose_and_pad_array_shared_kernelILj256ELj16E21rocsparse_complex_numIfEEEviiiPKT1_PS3_S3_
; %bb.0:
	s_load_dwordx4 s[4:7], s[0:1], 0x0
	v_lshl_or_b32 v1, s2, 8, v0
                                        ; implicit-def: $sgpr10_sgpr11
	s_waitcnt lgkmcnt(0)
	v_cmp_le_i32_e32 vcc, s4, v1
	s_and_saveexec_b64 s[8:9], vcc
	s_xor_b64 s[8:9], exec, s[8:9]
; %bb.1:
	s_load_dwordx2 s[10:11], s[0:1], 0x20
                                        ; implicit-def: $vgpr1
; %bb.2:
	s_or_saveexec_b64 s[8:9], s[8:9]
	s_waitcnt lgkmcnt(0)
	v_mov_b64_e32 v[4:5], s[10:11]
	s_xor_b64 exec, exec, s[8:9]
	s_cbranch_execz .LBB217_4
; %bb.3:
	s_load_dwordx2 s[10:11], s[0:1], 0x10
	s_mul_i32 s4, s6, s3
	v_add_u32_e32 v2, s4, v1
	v_ashrrev_i32_e32 v3, 31, v2
	s_waitcnt lgkmcnt(0)
	v_lshl_add_u64 v[2:3], v[2:3], 3, s[10:11]
	global_load_dwordx2 v[4:5], v[2:3], off
.LBB217_4:
	s_or_b64 exec, exec, s[8:9]
	v_lshrrev_b32_e32 v2, 4, v0
	v_and_b32_e32 v3, 15, v0
	v_lshlrev_b32_e32 v0, 3, v0
	s_waitcnt vmcnt(0)
	ds_write_b64 v0, v[4:5]
	s_lshr_b32 s4, s5, 4
	v_lshl_or_b32 v0, s2, 4, v3
	v_mad_u64_u32 v[0:1], s[6:7], s4, v2, v[0:1]
	v_cmp_gt_i32_e32 vcc, s5, v0
	s_waitcnt lgkmcnt(0)
	s_barrier
	s_and_saveexec_b64 s[6:7], vcc
	s_cbranch_execz .LBB217_6
; %bb.5:
	v_lshlrev_b32_e32 v1, 3, v2
	s_load_dwordx2 s[0:1], s[0:1], 0x18
	v_lshl_or_b32 v1, v3, 7, v1
	ds_read_b64 v[2:3], v1
	s_mul_i32 s2, s5, s3
	v_add_u32_e32 v0, s2, v0
	v_ashrrev_i32_e32 v1, 31, v0
	s_waitcnt lgkmcnt(0)
	v_lshl_add_u64 v[0:1], v[0:1], 3, s[0:1]
	global_store_dwordx2 v[0:1], v[2:3], off
.LBB217_6:
	s_endpgm
	.section	.rodata,"a",@progbits
	.p2align	6, 0x0
	.amdhsa_kernel _ZN9rocsparseL42gtsv_transpose_and_pad_array_shared_kernelILj256ELj16E21rocsparse_complex_numIfEEEviiiPKT1_PS3_S3_
		.amdhsa_group_segment_fixed_size 2048
		.amdhsa_private_segment_fixed_size 0
		.amdhsa_kernarg_size 40
		.amdhsa_user_sgpr_count 2
		.amdhsa_user_sgpr_dispatch_ptr 0
		.amdhsa_user_sgpr_queue_ptr 0
		.amdhsa_user_sgpr_kernarg_segment_ptr 1
		.amdhsa_user_sgpr_dispatch_id 0
		.amdhsa_user_sgpr_kernarg_preload_length 0
		.amdhsa_user_sgpr_kernarg_preload_offset 0
		.amdhsa_user_sgpr_private_segment_size 0
		.amdhsa_uses_dynamic_stack 0
		.amdhsa_enable_private_segment 0
		.amdhsa_system_sgpr_workgroup_id_x 1
		.amdhsa_system_sgpr_workgroup_id_y 1
		.amdhsa_system_sgpr_workgroup_id_z 0
		.amdhsa_system_sgpr_workgroup_info 0
		.amdhsa_system_vgpr_workitem_id 0
		.amdhsa_next_free_vgpr 6
		.amdhsa_next_free_sgpr 12
		.amdhsa_accum_offset 8
		.amdhsa_reserve_vcc 1
		.amdhsa_float_round_mode_32 0
		.amdhsa_float_round_mode_16_64 0
		.amdhsa_float_denorm_mode_32 3
		.amdhsa_float_denorm_mode_16_64 3
		.amdhsa_dx10_clamp 1
		.amdhsa_ieee_mode 1
		.amdhsa_fp16_overflow 0
		.amdhsa_tg_split 0
		.amdhsa_exception_fp_ieee_invalid_op 0
		.amdhsa_exception_fp_denorm_src 0
		.amdhsa_exception_fp_ieee_div_zero 0
		.amdhsa_exception_fp_ieee_overflow 0
		.amdhsa_exception_fp_ieee_underflow 0
		.amdhsa_exception_fp_ieee_inexact 0
		.amdhsa_exception_int_div_zero 0
	.end_amdhsa_kernel
	.section	.text._ZN9rocsparseL42gtsv_transpose_and_pad_array_shared_kernelILj256ELj16E21rocsparse_complex_numIfEEEviiiPKT1_PS3_S3_,"axG",@progbits,_ZN9rocsparseL42gtsv_transpose_and_pad_array_shared_kernelILj256ELj16E21rocsparse_complex_numIfEEEviiiPKT1_PS3_S3_,comdat
.Lfunc_end217:
	.size	_ZN9rocsparseL42gtsv_transpose_and_pad_array_shared_kernelILj256ELj16E21rocsparse_complex_numIfEEEviiiPKT1_PS3_S3_, .Lfunc_end217-_ZN9rocsparseL42gtsv_transpose_and_pad_array_shared_kernelILj256ELj16E21rocsparse_complex_numIfEEEviiiPKT1_PS3_S3_
                                        ; -- End function
	.set _ZN9rocsparseL42gtsv_transpose_and_pad_array_shared_kernelILj256ELj16E21rocsparse_complex_numIfEEEviiiPKT1_PS3_S3_.num_vgpr, 6
	.set _ZN9rocsparseL42gtsv_transpose_and_pad_array_shared_kernelILj256ELj16E21rocsparse_complex_numIfEEEviiiPKT1_PS3_S3_.num_agpr, 0
	.set _ZN9rocsparseL42gtsv_transpose_and_pad_array_shared_kernelILj256ELj16E21rocsparse_complex_numIfEEEviiiPKT1_PS3_S3_.numbered_sgpr, 12
	.set _ZN9rocsparseL42gtsv_transpose_and_pad_array_shared_kernelILj256ELj16E21rocsparse_complex_numIfEEEviiiPKT1_PS3_S3_.num_named_barrier, 0
	.set _ZN9rocsparseL42gtsv_transpose_and_pad_array_shared_kernelILj256ELj16E21rocsparse_complex_numIfEEEviiiPKT1_PS3_S3_.private_seg_size, 0
	.set _ZN9rocsparseL42gtsv_transpose_and_pad_array_shared_kernelILj256ELj16E21rocsparse_complex_numIfEEEviiiPKT1_PS3_S3_.uses_vcc, 1
	.set _ZN9rocsparseL42gtsv_transpose_and_pad_array_shared_kernelILj256ELj16E21rocsparse_complex_numIfEEEviiiPKT1_PS3_S3_.uses_flat_scratch, 0
	.set _ZN9rocsparseL42gtsv_transpose_and_pad_array_shared_kernelILj256ELj16E21rocsparse_complex_numIfEEEviiiPKT1_PS3_S3_.has_dyn_sized_stack, 0
	.set _ZN9rocsparseL42gtsv_transpose_and_pad_array_shared_kernelILj256ELj16E21rocsparse_complex_numIfEEEviiiPKT1_PS3_S3_.has_recursion, 0
	.set _ZN9rocsparseL42gtsv_transpose_and_pad_array_shared_kernelILj256ELj16E21rocsparse_complex_numIfEEEviiiPKT1_PS3_S3_.has_indirect_call, 0
	.section	.AMDGPU.csdata,"",@progbits
; Kernel info:
; codeLenInByte = 232
; TotalNumSgprs: 18
; NumVgprs: 6
; NumAgprs: 0
; TotalNumVgprs: 6
; ScratchSize: 0
; MemoryBound: 0
; FloatMode: 240
; IeeeMode: 1
; LDSByteSize: 2048 bytes/workgroup (compile time only)
; SGPRBlocks: 2
; VGPRBlocks: 0
; NumSGPRsForWavesPerEU: 18
; NumVGPRsForWavesPerEU: 6
; AccumOffset: 8
; Occupancy: 8
; WaveLimiterHint : 0
; COMPUTE_PGM_RSRC2:SCRATCH_EN: 0
; COMPUTE_PGM_RSRC2:USER_SGPR: 2
; COMPUTE_PGM_RSRC2:TRAP_HANDLER: 0
; COMPUTE_PGM_RSRC2:TGID_X_EN: 1
; COMPUTE_PGM_RSRC2:TGID_Y_EN: 1
; COMPUTE_PGM_RSRC2:TGID_Z_EN: 0
; COMPUTE_PGM_RSRC2:TIDIG_COMP_CNT: 0
; COMPUTE_PGM_RSRC3_GFX90A:ACCUM_OFFSET: 1
; COMPUTE_PGM_RSRC3_GFX90A:TG_SPLIT: 0
	.section	.text._ZN9rocsparseL18gtsv_LBM_wv_kernelILj256ELj16E21rocsparse_complex_numIfEEEviiiPKT1_S5_S5_PS3_S6_S6_Pi,"axG",@progbits,_ZN9rocsparseL18gtsv_LBM_wv_kernelILj256ELj16E21rocsparse_complex_numIfEEEviiiPKT1_S5_S5_PS3_S6_S6_Pi,comdat
	.globl	_ZN9rocsparseL18gtsv_LBM_wv_kernelILj256ELj16E21rocsparse_complex_numIfEEEviiiPKT1_S5_S5_PS3_S6_S6_Pi ; -- Begin function _ZN9rocsparseL18gtsv_LBM_wv_kernelILj256ELj16E21rocsparse_complex_numIfEEEviiiPKT1_S5_S5_PS3_S6_S6_Pi
	.p2align	8
	.type	_ZN9rocsparseL18gtsv_LBM_wv_kernelILj256ELj16E21rocsparse_complex_numIfEEEviiiPKT1_S5_S5_PS3_S6_S6_Pi,@function
_ZN9rocsparseL18gtsv_LBM_wv_kernelILj256ELj16E21rocsparse_complex_numIfEEEviiiPKT1_S5_S5_PS3_S6_S6_Pi: ; @_ZN9rocsparseL18gtsv_LBM_wv_kernelILj256ELj16E21rocsparse_complex_numIfEEEviiiPKT1_S5_S5_PS3_S6_S6_Pi
; %bb.0:
	s_load_dword s29, s[0:1], 0x0
	v_lshl_or_b32 v0, s2, 8, v0
	s_waitcnt lgkmcnt(0)
	s_lshr_b32 s28, s29, 4
	v_cmp_gt_i32_e32 vcc, s28, v0
	s_and_saveexec_b64 s[2:3], vcc
	s_cbranch_execz .LBB218_72
; %bb.1:
	s_load_dwordx2 s[16:17], s[0:1], 0x10
	s_load_dwordx8 s[8:15], s[0:1], 0x20
	v_ashrrev_i32_e32 v1, 31, v0
	s_mul_i32 s30, s28, 15
	v_lshlrev_b64 v[2:3], 3, v[0:1]
	v_add_u32_e32 v6, s30, v0
	v_mov_b32_e32 v7, 0
	s_waitcnt lgkmcnt(0)
	v_lshl_add_u64 v[4:5], s[16:17], 0, v[2:3]
	v_lshlrev_b64 v[8:9], 3, v[6:7]
	global_load_dwordx2 v[4:5], v[4:5], off
	v_lshl_add_u64 v[10:11], s[8:9], 0, v[8:9]
	global_load_dwordx2 v[10:11], v[10:11], off
	s_load_dwordx2 s[6:7], s[0:1], 0x40
	v_lshl_add_u64 v[2:3], s[10:11], 0, v[2:3]
	s_cmp_lt_i32 s29, 1
	v_add_u32_e32 v46, s28, v0
	v_lshl_add_u64 v[8:9], s[12:13], 0, v[8:9]
	s_waitcnt vmcnt(1)
	global_store_dwordx2 v[2:3], v[4:5], off
	s_waitcnt vmcnt(1)
	global_store_dwordx2 v[8:9], v[10:11], off
	v_mov_b32_e32 v4, v7
	s_cbranch_scc1 .LBB218_65
; %bb.2:
	s_load_dwordx2 s[18:19], s[0:1], 0x18
	s_mov_b32 s22, 0x372fe950
	s_mul_i32 s31, s28, 14
	s_lshl_b32 s33, s28, 1
	v_mov_b32_e32 v50, 0
	s_waitcnt lgkmcnt(0)
	v_lshl_add_u64 v[4:5], v[0:1], 3, s[18:19]
	global_load_dwordx2 v[6:7], v[4:5], off
	v_add_u32_e32 v1, s28, v46
	s_mov_b64 s[20:21], 0
	s_mov_b32 s34, 0xf800000
	v_mov_b32_e32 v47, 0x260
	s_mov_b32 s23, 0x3fe3c6ef
	v_mov_b32_e32 v48, 2
	v_mov_b32_e32 v49, 1
	;; [unrolled: 1-line block ×3, first 2 shown]
	s_branch .LBB218_5
.LBB218_3:                              ;   in Loop: Header=BB218_5 Depth=1
	s_or_b64 exec, exec, s[4:5]
	v_xor_b32_e32 v8, 0x80000000, v25
	v_mov_b32_e32 v9, v24
	v_pk_mul_f32 v[8:9], v[16:17], v[8:9] op_sel_hi:[0,1]
	v_pk_fma_f32 v[6:7], v[24:25], v[6:7], v[8:9] op_sel_hi:[1,0,1]
	v_mov_b32_e32 v5, s28
	v_pk_add_f32 v[6:7], v[12:13], v[6:7] neg_lo:[0,1] neg_hi:[0,1]
.LBB218_4:                              ;   in Loop: Header=BB218_5 Depth=1
	s_or_b64 exec, exec, s[2:3]
	v_add_u32_e32 v4, v5, v4
	v_cmp_le_i32_e32 vcc, s29, v4
	s_or_b64 s[20:21], vcc, s[20:21]
	s_andn2_b64 exec, exec, s[20:21]
	s_cbranch_execz .LBB218_64
.LBB218_5:                              ; =>This Inner Loop Header: Depth=1
	v_add_u32_e32 v20, v4, v0
	v_ashrrev_i32_e32 v21, 31, v20
	v_lshl_add_u64 v[8:9], v[20:21], 3, s[8:9]
	global_load_dwordx2 v[14:15], v[8:9], off
	v_cmp_gt_u32_e64 s[0:1], s30, v4
	v_mov_b32_e32 v8, 0
	v_mov_b32_e32 v9, 0
	s_and_saveexec_b64 s[2:3], s[0:1]
	s_cbranch_execz .LBB218_7
; %bb.6:                                ;   in Loop: Header=BB218_5 Depth=1
	v_add_u32_e32 v8, v46, v4
	v_ashrrev_i32_e32 v9, 31, v8
	v_lshl_add_u64 v[8:9], v[8:9], 3, s[16:17]
	global_load_dwordx2 v[8:9], v[8:9], off
.LBB218_7:                              ;   in Loop: Header=BB218_5 Depth=1
	s_or_b64 exec, exec, s[2:3]
	v_mov_b32_e32 v11, 0
	v_mov_b32_e32 v12, 0
	;; [unrolled: 1-line block ×3, first 2 shown]
	s_and_saveexec_b64 s[2:3], s[0:1]
	s_cbranch_execz .LBB218_9
; %bb.8:                                ;   in Loop: Header=BB218_5 Depth=1
	v_add_u32_e32 v12, v46, v4
	v_ashrrev_i32_e32 v13, 31, v12
	v_lshl_add_u64 v[12:13], v[12:13], 3, s[18:19]
	global_load_dwordx2 v[12:13], v[12:13], off
.LBB218_9:                              ;   in Loop: Header=BB218_5 Depth=1
	s_or_b64 exec, exec, s[2:3]
	v_mov_b32_e32 v16, 0
	s_and_saveexec_b64 s[2:3], s[0:1]
	s_cbranch_execz .LBB218_11
; %bb.10:                               ;   in Loop: Header=BB218_5 Depth=1
	v_add_u32_e32 v10, v46, v4
	v_ashrrev_i32_e32 v11, 31, v10
	v_lshl_add_u64 v[10:11], v[10:11], 3, s[8:9]
	global_load_dwordx2 v[16:17], v[10:11], off
	s_waitcnt vmcnt(0)
	v_mov_b32_e32 v11, v16
	v_mov_b32_e32 v16, v17
.LBB218_11:                             ;   in Loop: Header=BB218_5 Depth=1
	s_or_b64 exec, exec, s[2:3]
	v_cmp_gt_u32_e64 s[2:3], s31, v4
	v_mov_b32_e32 v18, 0
	v_mov_b32_e32 v19, 0
	s_and_saveexec_b64 s[4:5], s[2:3]
	s_cbranch_execz .LBB218_13
; %bb.12:                               ;   in Loop: Header=BB218_5 Depth=1
	v_add_u32_e32 v18, v1, v4
	v_ashrrev_i32_e32 v19, 31, v18
	v_lshl_add_u64 v[18:19], v[18:19], 3, s[16:17]
	global_load_dwordx2 v[18:19], v[18:19], off
.LBB218_13:                             ;   in Loop: Header=BB218_5 Depth=1
	s_or_b64 exec, exec, s[4:5]
	s_waitcnt vmcnt(0)
	v_cmp_gt_f32_e32 vcc, 0, v8
                                        ; implicit-def: $vgpr5
	s_nop 1
	v_cndmask_b32_e64 v10, v8, -v8, vcc
	v_cmp_gt_f32_e32 vcc, 0, v9
	s_nop 1
	v_cndmask_b32_e64 v17, v9, -v9, vcc
	v_cmp_ngt_f32_e32 vcc, v10, v17
	s_and_saveexec_b64 s[4:5], vcc
	s_xor_b64 s[24:25], exec, s[4:5]
	s_cbranch_execz .LBB218_17
; %bb.14:                               ;   in Loop: Header=BB218_5 Depth=1
	v_mov_b32_e32 v5, 0
	v_cmp_neq_f32_e32 vcc, 0, v9
	s_and_saveexec_b64 s[26:27], vcc
	s_cbranch_execz .LBB218_16
; %bb.15:                               ;   in Loop: Header=BB218_5 Depth=1
	v_div_scale_f32 v5, s[4:5], v17, v17, v10
	v_rcp_f32_e32 v22, v5
	v_div_scale_f32 v23, vcc, v10, v17, v10
	v_fma_f32 v24, -v5, v22, 1.0
	v_fmac_f32_e32 v22, v24, v22
	v_mul_f32_e32 v24, v23, v22
	v_fma_f32 v25, -v5, v24, v23
	v_fmac_f32_e32 v24, v25, v22
	v_fma_f32 v5, -v5, v24, v23
	v_div_fmas_f32 v5, v5, v22, v24
	v_div_fixup_f32 v5, v5, v17, v10
	v_fma_f32 v5, v5, v5, 1.0
	v_mul_f32_e32 v10, 0x4f800000, v5
	v_cmp_gt_f32_e32 vcc, s34, v5
	s_nop 1
	v_cndmask_b32_e32 v5, v5, v10, vcc
	v_sqrt_f32_e32 v10, v5
	s_nop 0
	v_add_u32_e32 v22, -1, v10
	v_fma_f32 v23, -v22, v10, v5
	v_cmp_ge_f32_e64 s[4:5], 0, v23
	v_add_u32_e32 v23, 1, v10
	s_nop 0
	v_cndmask_b32_e64 v22, v10, v22, s[4:5]
	v_fma_f32 v10, -v23, v10, v5
	v_cmp_lt_f32_e64 s[4:5], 0, v10
	s_nop 1
	v_cndmask_b32_e64 v10, v22, v23, s[4:5]
	v_mul_f32_e32 v22, 0x37800000, v10
	v_cndmask_b32_e32 v10, v10, v22, vcc
	v_cmp_class_f32_e32 vcc, v5, v47
	s_nop 1
	v_cndmask_b32_e32 v5, v10, v5, vcc
	v_mul_f32_e32 v5, v17, v5
.LBB218_16:                             ;   in Loop: Header=BB218_5 Depth=1
	s_or_b64 exec, exec, s[26:27]
                                        ; implicit-def: $vgpr10
                                        ; implicit-def: $vgpr17
.LBB218_17:                             ;   in Loop: Header=BB218_5 Depth=1
	s_andn2_saveexec_b64 s[24:25], s[24:25]
	s_cbranch_execz .LBB218_19
; %bb.18:                               ;   in Loop: Header=BB218_5 Depth=1
	v_div_scale_f32 v5, s[4:5], v10, v10, v17
	v_rcp_f32_e32 v22, v5
	v_div_scale_f32 v23, vcc, v17, v10, v17
	v_fma_f32 v24, -v5, v22, 1.0
	v_fmac_f32_e32 v22, v24, v22
	v_mul_f32_e32 v24, v23, v22
	v_fma_f32 v25, -v5, v24, v23
	v_fmac_f32_e32 v24, v25, v22
	v_fma_f32 v5, -v5, v24, v23
	v_div_fmas_f32 v5, v5, v22, v24
	v_div_fixup_f32 v5, v5, v10, v17
	v_fma_f32 v5, v5, v5, 1.0
	v_mul_f32_e32 v17, 0x4f800000, v5
	v_cmp_gt_f32_e32 vcc, s34, v5
	s_nop 1
	v_cndmask_b32_e32 v5, v5, v17, vcc
	v_sqrt_f32_e32 v17, v5
	s_nop 0
	v_add_u32_e32 v22, -1, v17
	v_fma_f32 v23, -v22, v17, v5
	v_cmp_ge_f32_e64 s[4:5], 0, v23
	v_add_u32_e32 v23, 1, v17
	s_nop 0
	v_cndmask_b32_e64 v22, v17, v22, s[4:5]
	v_fma_f32 v17, -v23, v17, v5
	v_cmp_lt_f32_e64 s[4:5], 0, v17
	s_nop 1
	v_cndmask_b32_e64 v17, v22, v23, s[4:5]
	v_mul_f32_e32 v22, 0x37800000, v17
	v_cndmask_b32_e32 v17, v17, v22, vcc
	v_cmp_class_f32_e32 vcc, v5, v47
	s_nop 1
	v_cndmask_b32_e32 v5, v17, v5, vcc
	v_mul_f32_e32 v5, v10, v5
.LBB218_19:                             ;   in Loop: Header=BB218_5 Depth=1
	s_or_b64 exec, exec, s[24:25]
	v_cmp_gt_f32_e32 vcc, 0, v18
                                        ; implicit-def: $vgpr10
	s_nop 1
	v_cndmask_b32_e64 v17, v18, -v18, vcc
	v_cmp_gt_f32_e32 vcc, 0, v19
	s_nop 1
	v_cndmask_b32_e64 v22, v19, -v19, vcc
	v_cmp_ngt_f32_e32 vcc, v17, v22
	s_and_saveexec_b64 s[4:5], vcc
	s_xor_b64 s[24:25], exec, s[4:5]
	s_cbranch_execz .LBB218_23
; %bb.20:                               ;   in Loop: Header=BB218_5 Depth=1
	v_mov_b32_e32 v10, 0
	v_cmp_neq_f32_e32 vcc, 0, v19
	s_and_saveexec_b64 s[26:27], vcc
	s_cbranch_execz .LBB218_22
; %bb.21:                               ;   in Loop: Header=BB218_5 Depth=1
	v_div_scale_f32 v10, s[4:5], v22, v22, v17
	v_rcp_f32_e32 v23, v10
	v_div_scale_f32 v24, vcc, v17, v22, v17
	v_fma_f32 v25, -v10, v23, 1.0
	v_fmac_f32_e32 v23, v25, v23
	v_mul_f32_e32 v25, v24, v23
	v_fma_f32 v26, -v10, v25, v24
	v_fmac_f32_e32 v25, v26, v23
	v_fma_f32 v10, -v10, v25, v24
	v_div_fmas_f32 v10, v10, v23, v25
	v_div_fixup_f32 v10, v10, v22, v17
	v_fma_f32 v10, v10, v10, 1.0
	v_mul_f32_e32 v17, 0x4f800000, v10
	v_cmp_gt_f32_e32 vcc, s34, v10
	s_nop 1
	v_cndmask_b32_e32 v10, v10, v17, vcc
	v_sqrt_f32_e32 v17, v10
	s_nop 0
	v_add_u32_e32 v23, -1, v17
	v_fma_f32 v24, -v23, v17, v10
	v_cmp_ge_f32_e64 s[4:5], 0, v24
	v_add_u32_e32 v24, 1, v17
	s_nop 0
	v_cndmask_b32_e64 v23, v17, v23, s[4:5]
	v_fma_f32 v17, -v24, v17, v10
	v_cmp_lt_f32_e64 s[4:5], 0, v17
	s_nop 1
	v_cndmask_b32_e64 v17, v23, v24, s[4:5]
	v_mul_f32_e32 v23, 0x37800000, v17
	v_cndmask_b32_e32 v17, v17, v23, vcc
	v_cmp_class_f32_e32 vcc, v10, v47
	s_nop 1
	v_cndmask_b32_e32 v10, v17, v10, vcc
	v_mul_f32_e32 v10, v22, v10
.LBB218_22:                             ;   in Loop: Header=BB218_5 Depth=1
	s_or_b64 exec, exec, s[26:27]
                                        ; implicit-def: $vgpr17
                                        ; implicit-def: $vgpr22
.LBB218_23:                             ;   in Loop: Header=BB218_5 Depth=1
	s_andn2_saveexec_b64 s[24:25], s[24:25]
	s_cbranch_execz .LBB218_25
; %bb.24:                               ;   in Loop: Header=BB218_5 Depth=1
	v_div_scale_f32 v10, s[4:5], v17, v17, v22
	v_rcp_f32_e32 v23, v10
	v_div_scale_f32 v24, vcc, v22, v17, v22
	v_fma_f32 v25, -v10, v23, 1.0
	v_fmac_f32_e32 v23, v25, v23
	v_mul_f32_e32 v25, v24, v23
	v_fma_f32 v26, -v10, v25, v24
	v_fmac_f32_e32 v25, v26, v23
	v_fma_f32 v10, -v10, v25, v24
	v_div_fmas_f32 v10, v10, v23, v25
	v_div_fixup_f32 v10, v10, v17, v22
	v_fma_f32 v10, v10, v10, 1.0
	v_mul_f32_e32 v22, 0x4f800000, v10
	v_cmp_gt_f32_e32 vcc, s34, v10
	s_nop 1
	v_cndmask_b32_e32 v10, v10, v22, vcc
	v_sqrt_f32_e32 v22, v10
	s_nop 0
	v_add_u32_e32 v23, -1, v22
	v_fma_f32 v24, -v23, v22, v10
	v_cmp_ge_f32_e64 s[4:5], 0, v24
	v_add_u32_e32 v24, 1, v22
	s_nop 0
	v_cndmask_b32_e64 v23, v22, v23, s[4:5]
	v_fma_f32 v22, -v24, v22, v10
	v_cmp_lt_f32_e64 s[4:5], 0, v22
	s_nop 1
	v_cndmask_b32_e64 v22, v23, v24, s[4:5]
	v_mul_f32_e32 v23, 0x37800000, v22
	v_cndmask_b32_e32 v22, v22, v23, vcc
	v_cmp_class_f32_e32 vcc, v10, v47
	s_nop 1
	v_cndmask_b32_e32 v10, v22, v10, vcc
	v_mul_f32_e32 v10, v17, v10
.LBB218_25:                             ;   in Loop: Header=BB218_5 Depth=1
	s_or_b64 exec, exec, s[24:25]
	v_cmp_gt_f32_e32 vcc, 0, v12
                                        ; implicit-def: $vgpr17
	s_nop 1
	v_cndmask_b32_e64 v22, v12, -v12, vcc
	v_cmp_gt_f32_e32 vcc, 0, v13
	s_nop 1
	v_cndmask_b32_e64 v23, v13, -v13, vcc
	v_cmp_ngt_f32_e32 vcc, v22, v23
	s_and_saveexec_b64 s[4:5], vcc
	s_xor_b64 s[24:25], exec, s[4:5]
	s_cbranch_execz .LBB218_29
; %bb.26:                               ;   in Loop: Header=BB218_5 Depth=1
	v_mov_b32_e32 v17, 0
	v_cmp_neq_f32_e32 vcc, 0, v13
	s_and_saveexec_b64 s[26:27], vcc
	s_cbranch_execz .LBB218_28
; %bb.27:                               ;   in Loop: Header=BB218_5 Depth=1
	v_div_scale_f32 v17, s[4:5], v23, v23, v22
	v_rcp_f32_e32 v24, v17
	v_div_scale_f32 v25, vcc, v22, v23, v22
	v_fma_f32 v26, -v17, v24, 1.0
	v_fmac_f32_e32 v24, v26, v24
	v_mul_f32_e32 v26, v25, v24
	v_fma_f32 v27, -v17, v26, v25
	v_fmac_f32_e32 v26, v27, v24
	v_fma_f32 v17, -v17, v26, v25
	v_div_fmas_f32 v17, v17, v24, v26
	v_div_fixup_f32 v17, v17, v23, v22
	v_fma_f32 v17, v17, v17, 1.0
	v_mul_f32_e32 v22, 0x4f800000, v17
	v_cmp_gt_f32_e32 vcc, s34, v17
	s_nop 1
	v_cndmask_b32_e32 v17, v17, v22, vcc
	v_sqrt_f32_e32 v22, v17
	s_nop 0
	v_add_u32_e32 v24, -1, v22
	v_fma_f32 v25, -v24, v22, v17
	v_cmp_ge_f32_e64 s[4:5], 0, v25
	v_add_u32_e32 v25, 1, v22
	s_nop 0
	v_cndmask_b32_e64 v24, v22, v24, s[4:5]
	v_fma_f32 v22, -v25, v22, v17
	v_cmp_lt_f32_e64 s[4:5], 0, v22
	s_nop 1
	v_cndmask_b32_e64 v22, v24, v25, s[4:5]
	v_mul_f32_e32 v24, 0x37800000, v22
	v_cndmask_b32_e32 v22, v22, v24, vcc
	v_cmp_class_f32_e32 vcc, v17, v47
	s_nop 1
	v_cndmask_b32_e32 v17, v22, v17, vcc
	v_mul_f32_e32 v17, v23, v17
.LBB218_28:                             ;   in Loop: Header=BB218_5 Depth=1
	s_or_b64 exec, exec, s[26:27]
                                        ; implicit-def: $vgpr22
                                        ; implicit-def: $vgpr23
.LBB218_29:                             ;   in Loop: Header=BB218_5 Depth=1
	s_andn2_saveexec_b64 s[24:25], s[24:25]
	s_cbranch_execz .LBB218_31
; %bb.30:                               ;   in Loop: Header=BB218_5 Depth=1
	v_div_scale_f32 v17, s[4:5], v22, v22, v23
	v_rcp_f32_e32 v24, v17
	v_div_scale_f32 v25, vcc, v23, v22, v23
	v_fma_f32 v26, -v17, v24, 1.0
	v_fmac_f32_e32 v24, v26, v24
	v_mul_f32_e32 v26, v25, v24
	v_fma_f32 v27, -v17, v26, v25
	v_fmac_f32_e32 v26, v27, v24
	v_fma_f32 v17, -v17, v26, v25
	v_div_fmas_f32 v17, v17, v24, v26
	v_div_fixup_f32 v17, v17, v22, v23
	v_fma_f32 v17, v17, v17, 1.0
	v_mul_f32_e32 v23, 0x4f800000, v17
	v_cmp_gt_f32_e32 vcc, s34, v17
	s_nop 1
	v_cndmask_b32_e32 v17, v17, v23, vcc
	v_sqrt_f32_e32 v23, v17
	s_nop 0
	v_add_u32_e32 v24, -1, v23
	v_fma_f32 v25, -v24, v23, v17
	v_cmp_ge_f32_e64 s[4:5], 0, v25
	v_add_u32_e32 v25, 1, v23
	s_nop 0
	v_cndmask_b32_e64 v24, v23, v24, s[4:5]
	v_fma_f32 v23, -v25, v23, v17
	v_cmp_lt_f32_e64 s[4:5], 0, v23
	s_nop 1
	v_cndmask_b32_e64 v23, v24, v25, s[4:5]
	v_mul_f32_e32 v24, 0x37800000, v23
	v_cndmask_b32_e32 v23, v23, v24, vcc
	v_cmp_class_f32_e32 vcc, v17, v47
	s_nop 1
	v_cndmask_b32_e32 v17, v23, v17, vcc
	v_mul_f32_e32 v17, v22, v17
.LBB218_31:                             ;   in Loop: Header=BB218_5 Depth=1
	s_or_b64 exec, exec, s[24:25]
	v_cmp_gt_f32_e32 vcc, 0, v14
                                        ; implicit-def: $vgpr28
	s_nop 1
	v_cndmask_b32_e64 v22, v14, -v14, vcc
	v_cmp_gt_f32_e32 vcc, 0, v15
	s_nop 1
	v_cndmask_b32_e64 v23, v15, -v15, vcc
	v_cmp_ngt_f32_e32 vcc, v22, v23
	s_and_saveexec_b64 s[4:5], vcc
	s_xor_b64 s[24:25], exec, s[4:5]
	s_cbranch_execz .LBB218_35
; %bb.32:                               ;   in Loop: Header=BB218_5 Depth=1
	v_mov_b32_e32 v28, 0
	v_cmp_neq_f32_e32 vcc, 0, v15
	s_and_saveexec_b64 s[26:27], vcc
	s_cbranch_execz .LBB218_34
; %bb.33:                               ;   in Loop: Header=BB218_5 Depth=1
	v_div_scale_f32 v24, s[4:5], v23, v23, v22
	v_rcp_f32_e32 v25, v24
	v_div_scale_f32 v26, vcc, v22, v23, v22
	v_fma_f32 v27, -v24, v25, 1.0
	v_fmac_f32_e32 v25, v27, v25
	v_mul_f32_e32 v27, v26, v25
	v_fma_f32 v28, -v24, v27, v26
	v_fmac_f32_e32 v27, v28, v25
	v_fma_f32 v24, -v24, v27, v26
	v_div_fmas_f32 v24, v24, v25, v27
	v_div_fixup_f32 v22, v24, v23, v22
	v_fma_f32 v22, v22, v22, 1.0
	v_mul_f32_e32 v24, 0x4f800000, v22
	v_cmp_gt_f32_e32 vcc, s34, v22
	s_nop 1
	v_cndmask_b32_e32 v22, v22, v24, vcc
	v_sqrt_f32_e32 v24, v22
	s_nop 0
	v_add_u32_e32 v25, -1, v24
	v_fma_f32 v26, -v25, v24, v22
	v_cmp_ge_f32_e64 s[4:5], 0, v26
	v_add_u32_e32 v26, 1, v24
	s_nop 0
	v_cndmask_b32_e64 v25, v24, v25, s[4:5]
	v_fma_f32 v24, -v26, v24, v22
	v_cmp_lt_f32_e64 s[4:5], 0, v24
	s_nop 1
	v_cndmask_b32_e64 v24, v25, v26, s[4:5]
	v_mul_f32_e32 v25, 0x37800000, v24
	v_cndmask_b32_e32 v24, v24, v25, vcc
	v_cmp_class_f32_e32 vcc, v22, v47
	s_nop 1
	v_cndmask_b32_e32 v22, v24, v22, vcc
	v_mul_f32_e32 v28, v23, v22
.LBB218_34:                             ;   in Loop: Header=BB218_5 Depth=1
	s_or_b64 exec, exec, s[26:27]
                                        ; implicit-def: $vgpr22
                                        ; implicit-def: $vgpr23
.LBB218_35:                             ;   in Loop: Header=BB218_5 Depth=1
	s_andn2_saveexec_b64 s[24:25], s[24:25]
	s_cbranch_execz .LBB218_37
; %bb.36:                               ;   in Loop: Header=BB218_5 Depth=1
	v_div_scale_f32 v24, s[4:5], v22, v22, v23
	v_rcp_f32_e32 v25, v24
	v_div_scale_f32 v26, vcc, v23, v22, v23
	v_fma_f32 v27, -v24, v25, 1.0
	v_fmac_f32_e32 v25, v27, v25
	v_mul_f32_e32 v27, v26, v25
	v_fma_f32 v28, -v24, v27, v26
	v_fmac_f32_e32 v27, v28, v25
	v_fma_f32 v24, -v24, v27, v26
	v_div_fmas_f32 v24, v24, v25, v27
	v_div_fixup_f32 v23, v24, v22, v23
	v_fma_f32 v23, v23, v23, 1.0
	v_mul_f32_e32 v24, 0x4f800000, v23
	v_cmp_gt_f32_e32 vcc, s34, v23
	s_nop 1
	v_cndmask_b32_e32 v23, v23, v24, vcc
	v_sqrt_f32_e32 v24, v23
	s_nop 0
	v_add_u32_e32 v25, -1, v24
	v_fma_f32 v26, -v25, v24, v23
	v_cmp_ge_f32_e64 s[4:5], 0, v26
	v_add_u32_e32 v26, 1, v24
	s_nop 0
	v_cndmask_b32_e64 v25, v24, v25, s[4:5]
	v_fma_f32 v24, -v26, v24, v23
	v_cmp_lt_f32_e64 s[4:5], 0, v24
	s_nop 1
	v_cndmask_b32_e64 v24, v25, v26, s[4:5]
	v_mul_f32_e32 v25, 0x37800000, v24
	v_cndmask_b32_e32 v24, v24, v25, vcc
	v_cmp_class_f32_e32 vcc, v23, v47
	s_nop 1
	v_cndmask_b32_e32 v23, v24, v23, vcc
	v_mul_f32_e32 v28, v22, v23
.LBB218_37:                             ;   in Loop: Header=BB218_5 Depth=1
	s_or_b64 exec, exec, s[24:25]
	v_cmp_gt_f32_e32 vcc, 0, v11
                                        ; implicit-def: $vgpr29
	s_nop 1
	v_cndmask_b32_e64 v22, v11, -v11, vcc
	v_cmp_gt_f32_e32 vcc, 0, v16
	s_nop 1
	v_cndmask_b32_e64 v23, v16, -v16, vcc
	v_cmp_ngt_f32_e32 vcc, v22, v23
	s_and_saveexec_b64 s[4:5], vcc
	s_xor_b64 s[24:25], exec, s[4:5]
	s_cbranch_execz .LBB218_41
; %bb.38:                               ;   in Loop: Header=BB218_5 Depth=1
	v_mov_b32_e32 v29, 0
	v_cmp_neq_f32_e32 vcc, 0, v16
	s_and_saveexec_b64 s[26:27], vcc
	s_cbranch_execz .LBB218_40
; %bb.39:                               ;   in Loop: Header=BB218_5 Depth=1
	v_div_scale_f32 v24, s[4:5], v23, v23, v22
	v_rcp_f32_e32 v25, v24
	v_div_scale_f32 v26, vcc, v22, v23, v22
	v_fma_f32 v27, -v24, v25, 1.0
	v_fmac_f32_e32 v25, v27, v25
	v_mul_f32_e32 v27, v26, v25
	v_fma_f32 v29, -v24, v27, v26
	v_fmac_f32_e32 v27, v29, v25
	v_fma_f32 v24, -v24, v27, v26
	v_div_fmas_f32 v24, v24, v25, v27
	v_div_fixup_f32 v22, v24, v23, v22
	v_fma_f32 v22, v22, v22, 1.0
	v_mul_f32_e32 v24, 0x4f800000, v22
	v_cmp_gt_f32_e32 vcc, s34, v22
	s_nop 1
	v_cndmask_b32_e32 v22, v22, v24, vcc
	v_sqrt_f32_e32 v24, v22
	s_nop 0
	v_add_u32_e32 v25, -1, v24
	v_fma_f32 v26, -v25, v24, v22
	v_cmp_ge_f32_e64 s[4:5], 0, v26
	v_add_u32_e32 v26, 1, v24
	s_nop 0
	v_cndmask_b32_e64 v25, v24, v25, s[4:5]
	v_fma_f32 v24, -v26, v24, v22
	v_cmp_lt_f32_e64 s[4:5], 0, v24
	s_nop 1
	v_cndmask_b32_e64 v24, v25, v26, s[4:5]
	v_mul_f32_e32 v25, 0x37800000, v24
	v_cndmask_b32_e32 v24, v24, v25, vcc
	v_cmp_class_f32_e32 vcc, v22, v47
	s_nop 1
	v_cndmask_b32_e32 v22, v24, v22, vcc
	v_mul_f32_e32 v29, v23, v22
.LBB218_40:                             ;   in Loop: Header=BB218_5 Depth=1
	s_or_b64 exec, exec, s[26:27]
                                        ; implicit-def: $vgpr22
                                        ; implicit-def: $vgpr23
.LBB218_41:                             ;   in Loop: Header=BB218_5 Depth=1
	s_andn2_saveexec_b64 s[24:25], s[24:25]
	s_cbranch_execz .LBB218_43
; %bb.42:                               ;   in Loop: Header=BB218_5 Depth=1
	v_div_scale_f32 v24, s[4:5], v22, v22, v23
	v_rcp_f32_e32 v25, v24
	v_div_scale_f32 v26, vcc, v23, v22, v23
	v_fma_f32 v27, -v24, v25, 1.0
	v_fmac_f32_e32 v25, v27, v25
	v_mul_f32_e32 v27, v26, v25
	v_fma_f32 v29, -v24, v27, v26
	v_fmac_f32_e32 v27, v29, v25
	v_fma_f32 v24, -v24, v27, v26
	v_div_fmas_f32 v24, v24, v25, v27
	v_div_fixup_f32 v23, v24, v22, v23
	v_fma_f32 v23, v23, v23, 1.0
	v_mul_f32_e32 v24, 0x4f800000, v23
	v_cmp_gt_f32_e32 vcc, s34, v23
	s_nop 1
	v_cndmask_b32_e32 v23, v23, v24, vcc
	v_sqrt_f32_e32 v24, v23
	s_nop 0
	v_add_u32_e32 v25, -1, v24
	v_fma_f32 v26, -v25, v24, v23
	v_cmp_ge_f32_e64 s[4:5], 0, v26
	v_add_u32_e32 v26, 1, v24
	s_nop 0
	v_cndmask_b32_e64 v25, v24, v25, s[4:5]
	v_fma_f32 v24, -v26, v24, v23
	v_cmp_lt_f32_e64 s[4:5], 0, v24
	s_nop 1
	v_cndmask_b32_e64 v24, v25, v26, s[4:5]
	v_mul_f32_e32 v25, 0x37800000, v24
	v_cndmask_b32_e32 v24, v24, v25, vcc
	v_cmp_class_f32_e32 vcc, v23, v47
	s_nop 1
	v_cndmask_b32_e32 v23, v24, v23, vcc
	v_mul_f32_e32 v29, v22, v23
.LBB218_43:                             ;   in Loop: Header=BB218_5 Depth=1
	s_or_b64 exec, exec, s[24:25]
	v_cmp_gt_f32_e32 vcc, 0, v6
                                        ; implicit-def: $vgpr30
	s_nop 1
	v_cndmask_b32_e64 v22, v6, -v6, vcc
	v_cmp_gt_f32_e32 vcc, 0, v7
	s_nop 1
	v_cndmask_b32_e64 v23, v7, -v7, vcc
	v_cmp_ngt_f32_e32 vcc, v22, v23
	s_and_saveexec_b64 s[4:5], vcc
	s_xor_b64 s[24:25], exec, s[4:5]
	s_cbranch_execz .LBB218_47
; %bb.44:                               ;   in Loop: Header=BB218_5 Depth=1
	v_mov_b32_e32 v30, 0
	v_cmp_neq_f32_e32 vcc, 0, v7
	s_and_saveexec_b64 s[26:27], vcc
	s_cbranch_execz .LBB218_46
; %bb.45:                               ;   in Loop: Header=BB218_5 Depth=1
	v_div_scale_f32 v24, s[4:5], v23, v23, v22
	v_rcp_f32_e32 v25, v24
	v_div_scale_f32 v26, vcc, v22, v23, v22
	v_fma_f32 v27, -v24, v25, 1.0
	v_fmac_f32_e32 v25, v27, v25
	v_mul_f32_e32 v27, v26, v25
	v_fma_f32 v30, -v24, v27, v26
	v_fmac_f32_e32 v27, v30, v25
	v_fma_f32 v24, -v24, v27, v26
	v_div_fmas_f32 v24, v24, v25, v27
	v_div_fixup_f32 v22, v24, v23, v22
	v_fma_f32 v22, v22, v22, 1.0
	v_mul_f32_e32 v24, 0x4f800000, v22
	v_cmp_gt_f32_e32 vcc, s34, v22
	s_nop 1
	v_cndmask_b32_e32 v22, v22, v24, vcc
	v_sqrt_f32_e32 v24, v22
	s_nop 0
	v_add_u32_e32 v25, -1, v24
	v_fma_f32 v26, -v25, v24, v22
	v_cmp_ge_f32_e64 s[4:5], 0, v26
	v_add_u32_e32 v26, 1, v24
	s_nop 0
	v_cndmask_b32_e64 v25, v24, v25, s[4:5]
	v_fma_f32 v24, -v26, v24, v22
	v_cmp_lt_f32_e64 s[4:5], 0, v24
	s_nop 1
	v_cndmask_b32_e64 v24, v25, v26, s[4:5]
	v_mul_f32_e32 v25, 0x37800000, v24
	v_cndmask_b32_e32 v24, v24, v25, vcc
	v_cmp_class_f32_e32 vcc, v22, v47
	s_nop 1
	v_cndmask_b32_e32 v22, v24, v22, vcc
	v_mul_f32_e32 v30, v23, v22
.LBB218_46:                             ;   in Loop: Header=BB218_5 Depth=1
	s_or_b64 exec, exec, s[26:27]
                                        ; implicit-def: $vgpr22
                                        ; implicit-def: $vgpr23
.LBB218_47:                             ;   in Loop: Header=BB218_5 Depth=1
	s_andn2_saveexec_b64 s[24:25], s[24:25]
	s_cbranch_execz .LBB218_49
; %bb.48:                               ;   in Loop: Header=BB218_5 Depth=1
	v_div_scale_f32 v24, s[4:5], v22, v22, v23
	v_rcp_f32_e32 v25, v24
	v_div_scale_f32 v26, vcc, v23, v22, v23
	v_fma_f32 v27, -v24, v25, 1.0
	v_fmac_f32_e32 v25, v27, v25
	v_mul_f32_e32 v27, v26, v25
	v_fma_f32 v30, -v24, v27, v26
	v_fmac_f32_e32 v27, v30, v25
	v_fma_f32 v24, -v24, v27, v26
	v_div_fmas_f32 v24, v24, v25, v27
	v_div_fixup_f32 v23, v24, v22, v23
	v_fma_f32 v23, v23, v23, 1.0
	v_mul_f32_e32 v24, 0x4f800000, v23
	v_cmp_gt_f32_e32 vcc, s34, v23
	s_nop 1
	v_cndmask_b32_e32 v23, v23, v24, vcc
	v_sqrt_f32_e32 v24, v23
	s_nop 0
	v_add_u32_e32 v25, -1, v24
	v_fma_f32 v26, -v25, v24, v23
	v_cmp_ge_f32_e64 s[4:5], 0, v26
	v_add_u32_e32 v26, 1, v24
	s_nop 0
	v_cndmask_b32_e64 v25, v24, v25, s[4:5]
	v_fma_f32 v24, -v26, v24, v23
	v_cmp_lt_f32_e64 s[4:5], 0, v24
	s_nop 1
	v_cndmask_b32_e64 v24, v25, v26, s[4:5]
	v_mul_f32_e32 v25, 0x37800000, v24
	v_cndmask_b32_e32 v24, v24, v25, vcc
	v_cmp_class_f32_e32 vcc, v23, v47
	s_nop 1
	v_cndmask_b32_e32 v23, v24, v23, vcc
	v_mul_f32_e32 v30, v22, v23
.LBB218_49:                             ;   in Loop: Header=BB218_5 Depth=1
	s_or_b64 exec, exec, s[24:25]
	v_pk_add_f32 v[22:23], v[8:9], 0 neg_lo:[1,1] neg_hi:[1,1]
                                        ; implicit-def: $vgpr33
	s_nop 0
	v_pk_mov_b32 v[26:27], v[22:23], v[8:9] op_sel:[1,0]
	s_nop 0
	v_pk_mul_f32 v[24:25], v[14:15], v[26:27] op_sel:[1,0]
	s_nop 0
	v_pk_fma_f32 v[24:25], v[8:9], v[14:15], v[24:25] op_sel_hi:[1,0,1]
	s_nop 0
	v_cmp_gt_f32_e32 vcc, 0, v24
	s_nop 1
	v_cndmask_b32_e64 v31, v24, -v24, vcc
	v_cmp_gt_f32_e32 vcc, 0, v25
	s_nop 1
	v_cndmask_b32_e64 v32, v25, -v25, vcc
	v_cmp_ngt_f32_e32 vcc, v31, v32
	s_and_saveexec_b64 s[4:5], vcc
	s_xor_b64 s[24:25], exec, s[4:5]
	s_cbranch_execz .LBB218_53
; %bb.50:                               ;   in Loop: Header=BB218_5 Depth=1
	v_mov_b32_e32 v33, 0
	v_cmp_neq_f32_e32 vcc, 0, v25
	s_and_saveexec_b64 s[26:27], vcc
	s_cbranch_execz .LBB218_52
; %bb.51:                               ;   in Loop: Header=BB218_5 Depth=1
	v_div_scale_f32 v33, s[4:5], v32, v32, v31
	v_rcp_f32_e32 v34, v33
	v_div_scale_f32 v35, vcc, v31, v32, v31
	v_fma_f32 v36, -v33, v34, 1.0
	v_fmac_f32_e32 v34, v36, v34
	v_mul_f32_e32 v36, v35, v34
	v_fma_f32 v37, -v33, v36, v35
	v_fmac_f32_e32 v36, v37, v34
	v_fma_f32 v33, -v33, v36, v35
	v_div_fmas_f32 v33, v33, v34, v36
	v_div_fixup_f32 v31, v33, v32, v31
	v_fma_f32 v31, v31, v31, 1.0
	v_mul_f32_e32 v33, 0x4f800000, v31
	v_cmp_gt_f32_e32 vcc, s34, v31
	s_nop 1
	v_cndmask_b32_e32 v31, v31, v33, vcc
	v_sqrt_f32_e32 v33, v31
	s_nop 0
	v_add_u32_e32 v34, -1, v33
	v_fma_f32 v35, -v34, v33, v31
	v_cmp_ge_f32_e64 s[4:5], 0, v35
	v_add_u32_e32 v35, 1, v33
	s_nop 0
	v_cndmask_b32_e64 v34, v33, v34, s[4:5]
	v_fma_f32 v33, -v35, v33, v31
	v_cmp_lt_f32_e64 s[4:5], 0, v33
	s_nop 1
	v_cndmask_b32_e64 v33, v34, v35, s[4:5]
	v_mul_f32_e32 v34, 0x37800000, v33
	v_cndmask_b32_e32 v33, v33, v34, vcc
	v_cmp_class_f32_e32 vcc, v31, v47
	s_nop 1
	v_cndmask_b32_e32 v31, v33, v31, vcc
	v_mul_f32_e32 v33, v32, v31
.LBB218_52:                             ;   in Loop: Header=BB218_5 Depth=1
	s_or_b64 exec, exec, s[26:27]
                                        ; implicit-def: $vgpr31
                                        ; implicit-def: $vgpr32
.LBB218_53:                             ;   in Loop: Header=BB218_5 Depth=1
	s_andn2_saveexec_b64 s[24:25], s[24:25]
	s_cbranch_execz .LBB218_55
; %bb.54:                               ;   in Loop: Header=BB218_5 Depth=1
	v_div_scale_f32 v33, s[4:5], v31, v31, v32
	v_rcp_f32_e32 v34, v33
	v_div_scale_f32 v35, vcc, v32, v31, v32
	v_fma_f32 v36, -v33, v34, 1.0
	v_fmac_f32_e32 v34, v36, v34
	v_mul_f32_e32 v36, v35, v34
	v_fma_f32 v37, -v33, v36, v35
	v_fmac_f32_e32 v36, v37, v34
	v_fma_f32 v33, -v33, v36, v35
	v_div_fmas_f32 v33, v33, v34, v36
	v_div_fixup_f32 v32, v33, v31, v32
	v_fma_f32 v32, v32, v32, 1.0
	v_mul_f32_e32 v33, 0x4f800000, v32
	v_cmp_gt_f32_e32 vcc, s34, v32
	s_nop 1
	v_cndmask_b32_e32 v32, v32, v33, vcc
	v_sqrt_f32_e32 v33, v32
	s_nop 0
	v_add_u32_e32 v34, -1, v33
	v_fma_f32 v35, -v34, v33, v32
	v_cmp_ge_f32_e64 s[4:5], 0, v35
	v_add_u32_e32 v35, 1, v33
	s_nop 0
	v_cndmask_b32_e64 v34, v33, v34, s[4:5]
	v_fma_f32 v33, -v35, v33, v32
	v_cmp_lt_f32_e64 s[4:5], 0, v33
	s_nop 1
	v_cndmask_b32_e64 v33, v34, v35, s[4:5]
	v_mul_f32_e32 v34, 0x37800000, v33
	v_cndmask_b32_e32 v33, v33, v34, vcc
	v_cmp_class_f32_e32 vcc, v32, v47
	s_nop 1
	v_cndmask_b32_e32 v32, v33, v32, vcc
	v_mul_f32_e32 v33, v31, v32
.LBB218_55:                             ;   in Loop: Header=BB218_5 Depth=1
	s_or_b64 exec, exec, s[24:25]
	v_cmp_lt_f32_e32 vcc, v5, v10
	v_cvt_f64_f32_e32 v[30:31], v30
	v_cmp_ne_u32_e64 s[4:5], s30, v4
	v_cndmask_b32_e32 v5, v5, v10, vcc
	v_cmp_lt_f32_e32 vcc, v17, v5
	s_nop 1
	v_cndmask_b32_e32 v5, v17, v5, vcc
	v_cmp_lt_f32_e32 vcc, v28, v5
	s_nop 1
	v_cndmask_b32_e32 v5, v28, v5, vcc
	v_cmp_lt_f32_e32 vcc, v29, v5
	s_nop 1
	v_cndmask_b32_e32 v5, v29, v5, vcc
	v_cvt_f64_f32_e32 v[28:29], v5
	v_mul_f64 v[28:29], v[28:29], v[30:31]
	v_cvt_f64_f32_e32 v[30:31], v33
	v_mul_f64 v[30:31], v[30:31], s[22:23]
	v_cmp_nge_f64_e32 vcc, v[28:29], v[30:31]
	s_and_b64 s[4:5], s[4:5], vcc
	s_and_saveexec_b64 s[24:25], s[4:5]
	s_xor_b64 s[4:5], exec, s[24:25]
	s_cbranch_execz .LBB218_61
; %bb.56:                               ;   in Loop: Header=BB218_5 Depth=1
	v_add_u32_e32 v30, v46, v4
	v_ashrrev_i32_e32 v31, 31, v30
	v_ashrrev_i32_e32 v5, 31, v4
	v_lshlrev_b64 v[34:35], 3, v[20:21]
	v_lshlrev_b64 v[26:27], 3, v[30:31]
	v_lshl_add_u64 v[52:53], v[4:5], 3, v[2:3]
	v_lshl_add_u64 v[54:55], s[12:13], 0, v[34:35]
	;; [unrolled: 1-line block ×3, first 2 shown]
	global_load_dwordx2 v[44:45], v[52:53], off
	global_load_dwordx2 v[56:57], v[42:43], off
	;; [unrolled: 1-line block ×3, first 2 shown]
	v_lshl_add_u64 v[32:33], s[12:13], 0, v[26:27]
	global_load_dwordx2 v[40:41], v[32:33], off
	v_xor_b32_e32 v28, 0x80000000, v7
	v_mov_b32_e32 v29, v6
	v_lshl_add_u64 v[62:63], v[20:21], 2, s[6:7]
	v_pk_mul_f32 v[20:21], v[12:13], v[28:29] op_sel:[1,0]
	v_pk_add_f32 v[60:61], v[14:15], 0 neg_lo:[1,1] neg_hi:[1,1]
	v_pk_fma_f32 v[20:21], v[6:7], v[12:13], v[20:21] op_sel_hi:[1,0,1]
	v_mov_b32_e32 v36, v11
	v_pk_add_f32 v[20:21], v[20:21], v[24:25] neg_lo:[0,1] neg_hi:[0,1]
	v_mov_b32_e32 v37, v16
	v_mul_f32_e32 v5, v21, v21
	v_fmac_f32_e32 v5, v20, v20
	v_fma_f32 v24, 0, v21, v20
	v_fma_f32 v21, v20, 0, -v21
	v_div_scale_f32 v20, s[24:25], v5, v5, 1.0
	v_rcp_f32_e32 v25, v20
	v_div_scale_f32 v51, vcc, 1.0, v5, 1.0
	v_pk_mov_b32 v[64:65], v[60:61], v[14:15] op_sel:[1,0]
	v_fma_f32 v66, -v20, v25, 1.0
	v_fmac_f32_e32 v25, v66, v25
	v_mul_f32_e32 v66, v51, v25
	v_fma_f32 v67, -v20, v66, v51
	v_fmac_f32_e32 v66, v67, v25
	v_fma_f32 v20, -v20, v66, v51
	v_pk_mov_b32 v[60:61], v[14:15], v[60:61] op_sel:[1,0]
	v_div_fmas_f32 v20, v20, v25, v66
	v_pk_mul_f32 v[60:61], v[36:37], v[60:61] op_sel:[1,0]
	v_div_fixup_f32 v5, v20, v5, 1.0
	v_pk_fma_f32 v[36:37], v[14:15], v[36:37], v[60:61] op_sel_hi:[1,0,1] neg_lo:[1,0,0] neg_hi:[1,0,0]
	v_mul_f32_e32 v20, v24, v5
	v_mul_f32_e32 v24, v21, v5
	v_xor_b32_e32 v60, 0x80000000, v37
	v_mov_b32_e32 v61, v36
	v_mov_b32_e32 v25, v24
	v_xor_b32_e32 v58, 0x80000000, v13
	v_mov_b32_e32 v59, v12
	v_mov_b32_e32 v21, v20
	v_pk_mul_f32 v[60:61], v[24:25], v[60:61] op_sel_hi:[0,1]
	v_lshl_add_u64 v[34:35], s[14:15], 0, v[34:35]
	v_pk_fma_f32 v[36:37], v[36:37], v[20:21], v[60:61] op_sel_hi:[1,0,1]
	global_store_dwordx2 v[34:35], v[36:37], off
	v_mov_b32_e32 v26, v6
	v_mov_b32_e32 v27, v6
	v_mov_b32_e32 v17, v16
	v_mov_b32_e32 v10, v11
	s_waitcnt vmcnt(4)
	v_pk_mul_f32 v[60:61], v[44:45], v[58:59] op_sel:[1,0]
	s_waitcnt vmcnt(3)
	v_pk_mul_f32 v[66:67], v[56:57], v[64:65] op_sel:[1,0]
	;; [unrolled: 2-line block ×3, first 2 shown]
	v_mov_b32_e32 v36, v45
	v_mov_b32_e32 v37, v45
	;; [unrolled: 1-line block ×4, first 2 shown]
	v_pk_fma_f32 v[60:61], v[12:13], v[44:45], v[60:61] op_sel_hi:[1,0,1]
	v_pk_fma_f32 v[58:59], v[12:13], v[38:39], v[58:59] op_sel_hi:[1,0,1]
	v_mov_b32_e32 v44, v57
	v_mov_b32_e32 v45, v57
	v_mov_b32_e32 v12, v56
	v_mov_b32_e32 v13, v56
	s_waitcnt vmcnt(1)
	v_pk_mul_f32 v[64:65], v[40:41], v[64:65] op_sel:[1,0]
	v_pk_fma_f32 v[56:57], v[14:15], v[56:57], v[66:67] op_sel_hi:[1,0,1]
	v_pk_fma_f32 v[14:15], v[14:15], v[40:41], v[64:65] op_sel_hi:[1,0,1]
	v_pk_add_f32 v[56:57], v[60:61], v[56:57] neg_lo:[0,1] neg_hi:[0,1]
	v_pk_add_f32 v[14:15], v[58:59], v[14:15] neg_lo:[0,1] neg_hi:[0,1]
	v_xor_b32_e32 v58, 0x80000000, v57
	v_mov_b32_e32 v59, v56
	v_xor_b32_e32 v60, 0x80000000, v15
	v_mov_b32_e32 v61, v14
	v_pk_mul_f32 v[58:59], v[24:25], v[58:59] op_sel_hi:[0,1]
	v_pk_mul_f32 v[60:61], v[24:25], v[60:61] op_sel_hi:[0,1]
	v_pk_fma_f32 v[56:57], v[56:57], v[20:21], v[58:59] op_sel_hi:[1,0,1]
	v_pk_fma_f32 v[14:15], v[14:15], v[20:21], v[60:61] op_sel_hi:[1,0,1]
	global_store_dwordx2 v[52:53], v[56:57], off
	global_store_dwordx2 v[54:55], v[14:15], off
	global_store_dword v[62:63], v48, off
	s_and_saveexec_b64 s[24:25], s[0:1]
	s_cbranch_execz .LBB218_58
; %bb.57:                               ;   in Loop: Header=BB218_5 Depth=1
	v_mov_b32_e32 v14, v39
	v_mov_b32_e32 v15, v39
	v_pk_mov_b32 v[54:55], v[8:9], v[22:23] op_sel:[1,0]
	v_mov_b32_e32 v39, v38
	v_mov_b32_e32 v52, v41
	;; [unrolled: 1-line block ×3, first 2 shown]
	v_pk_mul_f32 v[14:15], v[54:55], v[14:15]
	v_mov_b32_e32 v41, v40
	v_pk_fma_f32 v[14:15], v[8:9], v[38:39], v[14:15] neg_lo:[1,0,0] neg_hi:[1,0,0]
	v_pk_mul_f32 v[38:39], v[52:53], v[28:29]
	v_pk_mul_f32 v[56:57], v[54:55], v[36:37]
	v_pk_fma_f32 v[38:39], v[6:7], v[40:41], v[38:39]
	v_pk_mul_f32 v[58:59], v[44:45], v[28:29]
	v_pk_add_f32 v[14:15], v[14:15], v[38:39]
	v_pk_fma_f32 v[56:57], v[8:9], v[34:35], v[56:57] neg_lo:[1,0,0] neg_hi:[1,0,0]
	v_xor_b32_e32 v38, 0x80000000, v15
	v_mov_b32_e32 v39, v14
	v_pk_mul_f32 v[38:39], v[24:25], v[38:39]
	v_pk_fma_f32 v[58:59], v[6:7], v[12:13], v[58:59]
	v_pk_fma_f32 v[14:15], v[14:15], v[20:21], v[38:39]
	global_store_dwordx2 v[32:33], v[14:15], off
	v_pk_mul_f32 v[32:33], v[16:17], v[28:29]
	v_pk_add_f32 v[56:57], v[56:57], v[58:59]
	v_pk_fma_f32 v[32:33], v[6:7], v[10:11], v[32:33]
	v_xor_b32_e32 v58, 0x80000000, v57
	v_xor_b32_e32 v38, 0x80000000, v33
	v_mov_b32_e32 v39, v32
	v_mov_b32_e32 v59, v56
	v_pk_mul_f32 v[38:39], v[24:25], v[38:39]
	v_pk_mul_f32 v[58:59], v[24:25], v[58:59]
	v_lshl_add_u64 v[14:15], v[30:31], 3, s[14:15]
	v_pk_fma_f32 v[32:33], v[32:33], v[20:21], v[38:39]
	v_pk_fma_f32 v[56:57], v[56:57], v[20:21], v[58:59]
	global_store_dwordx2 v[14:15], v[32:33], off
	v_lshl_add_u64 v[14:15], v[30:31], 2, s[6:7]
	global_store_dwordx2 v[42:43], v[56:57], off
	global_store_dword v[14:15], v48, off
.LBB218_58:                             ;   in Loop: Header=BB218_5 Depth=1
	s_or_b64 exec, exec, s[24:25]
	v_mov_b32_e32 v51, v50
	v_mov_b64_e32 v[14:15], v[50:51]
	s_and_saveexec_b64 s[24:25], s[2:3]
	s_cbranch_execz .LBB218_60
; %bb.59:                               ;   in Loop: Header=BB218_5 Depth=1
	v_add_u32_e32 v14, v1, v4
	v_ashrrev_i32_e32 v15, 31, v14
	v_lshlrev_b64 v[14:15], 3, v[14:15]
	v_lshl_add_u64 v[30:31], s[10:11], 0, v[14:15]
	v_lshl_add_u64 v[14:15], s[18:19], 0, v[14:15]
	global_load_dwordx2 v[32:33], v[30:31], off
	v_mov_b32_e32 v38, v19
	global_load_dwordx2 v[14:15], v[14:15], off
	v_pk_mov_b32 v[22:23], v[8:9], v[22:23] op_sel:[1,0]
	v_xor_b32_e32 v40, 0x80000000, v19
	v_mov_b32_e32 v41, v18
	v_pk_mul_f32 v[22:23], v[38:39], v[22:23] op_sel_hi:[0,1]
	v_pk_mul_f32 v[28:29], v[38:39], v[28:29] op_sel_hi:[0,1]
	v_pk_mul_f32 v[38:39], v[6:7], v[40:41] op_sel:[1,0]
	v_pk_fma_f32 v[8:9], v[8:9], v[18:19], v[22:23] op_sel_hi:[1,0,1] neg_lo:[1,0,0] neg_hi:[1,0,0]
	v_pk_fma_f32 v[6:7], v[6:7], v[18:19], v[28:29] op_sel_hi:[1,0,1]
	v_pk_fma_f32 v[18:19], v[18:19], v[26:27], v[38:39]
	v_xor_b32_e32 v22, 0x80000000, v9
	v_mov_b32_e32 v23, v8
	v_xor_b32_e32 v26, 0x80000000, v7
	v_mov_b32_e32 v27, v6
	;; [unrolled: 2-line block ×3, first 2 shown]
	v_pk_mul_f32 v[22:23], v[24:25], v[22:23]
	v_pk_mul_f32 v[26:27], v[24:25], v[26:27]
	;; [unrolled: 1-line block ×3, first 2 shown]
	v_pk_fma_f32 v[8:9], v[8:9], v[20:21], v[22:23]
	v_pk_fma_f32 v[6:7], v[6:7], v[20:21], v[26:27]
	;; [unrolled: 1-line block ×3, first 2 shown]
	v_pk_add_f32 v[16:17], v[8:9], 0 neg_lo:[1,1] neg_hi:[1,1]
	v_xor_b32_e32 v18, 0x80000000, v7
	v_mov_b32_e32 v19, v6
	v_pk_mov_b32 v[16:17], v[8:9], v[16:17] op_sel:[1,0]
	v_xor_b32_e32 v22, 0x80000000, v11
	v_mov_b32_e32 v23, v10
	v_pk_mul_f32 v[18:19], v[44:45], v[18:19]
	v_pk_mul_f32 v[16:17], v[16:17], v[36:37]
	;; [unrolled: 1-line block ×3, first 2 shown]
	v_pk_fma_f32 v[6:7], v[6:7], v[12:13], v[18:19]
	v_pk_fma_f32 v[8:9], v[8:9], v[34:35], v[16:17] neg_lo:[1,0,0] neg_hi:[1,0,0]
	v_pk_fma_f32 v[10:11], v[10:11], v[20:21], v[22:23]
	v_pk_add_f32 v[6:7], v[8:9], v[6:7] neg_lo:[0,1] neg_hi:[0,1]
	s_waitcnt vmcnt(0)
	v_pk_add_f32 v[14:15], v[14:15], v[10:11] neg_lo:[0,1] neg_hi:[0,1]
	v_pk_add_f32 v[6:7], v[6:7], v[32:33]
	global_store_dwordx2 v[30:31], v[6:7], off
.LBB218_60:                             ;   in Loop: Header=BB218_5 Depth=1
	s_or_b64 exec, exec, s[24:25]
	v_mov_b64_e32 v[6:7], v[14:15]
                                        ; implicit-def: $vgpr24_vgpr25
                                        ; implicit-def: $vgpr12_vgpr13
                                        ; implicit-def: $vgpr20_vgpr21
                                        ; implicit-def: $vgpr14_vgpr15
                                        ; implicit-def: $vgpr26_vgpr27
                                        ; implicit-def: $vgpr8_vgpr9
.LBB218_61:                             ;   in Loop: Header=BB218_5 Depth=1
	s_or_saveexec_b64 s[2:3], s[4:5]
	v_mov_b32_e32 v5, s33
	s_xor_b64 exec, exec, s[2:3]
	s_cbranch_execz .LBB218_4
; %bb.62:                               ;   in Loop: Header=BB218_5 Depth=1
	v_ashrrev_i32_e32 v5, 31, v4
	v_lshlrev_b64 v[16:17], 3, v[20:21]
	v_lshl_add_u64 v[18:19], v[4:5], 3, v[2:3]
	v_lshl_add_u64 v[22:23], s[12:13], 0, v[16:17]
	global_load_dwordx2 v[10:11], v[18:19], off
	global_load_dwordx2 v[28:29], v[22:23], off
	v_mul_f32_e32 v5, v7, v7
	v_fmac_f32_e32 v5, v6, v6
	v_fma_f32 v34, 0, v7, v6
	v_fma_f32 v7, v6, 0, -v7
	v_div_scale_f32 v6, s[4:5], v5, v5, 1.0
	v_lshl_add_u64 v[32:33], s[14:15], 0, v[16:17]
	v_rcp_f32_e32 v16, v6
	v_div_scale_f32 v17, vcc, 1.0, v5, 1.0
	v_pk_add_f32 v[30:31], v[14:15], 0 neg_lo:[1,1] neg_hi:[1,1]
	v_fma_f32 v35, -v6, v16, 1.0
	v_fmac_f32_e32 v16, v35, v16
	v_mul_f32_e32 v35, v17, v16
	v_fma_f32 v36, -v6, v35, v17
	v_fmac_f32_e32 v35, v36, v16
	v_fma_f32 v6, -v6, v35, v17
	v_div_fmas_f32 v6, v6, v16, v35
	v_div_fixup_f32 v5, v6, v5, 1.0
	v_pk_mov_b32 v[30:31], v[30:31], v[14:15] op_sel:[1,0]
	v_mul_f32_e32 v16, v7, v5
	v_mul_f32_e32 v6, v34, v5
	v_pk_mul_f32 v[30:31], v[16:17], v[30:31] op_sel_hi:[0,1]
	v_pk_fma_f32 v[14:15], v[14:15], v[6:7], v[30:31] op_sel_hi:[1,0,1]
	global_store_dwordx2 v[32:33], v[14:15], off
	v_lshl_add_u64 v[20:21], v[20:21], 2, s[6:7]
	s_waitcnt vmcnt(2)
	v_xor_b32_e32 v30, 0x80000000, v11
	v_mov_b32_e32 v31, v10
	s_waitcnt vmcnt(1)
	v_pk_mul_f32 v[32:33], v[16:17], v[28:29] op_sel:[0,1] op_sel_hi:[0,0] neg_lo:[0,1]
	v_mov_b32_e32 v14, v10
	v_mov_b32_e32 v15, v10
	v_pk_mul_f32 v[30:31], v[16:17], v[30:31] op_sel_hi:[0,1]
	v_pk_fma_f32 v[28:29], v[28:29], v[6:7], v[32:33] op_sel_hi:[1,0,1]
	v_pk_fma_f32 v[30:31], v[10:11], v[6:7], v[30:31] op_sel_hi:[1,0,1]
	global_store_dwordx2 v[22:23], v[28:29], off
	global_store_dwordx2 v[18:19], v[30:31], off
	global_store_dword v[20:21], v49, off
	s_and_saveexec_b64 s[4:5], s[0:1]
	s_cbranch_execz .LBB218_3
; %bb.63:                               ;   in Loop: Header=BB218_5 Depth=1
	v_add_u32_e32 v18, v46, v4
	v_ashrrev_i32_e32 v19, 31, v18
	v_lshl_add_u64 v[18:19], v[18:19], 3, s[10:11]
	global_load_dwordx2 v[20:21], v[18:19], off
	v_mov_b32_e32 v17, v16
	v_mov_b32_e32 v7, v6
	v_pk_mul_f32 v[22:23], v[16:17], v[26:27]
	s_nop 0
	v_pk_fma_f32 v[8:9], v[8:9], v[6:7], v[22:23]
	s_nop 0
	v_pk_add_f32 v[22:23], v[8:9], 0 neg_lo:[1,1] neg_hi:[1,1]
	s_nop 0
	v_pk_mov_b32 v[22:23], v[8:9], v[22:23] op_sel:[1,0]
	s_nop 0
	v_pk_mul_f32 v[10:11], v[22:23], v[10:11] op_sel:[0,1]
	s_nop 0
	v_pk_fma_f32 v[8:9], v[8:9], v[14:15], v[10:11] neg_lo:[1,0,0] neg_hi:[1,0,0]
	s_waitcnt vmcnt(0)
	v_pk_add_f32 v[8:9], v[8:9], v[20:21]
	global_store_dwordx2 v[18:19], v[8:9], off
	s_branch .LBB218_3
.LBB218_64:
	s_or_b64 exec, exec, s[20:21]
.LBB218_65:
	v_subrev_u32_e32 v1, s28, v4
	v_add_u32_e32 v4, v1, v0
	v_ashrrev_i32_e32 v5, 31, v4
	s_waitcnt lgkmcnt(0)
	v_lshl_add_u64 v[4:5], v[4:5], 2, s[6:7]
	buffer_wbl2 sc1
	s_waitcnt vmcnt(0)
	buffer_inv sc1
	global_load_dword v4, v[4:5], off
	s_waitcnt vmcnt(0)
	v_mul_lo_u32 v4, v4, s28
	v_sub_u32_e32 v4, v1, v4
	v_cmp_lt_i32_e32 vcc, -1, v4
	s_and_b64 exec, exec, vcc
	s_cbranch_execz .LBB218_72
; %bb.66:
	v_subrev_u32_e32 v1, s28, v0
	s_lshl_b32 s4, s28, 1
	s_mov_b64 s[0:1], 0
	s_branch .LBB218_68
.LBB218_67:                             ;   in Loop: Header=BB218_68 Depth=1
	s_or_b64 exec, exec, s[2:3]
	v_lshl_add_u64 v[6:7], v[6:7], 3, s[12:13]
	global_load_dwordx2 v[8:9], v[6:7], off
	v_sub_u32_e32 v4, v4, v5
	v_cmp_gt_i32_e32 vcc, 0, v4
	s_or_b64 s[0:1], vcc, s[0:1]
	s_waitcnt vmcnt(0)
	v_pk_add_f32 v[8:9], v[8:9], v[10:11]
	global_store_dwordx2 v[6:7], v[8:9], off
	s_andn2_b64 exec, exec, s[0:1]
	s_cbranch_execz .LBB218_72
.LBB218_68:                             ; =>This Inner Loop Header: Depth=1
	v_add_u32_e32 v6, v4, v0
	v_ashrrev_i32_e32 v7, 31, v6
	v_lshl_add_u64 v[8:9], v[6:7], 2, s[6:7]
	global_load_dword v5, v[8:9], off
	v_lshl_add_u64 v[8:9], v[6:7], 3, s[14:15]
	global_load_dwordx2 v[8:9], v[8:9], off
                                        ; implicit-def: $vgpr10_vgpr11
	s_waitcnt vmcnt(1)
	v_cmp_ne_u32_e32 vcc, 1, v5
	s_and_saveexec_b64 s[2:3], vcc
	s_xor_b64 s[2:3], exec, s[2:3]
	s_cbranch_execz .LBB218_70
; %bb.69:                               ;   in Loop: Header=BB218_68 Depth=1
	v_add_u32_e32 v10, v46, v4
	v_ashrrev_i32_e32 v11, 31, v10
	v_lshlrev_b64 v[10:11], 3, v[10:11]
	v_lshl_add_u64 v[12:13], s[10:11], 0, v[10:11]
	global_load_dwordx2 v[14:15], v[12:13], off
	v_ashrrev_i32_e32 v5, 31, v4
	v_lshl_add_u64 v[10:11], s[12:13], 0, v[10:11]
	global_load_dwordx2 v[16:17], v[10:11], off
	v_lshl_add_u64 v[18:19], v[4:5], 3, v[2:3]
	global_load_dwordx2 v[20:21], v[18:19], off
	;; [unrolled: 2-line block ×3, first 2 shown]
	v_add_u32_e32 v24, v1, v4
	s_waitcnt vmcnt(4)
	v_pk_add_f32 v[26:27], v[8:9], 0 neg_lo:[1,1] neg_hi:[1,1]
	v_ashrrev_i32_e32 v25, 31, v24
	v_pk_mov_b32 v[26:27], v[8:9], v[26:27] op_sel:[1,0]
	v_lshlrev_b64 v[28:29], 3, v[24:25]
	v_lshl_add_u64 v[30:31], s[14:15], 0, v[28:29]
	global_load_dwordx2 v[30:31], v[30:31], off
	s_waitcnt vmcnt(4)
	v_pk_mul_f32 v[32:33], v[26:27], v[14:15] op_sel:[0,1]
	s_nop 0
	v_pk_fma_f32 v[14:15], v[8:9], v[14:15], v[32:33] op_sel_hi:[1,0,1] neg_lo:[1,0,0] neg_hi:[1,0,0]
	s_waitcnt vmcnt(3)
	v_pk_mul_f32 v[26:27], v[26:27], v[16:17] op_sel:[0,1]
	s_nop 0
	v_pk_fma_f32 v[8:9], v[8:9], v[16:17], v[26:27] op_sel_hi:[1,0,1] neg_lo:[1,0,0] neg_hi:[1,0,0]
	s_waitcnt vmcnt(2)
	v_pk_add_f32 v[14:15], v[20:21], v[14:15]
	s_waitcnt vmcnt(1)
	v_pk_add_f32 v[8:9], v[22:23], v[8:9]
	global_store_dwordx2 v[18:19], v[14:15], off
	global_store_dwordx2 v[6:7], v[8:9], off
	global_load_dwordx2 v[6:7], v[12:13], off
	s_nop 0
	global_load_dwordx2 v[8:9], v[10:11], off
	v_lshl_add_u64 v[12:13], s[10:11], 0, v[28:29]
	global_load_dwordx2 v[14:15], v[12:13], off
	s_waitcnt vmcnt(5)
	v_pk_add_f32 v[10:11], v[30:31], 0 neg_lo:[1,1] neg_hi:[1,1]
	s_nop 0
	v_pk_mov_b32 v[10:11], v[30:31], v[10:11] op_sel:[1,0]
	s_waitcnt vmcnt(2)
	v_pk_mul_f32 v[16:17], v[10:11], v[6:7] op_sel:[0,1]
	s_nop 0
	v_pk_fma_f32 v[6:7], v[30:31], v[6:7], v[16:17] op_sel_hi:[1,0,1] neg_lo:[1,0,0] neg_hi:[1,0,0]
	s_waitcnt vmcnt(1)
	v_pk_mul_f32 v[10:11], v[8:9], v[10:11] op_sel:[1,0]
	s_waitcnt vmcnt(0)
	v_pk_add_f32 v[6:7], v[14:15], v[6:7]
	v_pk_fma_f32 v[10:11], v[30:31], v[8:9], v[10:11] op_sel_hi:[1,0,1] neg_lo:[1,0,0] neg_hi:[1,0,0]
	global_store_dwordx2 v[12:13], v[6:7], off
	v_mov_b64_e32 v[6:7], v[24:25]
                                        ; implicit-def: $vgpr8_vgpr9
.LBB218_70:                             ;   in Loop: Header=BB218_68 Depth=1
	s_or_saveexec_b64 s[2:3], s[2:3]
	v_mov_b32_e32 v5, s4
	s_xor_b64 exec, exec, s[2:3]
	s_cbranch_execz .LBB218_67
; %bb.71:                               ;   in Loop: Header=BB218_68 Depth=1
	v_add_u32_e32 v10, v46, v4
	v_ashrrev_i32_e32 v11, 31, v10
	v_lshlrev_b64 v[10:11], 3, v[10:11]
	v_lshl_add_u64 v[12:13], s[10:11], 0, v[10:11]
	global_load_dwordx2 v[12:13], v[12:13], off
	v_lshl_add_u64 v[10:11], s[12:13], 0, v[10:11]
	v_ashrrev_i32_e32 v5, 31, v4
	global_load_dwordx2 v[10:11], v[10:11], off
	v_lshl_add_u64 v[14:15], v[4:5], 3, v[2:3]
	global_load_dwordx2 v[16:17], v[14:15], off
	s_waitcnt vmcnt(3)
	v_pk_add_f32 v[18:19], v[8:9], 0 neg_lo:[1,1] neg_hi:[1,1]
	v_mov_b32_e32 v5, s28
	v_pk_mov_b32 v[18:19], v[8:9], v[18:19] op_sel:[1,0]
	s_waitcnt vmcnt(2)
	v_pk_mul_f32 v[20:21], v[18:19], v[12:13] op_sel:[0,1]
	s_nop 0
	v_pk_fma_f32 v[12:13], v[8:9], v[12:13], v[20:21] op_sel_hi:[1,0,1] neg_lo:[1,0,0] neg_hi:[1,0,0]
	s_waitcnt vmcnt(1)
	v_pk_mul_f32 v[18:19], v[18:19], v[10:11] op_sel:[0,1]
	s_nop 0
	v_pk_fma_f32 v[10:11], v[8:9], v[10:11], v[18:19] op_sel_hi:[1,0,1] neg_lo:[1,0,0] neg_hi:[1,0,0]
	s_waitcnt vmcnt(0)
	v_pk_add_f32 v[8:9], v[16:17], v[12:13]
	global_store_dwordx2 v[14:15], v[8:9], off
	s_branch .LBB218_67
.LBB218_72:
	s_endpgm
	.section	.rodata,"a",@progbits
	.p2align	6, 0x0
	.amdhsa_kernel _ZN9rocsparseL18gtsv_LBM_wv_kernelILj256ELj16E21rocsparse_complex_numIfEEEviiiPKT1_S5_S5_PS3_S6_S6_Pi
		.amdhsa_group_segment_fixed_size 0
		.amdhsa_private_segment_fixed_size 0
		.amdhsa_kernarg_size 72
		.amdhsa_user_sgpr_count 2
		.amdhsa_user_sgpr_dispatch_ptr 0
		.amdhsa_user_sgpr_queue_ptr 0
		.amdhsa_user_sgpr_kernarg_segment_ptr 1
		.amdhsa_user_sgpr_dispatch_id 0
		.amdhsa_user_sgpr_kernarg_preload_length 0
		.amdhsa_user_sgpr_kernarg_preload_offset 0
		.amdhsa_user_sgpr_private_segment_size 0
		.amdhsa_uses_dynamic_stack 0
		.amdhsa_enable_private_segment 0
		.amdhsa_system_sgpr_workgroup_id_x 1
		.amdhsa_system_sgpr_workgroup_id_y 0
		.amdhsa_system_sgpr_workgroup_id_z 0
		.amdhsa_system_sgpr_workgroup_info 0
		.amdhsa_system_vgpr_workitem_id 0
		.amdhsa_next_free_vgpr 68
		.amdhsa_next_free_sgpr 35
		.amdhsa_accum_offset 68
		.amdhsa_reserve_vcc 1
		.amdhsa_float_round_mode_32 0
		.amdhsa_float_round_mode_16_64 0
		.amdhsa_float_denorm_mode_32 3
		.amdhsa_float_denorm_mode_16_64 3
		.amdhsa_dx10_clamp 1
		.amdhsa_ieee_mode 1
		.amdhsa_fp16_overflow 0
		.amdhsa_tg_split 0
		.amdhsa_exception_fp_ieee_invalid_op 0
		.amdhsa_exception_fp_denorm_src 0
		.amdhsa_exception_fp_ieee_div_zero 0
		.amdhsa_exception_fp_ieee_overflow 0
		.amdhsa_exception_fp_ieee_underflow 0
		.amdhsa_exception_fp_ieee_inexact 0
		.amdhsa_exception_int_div_zero 0
	.end_amdhsa_kernel
	.section	.text._ZN9rocsparseL18gtsv_LBM_wv_kernelILj256ELj16E21rocsparse_complex_numIfEEEviiiPKT1_S5_S5_PS3_S6_S6_Pi,"axG",@progbits,_ZN9rocsparseL18gtsv_LBM_wv_kernelILj256ELj16E21rocsparse_complex_numIfEEEviiiPKT1_S5_S5_PS3_S6_S6_Pi,comdat
.Lfunc_end218:
	.size	_ZN9rocsparseL18gtsv_LBM_wv_kernelILj256ELj16E21rocsparse_complex_numIfEEEviiiPKT1_S5_S5_PS3_S6_S6_Pi, .Lfunc_end218-_ZN9rocsparseL18gtsv_LBM_wv_kernelILj256ELj16E21rocsparse_complex_numIfEEEviiiPKT1_S5_S5_PS3_S6_S6_Pi
                                        ; -- End function
	.set _ZN9rocsparseL18gtsv_LBM_wv_kernelILj256ELj16E21rocsparse_complex_numIfEEEviiiPKT1_S5_S5_PS3_S6_S6_Pi.num_vgpr, 68
	.set _ZN9rocsparseL18gtsv_LBM_wv_kernelILj256ELj16E21rocsparse_complex_numIfEEEviiiPKT1_S5_S5_PS3_S6_S6_Pi.num_agpr, 0
	.set _ZN9rocsparseL18gtsv_LBM_wv_kernelILj256ELj16E21rocsparse_complex_numIfEEEviiiPKT1_S5_S5_PS3_S6_S6_Pi.numbered_sgpr, 35
	.set _ZN9rocsparseL18gtsv_LBM_wv_kernelILj256ELj16E21rocsparse_complex_numIfEEEviiiPKT1_S5_S5_PS3_S6_S6_Pi.num_named_barrier, 0
	.set _ZN9rocsparseL18gtsv_LBM_wv_kernelILj256ELj16E21rocsparse_complex_numIfEEEviiiPKT1_S5_S5_PS3_S6_S6_Pi.private_seg_size, 0
	.set _ZN9rocsparseL18gtsv_LBM_wv_kernelILj256ELj16E21rocsparse_complex_numIfEEEviiiPKT1_S5_S5_PS3_S6_S6_Pi.uses_vcc, 1
	.set _ZN9rocsparseL18gtsv_LBM_wv_kernelILj256ELj16E21rocsparse_complex_numIfEEEviiiPKT1_S5_S5_PS3_S6_S6_Pi.uses_flat_scratch, 0
	.set _ZN9rocsparseL18gtsv_LBM_wv_kernelILj256ELj16E21rocsparse_complex_numIfEEEviiiPKT1_S5_S5_PS3_S6_S6_Pi.has_dyn_sized_stack, 0
	.set _ZN9rocsparseL18gtsv_LBM_wv_kernelILj256ELj16E21rocsparse_complex_numIfEEEviiiPKT1_S5_S5_PS3_S6_S6_Pi.has_recursion, 0
	.set _ZN9rocsparseL18gtsv_LBM_wv_kernelILj256ELj16E21rocsparse_complex_numIfEEEviiiPKT1_S5_S5_PS3_S6_S6_Pi.has_indirect_call, 0
	.section	.AMDGPU.csdata,"",@progbits
; Kernel info:
; codeLenInByte = 6480
; TotalNumSgprs: 41
; NumVgprs: 68
; NumAgprs: 0
; TotalNumVgprs: 68
; ScratchSize: 0
; MemoryBound: 0
; FloatMode: 240
; IeeeMode: 1
; LDSByteSize: 0 bytes/workgroup (compile time only)
; SGPRBlocks: 5
; VGPRBlocks: 8
; NumSGPRsForWavesPerEU: 41
; NumVGPRsForWavesPerEU: 68
; AccumOffset: 68
; Occupancy: 7
; WaveLimiterHint : 0
; COMPUTE_PGM_RSRC2:SCRATCH_EN: 0
; COMPUTE_PGM_RSRC2:USER_SGPR: 2
; COMPUTE_PGM_RSRC2:TRAP_HANDLER: 0
; COMPUTE_PGM_RSRC2:TGID_X_EN: 1
; COMPUTE_PGM_RSRC2:TGID_Y_EN: 0
; COMPUTE_PGM_RSRC2:TGID_Z_EN: 0
; COMPUTE_PGM_RSRC2:TIDIG_COMP_CNT: 0
; COMPUTE_PGM_RSRC3_GFX90A:ACCUM_OFFSET: 16
; COMPUTE_PGM_RSRC3_GFX90A:TG_SPLIT: 0
	.section	.text._ZN9rocsparseL19gtsv_LBM_rhs_kernelILj256ELj16ELj8E21rocsparse_complex_numIfEEEviiiPKT2_S5_S5_PS3_S5_PKi,"axG",@progbits,_ZN9rocsparseL19gtsv_LBM_rhs_kernelILj256ELj16ELj8E21rocsparse_complex_numIfEEEviiiPKT2_S5_S5_PS3_S5_PKi,comdat
	.globl	_ZN9rocsparseL19gtsv_LBM_rhs_kernelILj256ELj16ELj8E21rocsparse_complex_numIfEEEviiiPKT2_S5_S5_PS3_S5_PKi ; -- Begin function _ZN9rocsparseL19gtsv_LBM_rhs_kernelILj256ELj16ELj8E21rocsparse_complex_numIfEEEviiiPKT2_S5_S5_PS3_S5_PKi
	.p2align	8
	.type	_ZN9rocsparseL19gtsv_LBM_rhs_kernelILj256ELj16ELj8E21rocsparse_complex_numIfEEEviiiPKT2_S5_S5_PS3_S5_PKi,@function
_ZN9rocsparseL19gtsv_LBM_rhs_kernelILj256ELj16ELj8E21rocsparse_complex_numIfEEEviiiPKT2_S5_S5_PS3_S5_PKi: ; @_ZN9rocsparseL19gtsv_LBM_rhs_kernelILj256ELj16ELj8E21rocsparse_complex_numIfEEEviiiPKT2_S5_S5_PS3_S5_PKi
; %bb.0:
	s_load_dword s23, s[0:1], 0x0
	v_lshl_or_b32 v0, s2, 8, v0
	s_waitcnt lgkmcnt(0)
	s_lshr_b32 s22, s23, 4
	v_cmp_gt_i32_e32 vcc, s22, v0
	s_and_saveexec_b64 s[4:5], vcc
	s_cbranch_execz .LBB219_29
; %bb.1:
	s_load_dwordx4 s[8:11], s[0:1], 0x28
	s_load_dwordx2 s[6:7], s[0:1], 0x38
	s_cmp_lt_i32 s23, 1
	v_add_u32_e32 v92, s22, v0
	s_mul_i32 s24, s3, s23
	s_cbranch_scc1 .LBB219_21
; %bb.2:
	s_load_dwordx4 s[12:15], s[0:1], 0x10
	s_load_dwordx2 s[16:17], s[0:1], 0x20
	v_ashrrev_i32_e32 v1, 31, v0
	s_lshl_b32 s28, s24, 3
	s_add_i32 s29, s28, s23
	s_waitcnt lgkmcnt(0)
	v_lshl_add_u64 v[2:3], v[0:1], 3, s[14:15]
	global_load_dwordx2 v[4:5], v[2:3], off
	s_add_i32 s30, s29, s23
	s_add_i32 s31, s30, s23
	;; [unrolled: 1-line block ×5, first 2 shown]
	s_mul_i32 s25, s22, 15
	s_mul_i32 s26, s22, 14
	s_lshl_b32 s27, s22, 1
	v_add_u32_e32 v1, s22, v92
	s_add_i32 s36, s35, s23
	v_mov_b32_e32 v3, 0
	s_mov_b64 s[18:19], 0
	v_mov_b32_e32 v93, 0
	s_branch .LBB219_5
.LBB219_3:                              ;   in Loop: Header=BB219_5 Depth=1
	s_or_b64 exec, exec, s[4:5]
	v_mov_b32_e32 v19, v6
	v_pk_mul_f32 v[10:11], v[12:13], v[18:19] op_sel:[1,0]
	s_nop 0
	v_pk_fma_f32 v[6:7], v[6:7], v[12:13], v[10:11] op_sel_hi:[1,0,1]
	s_nop 0
	v_xor_b32_e32 v10, 0x80000000, v7
	v_mov_b32_e32 v11, v6
	v_pk_mul_f32 v[8:9], v[8:9], v[10:11] op_sel_hi:[0,1]
	v_pk_fma_f32 v[4:5], v[6:7], v[4:5], v[8:9] op_sel_hi:[1,0,1]
	v_mov_b32_e32 v8, s22
	v_pk_add_f32 v[4:5], v[14:15], v[4:5] neg_lo:[0,1] neg_hi:[0,1]
.LBB219_4:                              ;   in Loop: Header=BB219_5 Depth=1
	s_or_b64 exec, exec, s[2:3]
	v_add_u32_e32 v93, v8, v93
	v_cmp_le_i32_e32 vcc, s23, v93
	s_or_b64 s[18:19], vcc, s[18:19]
	s_andn2_b64 exec, exec, s[18:19]
	s_cbranch_execz .LBB219_20
.LBB219_5:                              ; =>This Inner Loop Header: Depth=1
	v_add_u32_e32 v16, v93, v0
	v_ashrrev_i32_e32 v17, 31, v16
	v_lshl_add_u64 v[6:7], v[16:17], 3, s[16:17]
	global_load_dwordx2 v[12:13], v[6:7], off
	v_cmp_gt_u32_e64 s[0:1], s25, v93
	v_mov_b32_e32 v6, 0
	v_mov_b32_e32 v7, 0
	s_and_saveexec_b64 s[2:3], s[0:1]
	s_cbranch_execz .LBB219_7
; %bb.6:                                ;   in Loop: Header=BB219_5 Depth=1
	v_add_u32_e32 v6, v92, v93
	v_ashrrev_i32_e32 v7, 31, v6
	v_lshl_add_u64 v[6:7], v[6:7], 3, s[12:13]
	global_load_dwordx2 v[6:7], v[6:7], off
.LBB219_7:                              ;   in Loop: Header=BB219_5 Depth=1
	s_or_b64 exec, exec, s[2:3]
	v_mov_b32_e32 v8, 0
	v_mov_b32_e32 v14, 0
	;; [unrolled: 1-line block ×3, first 2 shown]
	s_and_saveexec_b64 s[2:3], s[0:1]
	s_cbranch_execz .LBB219_9
; %bb.8:                                ;   in Loop: Header=BB219_5 Depth=1
	v_add_u32_e32 v10, v92, v93
	v_ashrrev_i32_e32 v11, 31, v10
	v_lshl_add_u64 v[10:11], v[10:11], 3, s[14:15]
	global_load_dwordx2 v[14:15], v[10:11], off
.LBB219_9:                              ;   in Loop: Header=BB219_5 Depth=1
	s_or_b64 exec, exec, s[2:3]
	v_mov_b32_e32 v9, 0
	s_and_saveexec_b64 s[2:3], s[0:1]
	s_cbranch_execz .LBB219_11
; %bb.10:                               ;   in Loop: Header=BB219_5 Depth=1
	v_add_u32_e32 v8, v92, v93
	v_ashrrev_i32_e32 v9, 31, v8
	v_lshl_add_u64 v[8:9], v[8:9], 3, s[16:17]
	global_load_dwordx2 v[8:9], v[8:9], off
.LBB219_11:                             ;   in Loop: Header=BB219_5 Depth=1
	s_or_b64 exec, exec, s[2:3]
	v_cmp_gt_u32_e64 s[2:3], s26, v93
	v_mov_b32_e32 v10, 0
	v_mov_b32_e32 v11, 0
	s_and_saveexec_b64 s[4:5], s[2:3]
	s_cbranch_execz .LBB219_13
; %bb.12:                               ;   in Loop: Header=BB219_5 Depth=1
	v_add_u32_e32 v10, v1, v93
	v_ashrrev_i32_e32 v11, 31, v10
	v_lshl_add_u64 v[10:11], v[10:11], 3, s[12:13]
	global_load_dwordx2 v[10:11], v[10:11], off
.LBB219_13:                             ;   in Loop: Header=BB219_5 Depth=1
	s_or_b64 exec, exec, s[4:5]
	v_lshl_add_u64 v[18:19], v[16:17], 2, s[6:7]
	global_load_dword v17, v[18:19], off
	v_cmp_ne_u32_e32 vcc, s25, v93
	v_add_u32_e32 v2, s28, v16
	v_add_u32_e32 v38, s29, v16
	;; [unrolled: 1-line block ×8, first 2 shown]
	s_waitcnt vmcnt(1)
	v_xor_b32_e32 v18, 0x80000000, v7
	s_waitcnt vmcnt(0)
	v_cmp_ne_u32_e64 s[4:5], 1, v17
	s_and_b64 s[4:5], vcc, s[4:5]
	s_and_saveexec_b64 s[20:21], s[4:5]
	s_xor_b64 s[4:5], exec, s[20:21]
	s_cbranch_execz .LBB219_17
; %bb.14:                               ;   in Loop: Header=BB219_5 Depth=1
	v_add_u32_e32 v46, v92, v93
	v_lshl_add_u64 v[30:31], v[2:3], 3, s[8:9]
	v_add_u32_e32 v2, s28, v46
	v_mov_b32_e32 v39, v3
	v_mov_b32_e32 v35, v3
	v_lshl_add_u64 v[22:23], v[2:3], 3, s[8:9]
	v_lshl_add_u64 v[38:39], v[38:39], 3, s[8:9]
	;; [unrolled: 1-line block ×3, first 2 shown]
	global_load_dwordx2 v[36:37], v[30:31], off
	global_load_dwordx2 v[42:43], v[38:39], off
	;; [unrolled: 1-line block ×4, first 2 shown]
	v_add_u32_e32 v2, s29, v46
	v_lshl_add_u64 v[90:91], v[2:3], 3, s[8:9]
	v_xor_b32_e32 v16, 0x80000000, v5
	v_mov_b32_e32 v33, v3
	v_mov_b32_e32 v17, v4
	;; [unrolled: 1-line block ×3, first 2 shown]
	global_load_dwordx2 v[44:45], v[90:91], off
	v_mov_b32_e32 v21, v3
	v_lshl_add_u64 v[48:49], v[32:33], 3, s[8:9]
	v_pk_mul_f32 v[32:33], v[14:15], v[16:17] op_sel:[1,0]
	v_pk_mul_f32 v[18:19], v[12:13], v[18:19] op_sel:[1,0]
	v_add_u32_e32 v2, s30, v46
	v_lshl_add_u64 v[96:97], v[2:3], 3, s[8:9]
	v_lshl_add_u64 v[98:99], v[20:21], 3, s[8:9]
	v_pk_fma_f32 v[20:21], v[4:5], v[14:15], v[32:33] op_sel_hi:[1,0,1]
	v_pk_fma_f32 v[18:19], v[6:7], v[12:13], v[18:19] op_sel_hi:[1,0,1]
	global_load_dwordx2 v[54:55], v[96:97], off
	v_pk_add_f32 v[18:19], v[20:21], v[18:19] neg_lo:[0,1] neg_hi:[0,1]
	v_add_u32_e32 v2, s31, v46
	v_mul_f32_e32 v20, v19, v19
	v_mov_b32_e32 v29, v3
	v_mov_b32_e32 v27, v3
	;; [unrolled: 1-line block ×3, first 2 shown]
	v_lshl_add_u64 v[102:103], v[2:3], 3, s[8:9]
	v_fmac_f32_e32 v20, v18, v18
	v_lshl_add_u64 v[28:29], v[28:29], 3, s[8:9]
	v_lshl_add_u64 v[26:27], v[26:27], 3, s[8:9]
	;; [unrolled: 1-line block ×3, first 2 shown]
	global_load_dwordx2 v[56:57], v[48:49], off
	global_load_dwordx2 v[58:59], v[28:29], off
	global_load_dwordx2 v[62:63], v[26:27], off
	global_load_dwordx2 v[100:101], v[24:25], off
	global_load_dwordx2 v[66:67], v[102:103], off
	v_fma_f32 v21, 0, v19, v18
	v_fma_f32 v19, v18, 0, -v19
	v_add_u32_e32 v2, s33, v46
	v_div_scale_f32 v18, s[20:21], v20, v20, 1.0
	v_lshl_add_u64 v[104:105], v[2:3], 3, s[8:9]
	v_rcp_f32_e32 v33, v18
	global_load_dwordx2 v[80:81], v[104:105], off
	v_add_u32_e32 v2, s34, v46
	v_lshl_add_u64 v[106:107], v[2:3], 3, s[8:9]
	v_add_u32_e32 v2, s35, v46
	v_lshl_add_u64 v[108:109], v[2:3], 3, s[8:9]
	v_fma_f32 v2, -v18, v33, 1.0
	v_div_scale_f32 v32, vcc, 1.0, v20, 1.0
	global_load_dwordx2 v[110:111], v[106:107], off
	global_load_dwordx2 v[114:115], v[98:99], off
	v_fmac_f32_e32 v33, v2, v33
	v_mul_f32_e32 v2, v32, v33
	v_fma_f32 v47, -v18, v2, v32
	v_fmac_f32_e32 v2, v47, v33
	global_load_dwordx2 v[112:113], v[108:109], off
	v_fma_f32 v18, -v18, v2, v32
	v_div_fmas_f32 v2, v18, v33, v2
	v_div_fixup_f32 v2, v2, v20, 1.0
	v_mul_f32_e32 v18, v21, v2
	v_mul_f32_e32 v20, v19, v2
	v_add_u32_e32 v2, s36, v46
	v_lshl_add_u64 v[116:117], v[2:3], 3, s[8:9]
	global_load_dwordx2 v[118:119], v[116:117], off
	v_xor_b32_e32 v88, 0x80000000, v15
	v_mov_b32_e32 v89, v14
	v_xor_b32_e32 v94, 0x80000000, v13
	v_mov_b32_e32 v95, v12
	v_mov_b32_e32 v2, v3
	s_waitcnt vmcnt(15)
	v_mul_f32_e32 v78, v20, v36
	v_mul_f32_e64 v72, v20, -v37
	v_fmac_f32_e32 v78, v37, v18
	s_waitcnt vmcnt(12)
	v_mul_f32_e32 v86, v20, v40
	v_mul_f32_e64 v82, v20, -v41
	v_fmac_f32_e32 v86, v41, v18
	v_fmac_f32_e32 v72, v36, v18
	v_pk_mul_f32 v[32:33], v[78:79], v[88:89] op_sel_hi:[0,1]
	v_fmac_f32_e32 v82, v40, v18
	v_pk_mul_f32 v[36:37], v[86:87], v[94:95] op_sel_hi:[0,1]
	v_pk_fma_f32 v[32:33], v[14:15], v[72:73], v[32:33] op_sel_hi:[1,0,1]
	v_pk_fma_f32 v[36:37], v[12:13], v[82:83], v[36:37] op_sel_hi:[1,0,1]
	v_mul_f32_e32 v46, v20, v42
	s_waitcnt vmcnt(11)
	v_mul_f32_e32 v60, v20, v44
	v_pk_add_f32 v[32:33], v[32:33], v[36:37] neg_lo:[0,1] neg_hi:[0,1]
	v_mul_f32_e64 v36, v20, -v43
	v_fmac_f32_e32 v46, v43, v18
	v_mul_f32_e64 v50, v20, -v45
	v_fmac_f32_e32 v60, v45, v18
	global_store_dwordx2 v[30:31], v[32:33], off
	v_fmac_f32_e32 v36, v42, v18
	v_fmac_f32_e32 v50, v44, v18
	v_pk_mul_f32 v[30:31], v[46:47], v[88:89] op_sel_hi:[0,1]
	v_pk_mul_f32 v[32:33], v[60:61], v[94:95] op_sel_hi:[0,1]
	v_pk_fma_f32 v[30:31], v[14:15], v[36:37], v[30:31] op_sel_hi:[1,0,1]
	v_pk_fma_f32 v[32:33], v[12:13], v[50:51], v[32:33] op_sel_hi:[1,0,1]
	v_mul_f32_e32 v74, v20, v52
	s_waitcnt vmcnt(11)
	v_mul_f32_e32 v84, v20, v54
	v_pk_add_f32 v[30:31], v[30:31], v[32:33] neg_lo:[0,1] neg_hi:[0,1]
	v_mul_f32_e64 v64, v20, -v53
	v_fmac_f32_e32 v74, v53, v18
	v_mul_f32_e64 v76, v20, -v55
	v_fmac_f32_e32 v84, v55, v18
	global_store_dwordx2 v[38:39], v[30:31], off
	v_fmac_f32_e32 v64, v52, v18
	v_fmac_f32_e32 v76, v54, v18
	v_pk_mul_f32 v[30:31], v[74:75], v[88:89] op_sel_hi:[0,1]
	v_pk_mul_f32 v[32:33], v[84:85], v[94:95] op_sel_hi:[0,1]
	v_pk_fma_f32 v[30:31], v[14:15], v[64:65], v[30:31] op_sel_hi:[1,0,1]
	v_pk_fma_f32 v[32:33], v[12:13], v[76:77], v[32:33] op_sel_hi:[1,0,1]
	s_waitcnt vmcnt(11)
	v_mul_f32_e32 v42, v20, v56
	s_waitcnt vmcnt(7)
	v_mul_f32_e32 v52, v20, v66
	v_pk_add_f32 v[30:31], v[30:31], v[32:33] neg_lo:[0,1] neg_hi:[0,1]
	v_mul_f32_e64 v32, v20, -v57
	v_fmac_f32_e32 v42, v57, v18
	v_mul_f32_e64 v44, v20, -v67
	v_fmac_f32_e32 v52, v67, v18
	global_store_dwordx2 v[34:35], v[30:31], off
	v_fmac_f32_e32 v32, v56, v18
	v_fmac_f32_e32 v44, v66, v18
	v_pk_mul_f32 v[30:31], v[42:43], v[88:89] op_sel_hi:[0,1]
	v_pk_mul_f32 v[34:35], v[52:53], v[94:95] op_sel_hi:[0,1]
	s_waitcnt vmcnt(7)
	v_mul_f32_e64 v70, v20, -v81
	v_pk_fma_f32 v[30:31], v[14:15], v[32:33], v[30:31] op_sel_hi:[1,0,1]
	v_pk_fma_f32 v[34:35], v[12:13], v[44:45], v[34:35] op_sel_hi:[1,0,1]
	v_mul_f32_e32 v68, v20, v58
	v_fmac_f32_e32 v70, v80, v18
	v_mul_f32_e32 v80, v20, v80
	v_pk_add_f32 v[30:31], v[30:31], v[34:35] neg_lo:[0,1] neg_hi:[0,1]
	v_mul_f32_e64 v56, v20, -v59
	v_fmac_f32_e32 v68, v59, v18
	v_fmac_f32_e32 v80, v81, v18
	global_store_dwordx2 v[48:49], v[30:31], off
	v_fmac_f32_e32 v56, v58, v18
	v_pk_mul_f32 v[30:31], v[68:69], v[88:89] op_sel_hi:[0,1]
	v_pk_mul_f32 v[34:35], v[80:81], v[94:95] op_sel_hi:[0,1]
	v_pk_fma_f32 v[30:31], v[14:15], v[56:57], v[30:31] op_sel_hi:[1,0,1]
	v_pk_fma_f32 v[34:35], v[12:13], v[70:71], v[34:35] op_sel_hi:[1,0,1]
	v_mul_f32_e64 v54, v20, -v63
	v_mul_f32_e32 v58, v20, v62
	s_waitcnt vmcnt(7)
	v_mul_f32_e32 v66, v20, v110
	v_pk_add_f32 v[30:31], v[30:31], v[34:35] neg_lo:[0,1] neg_hi:[0,1]
	v_fmac_f32_e32 v54, v62, v18
	v_fmac_f32_e32 v58, v63, v18
	v_mul_f32_e64 v62, v20, -v111
	v_fmac_f32_e32 v66, v111, v18
	global_store_dwordx2 v[28:29], v[30:31], off
	v_fmac_f32_e32 v62, v110, v18
	v_pk_mul_f32 v[28:29], v[58:59], v[88:89] op_sel_hi:[0,1]
	v_pk_mul_f32 v[30:31], v[66:67], v[94:95] op_sel_hi:[0,1]
	v_pk_fma_f32 v[28:29], v[14:15], v[54:55], v[28:29] op_sel_hi:[1,0,1]
	v_pk_fma_f32 v[30:31], v[12:13], v[62:63], v[30:31] op_sel_hi:[1,0,1]
	v_mul_f32_e32 v38, v20, v100
	s_waitcnt vmcnt(6)
	v_mul_f32_e32 v48, v20, v112
	v_pk_add_f32 v[28:29], v[28:29], v[30:31] neg_lo:[0,1] neg_hi:[0,1]
	v_mul_f32_e64 v34, v20, -v101
	v_fmac_f32_e32 v38, v101, v18
	v_mul_f32_e64 v40, v20, -v113
	v_fmac_f32_e32 v48, v113, v18
	global_store_dwordx2 v[26:27], v[28:29], off
	v_fmac_f32_e32 v34, v100, v18
	v_fmac_f32_e32 v40, v112, v18
	v_pk_mul_f32 v[26:27], v[38:39], v[88:89] op_sel_hi:[0,1]
	v_pk_mul_f32 v[28:29], v[48:49], v[94:95] op_sel_hi:[0,1]
	v_pk_fma_f32 v[26:27], v[14:15], v[34:35], v[26:27] op_sel_hi:[1,0,1]
	v_pk_fma_f32 v[28:29], v[12:13], v[40:41], v[28:29] op_sel_hi:[1,0,1]
	s_waitcnt vmcnt(6)
	v_mul_f32_e32 v30, v20, v118
	v_pk_add_f32 v[26:27], v[26:27], v[28:29] neg_lo:[0,1] neg_hi:[0,1]
	global_store_dwordx2 v[24:25], v[26:27], off
	v_mul_f32_e32 v26, v20, v114
	v_mul_f32_e64 v24, v20, -v115
	v_fmac_f32_e32 v26, v115, v18
	v_fmac_f32_e32 v24, v114, v18
	v_mul_f32_e64 v28, v20, -v119
	v_fmac_f32_e32 v30, v119, v18
	v_pk_mul_f32 v[88:89], v[26:27], v[88:89] op_sel_hi:[0,1]
	v_fmac_f32_e32 v28, v118, v18
	v_pk_fma_f32 v[14:15], v[14:15], v[24:25], v[88:89] op_sel_hi:[1,0,1]
	v_pk_mul_f32 v[88:89], v[30:31], v[94:95] op_sel_hi:[0,1]
	v_pk_fma_f32 v[12:13], v[12:13], v[28:29], v[88:89] op_sel_hi:[1,0,1]
	v_pk_mul_f32 v[88:89], v[86:87], v[16:17] op_sel_hi:[0,1]
	v_pk_add_f32 v[12:13], v[14:15], v[12:13] neg_lo:[0,1] neg_hi:[0,1]
	global_store_dwordx2 v[98:99], v[12:13], off
	v_pk_add_f32 v[12:13], v[6:7], 0 neg_lo:[1,1] neg_hi:[1,1]
	v_pk_fma_f32 v[88:89], v[4:5], v[82:83], v[88:89] op_sel_hi:[1,0,1]
	v_pk_mov_b32 v[14:15], v[6:7], v[12:13] op_sel:[1,0]
	s_nop 0
	v_pk_mul_f32 v[12:13], v[14:15], v[78:79] op_sel_hi:[1,0]
	s_nop 0
	v_pk_fma_f32 v[12:13], v[6:7], v[72:73], v[12:13] op_sel_hi:[1,0,1] neg_lo:[1,0,0] neg_hi:[1,0,0]
	s_nop 0
	v_pk_add_f32 v[12:13], v[12:13], v[88:89]
	global_store_dwordx2 v[22:23], v[12:13], off
	v_pk_mul_f32 v[12:13], v[14:15], v[46:47] op_sel_hi:[1,0]
	v_pk_mul_f32 v[22:23], v[60:61], v[16:17] op_sel_hi:[0,1]
	v_pk_fma_f32 v[12:13], v[6:7], v[36:37], v[12:13] op_sel_hi:[1,0,1] neg_lo:[1,0,0] neg_hi:[1,0,0]
	v_pk_fma_f32 v[22:23], v[4:5], v[50:51], v[22:23] op_sel_hi:[1,0,1]
	s_nop 0
	v_pk_add_f32 v[12:13], v[12:13], v[22:23]
	global_store_dwordx2 v[90:91], v[12:13], off
	v_pk_mul_f32 v[12:13], v[14:15], v[74:75] op_sel_hi:[1,0]
	v_pk_mul_f32 v[22:23], v[84:85], v[16:17] op_sel_hi:[0,1]
	v_pk_fma_f32 v[12:13], v[6:7], v[64:65], v[12:13] op_sel_hi:[1,0,1] neg_lo:[1,0,0] neg_hi:[1,0,0]
	v_pk_fma_f32 v[22:23], v[4:5], v[76:77], v[22:23] op_sel_hi:[1,0,1]
	;; [unrolled: 7-line block ×7, first 2 shown]
	s_nop 0
	v_pk_add_f32 v[12:13], v[12:13], v[22:23]
	global_store_dwordx2 v[116:117], v[12:13], off
	v_mov_b32_e32 v12, v4
	v_mov_b32_e32 v13, v4
	v_mov_b64_e32 v[22:23], v[2:3]
	s_and_saveexec_b64 s[20:21], s[2:3]
	s_cbranch_execz .LBB219_16
; %bb.15:                               ;   in Loop: Header=BB219_5 Depth=1
	v_add_u32_e32 v22, v1, v93
	v_add_u32_e32 v2, s28, v22
	v_lshl_add_u64 v[88:89], v[2:3], 3, s[8:9]
	global_load_dwordx2 v[90:91], v[88:89], off
	v_mov_b32_e32 v2, v11
	v_pk_mul_f32 v[14:15], v[2:3], v[14:15] op_sel_hi:[0,1]
	v_pk_mul_f32 v[16:17], v[2:3], v[16:17] op_sel_hi:[0,1]
	v_pk_fma_f32 v[6:7], v[6:7], v[10:11], v[14:15] op_sel_hi:[1,0,1] neg_lo:[1,0,0] neg_hi:[1,0,0]
	v_pk_fma_f32 v[14:15], v[4:5], v[10:11], v[16:17] op_sel_hi:[1,0,1]
	v_mov_b32_e32 v87, v86
	v_xor_b32_e32 v16, 0x80000000, v15
	v_mov_b32_e32 v17, v14
	v_mov_b32_e32 v83, v82
	v_pk_mul_f32 v[86:87], v[86:87], v[16:17]
	v_mov_b32_e32 v79, v78
	v_pk_fma_f32 v[82:83], v[14:15], v[82:83], v[86:87]
	v_pk_add_f32 v[86:87], v[6:7], 0 neg_lo:[1,1] neg_hi:[1,1]
	v_mov_b32_e32 v73, v72
	v_pk_mov_b32 v[86:87], v[6:7], v[86:87] op_sel:[1,0]
	v_add_u32_e32 v2, s29, v22
	v_pk_mul_f32 v[78:79], v[86:87], v[78:79]
	v_mov_b32_e32 v47, v46
	v_pk_fma_f32 v[72:73], v[6:7], v[72:73], v[78:79] neg_lo:[1,0,0] neg_hi:[1,0,0]
	v_lshl_add_u64 v[78:79], v[2:3], 3, s[8:9]
	v_pk_add_f32 v[72:73], v[72:73], v[82:83] neg_lo:[0,1] neg_hi:[0,1]
	v_add_u32_e32 v2, s30, v22
	global_load_dwordx2 v[82:83], v[78:79], off
	v_mov_b32_e32 v61, v60
	v_mov_b32_e32 v37, v36
	;; [unrolled: 1-line block ×3, first 2 shown]
	v_pk_mul_f32 v[60:61], v[60:61], v[16:17]
	v_pk_mul_f32 v[46:47], v[86:87], v[46:47]
	v_mov_b32_e32 v75, v74
	v_mov_b32_e32 v85, v84
	v_pk_fma_f32 v[50:51], v[14:15], v[50:51], v[60:61]
	v_pk_fma_f32 v[36:37], v[6:7], v[36:37], v[46:47] neg_lo:[1,0,0] neg_hi:[1,0,0]
	v_mov_b32_e32 v65, v64
	v_mov_b32_e32 v77, v76
	v_pk_mul_f32 v[84:85], v[84:85], v[16:17]
	v_pk_mul_f32 v[60:61], v[86:87], v[74:75]
	v_pk_add_f32 v[36:37], v[36:37], v[50:51] neg_lo:[0,1] neg_hi:[0,1]
	v_pk_fma_f32 v[74:75], v[14:15], v[76:77], v[84:85]
	v_pk_fma_f32 v[46:47], v[6:7], v[64:65], v[60:61] neg_lo:[1,0,0] neg_hi:[1,0,0]
	v_mov_b32_e32 v43, v42
	v_pk_add_f32 v[46:47], v[46:47], v[74:75] neg_lo:[0,1] neg_hi:[0,1]
	v_mov_b32_e32 v53, v52
	v_mov_b32_e32 v33, v32
	;; [unrolled: 1-line block ×5, first 2 shown]
	v_pk_mul_f32 v[50:51], v[52:53], v[16:17]
	v_pk_mul_f32 v[42:43], v[86:87], v[42:43]
	v_mov_b32_e32 v57, v56
	v_mov_b32_e32 v71, v70
	v_pk_mul_f32 v[52:53], v[80:81], v[16:17]
	v_pk_fma_f32 v[44:45], v[14:15], v[44:45], v[50:51]
	v_pk_mul_f32 v[50:51], v[86:87], v[68:69]
	v_pk_fma_f32 v[32:33], v[6:7], v[32:33], v[42:43] neg_lo:[1,0,0] neg_hi:[1,0,0]
	v_pk_fma_f32 v[52:53], v[14:15], v[70:71], v[52:53]
	v_pk_fma_f32 v[42:43], v[6:7], v[56:57], v[50:51] neg_lo:[1,0,0] neg_hi:[1,0,0]
	v_pk_add_f32 v[32:33], v[32:33], v[44:45] neg_lo:[0,1] neg_hi:[0,1]
	v_pk_add_f32 v[42:43], v[42:43], v[52:53] neg_lo:[0,1] neg_hi:[0,1]
	v_mov_b32_e32 v59, v58
	v_mov_b32_e32 v67, v66
	;; [unrolled: 1-line block ×8, first 2 shown]
	v_pk_mul_f32 v[38:39], v[86:87], v[38:39]
	v_ashrrev_i32_e32 v23, 31, v22
	v_pk_fma_f32 v[34:35], v[6:7], v[34:35], v[38:39] neg_lo:[1,0,0] neg_hi:[1,0,0]
	v_mov_b32_e32 v27, v26
	v_mov_b32_e32 v31, v30
	;; [unrolled: 1-line block ×4, first 2 shown]
	s_waitcnt vmcnt(1)
	v_pk_add_f32 v[72:73], v[72:73], v[90:91]
	v_lshl_add_u64 v[90:91], v[2:3], 3, s[8:9]
	global_store_dwordx2 v[88:89], v[72:73], off
	global_load_dwordx2 v[72:73], v[90:91], off
	v_add_u32_e32 v2, s31, v22
	v_lshl_add_u64 v[88:89], v[2:3], 3, s[8:9]
	v_add_u32_e32 v2, s33, v22
	v_lshl_add_u64 v[76:77], v[2:3], 3, s[8:9]
	;; [unrolled: 2-line block ×3, first 2 shown]
	v_add_u32_e32 v2, s35, v22
	s_waitcnt vmcnt(2)
	v_pk_add_f32 v[36:37], v[36:37], v[82:83]
	global_store_dwordx2 v[78:79], v[36:37], off
	global_load_dwordx2 v[36:37], v[88:89], off
	s_waitcnt vmcnt(2)
	v_pk_add_f32 v[46:47], v[46:47], v[72:73]
	global_store_dwordx2 v[90:91], v[46:47], off
	global_load_dwordx2 v[46:47], v[76:77], off
	s_waitcnt vmcnt(2)
	v_pk_add_f32 v[32:33], v[32:33], v[36:37]
	global_store_dwordx2 v[88:89], v[32:33], off
	v_pk_mul_f32 v[36:37], v[66:67], v[16:17]
	s_waitcnt vmcnt(1)
	v_pk_add_f32 v[32:33], v[42:43], v[46:47]
	global_store_dwordx2 v[76:77], v[32:33], off
	global_load_dwordx2 v[32:33], v[50:51], off
	v_pk_mul_f32 v[42:43], v[86:87], v[58:59]
	v_pk_fma_f32 v[36:37], v[14:15], v[62:63], v[36:37]
	v_pk_fma_f32 v[42:43], v[6:7], v[54:55], v[42:43] neg_lo:[1,0,0] neg_hi:[1,0,0]
	s_nop 0
	v_pk_add_f32 v[36:37], v[42:43], v[36:37] neg_lo:[0,1] neg_hi:[0,1]
	v_lshl_add_u64 v[42:43], v[2:3], 3, s[8:9]
	v_add_u32_e32 v2, s36, v22
	v_lshl_add_u64 v[22:23], v[22:23], 3, s[14:15]
	global_load_dwordx2 v[22:23], v[22:23], off
	s_waitcnt vmcnt(1)
	v_pk_add_f32 v[32:33], v[36:37], v[32:33]
	global_store_dwordx2 v[50:51], v[32:33], off
	global_load_dwordx2 v[32:33], v[42:43], off
	v_pk_mul_f32 v[36:37], v[48:49], v[16:17]
	s_nop 0
	v_pk_fma_f32 v[36:37], v[14:15], v[40:41], v[36:37]
	s_nop 0
	v_pk_add_f32 v[34:35], v[34:35], v[36:37] neg_lo:[0,1] neg_hi:[0,1]
	v_lshl_add_u64 v[36:37], v[2:3], 3, s[8:9]
	v_mov_b32_e32 v2, v9
	s_waitcnt vmcnt(0)
	v_pk_add_f32 v[32:33], v[34:35], v[32:33]
	global_store_dwordx2 v[42:43], v[32:33], off
	global_load_dwordx2 v[32:33], v[36:37], off
	v_xor_b32_e32 v34, 0x80000000, v11
	v_mov_b32_e32 v35, v10
	v_pk_mul_f32 v[4:5], v[4:5], v[34:35] op_sel:[1,0]
	s_nop 0
	v_pk_fma_f32 v[4:5], v[10:11], v[12:13], v[4:5]
	v_pk_mul_f32 v[12:13], v[30:31], v[16:17]
	v_xor_b32_e32 v10, 0x80000000, v5
	v_mov_b32_e32 v11, v4
	v_pk_mul_f32 v[10:11], v[2:3], v[10:11] op_sel_hi:[0,1]
	v_pk_fma_f32 v[4:5], v[4:5], v[8:9], v[10:11] op_sel_hi:[1,0,1]
	v_pk_mul_f32 v[16:17], v[86:87], v[26:27]
	v_xor_b32_e32 v8, 0x80000000, v5
	v_mov_b32_e32 v9, v4
	v_pk_fma_f32 v[12:13], v[14:15], v[28:29], v[12:13]
	v_pk_fma_f32 v[6:7], v[6:7], v[24:25], v[16:17] neg_lo:[1,0,0] neg_hi:[1,0,0]
	v_pk_mul_f32 v[8:9], v[20:21], v[8:9] op_sel_hi:[0,1]
	v_pk_add_f32 v[6:7], v[6:7], v[12:13] neg_lo:[0,1] neg_hi:[0,1]
	v_pk_fma_f32 v[4:5], v[4:5], v[18:19], v[8:9] op_sel_hi:[1,0,1]
	s_waitcnt vmcnt(0)
	v_pk_add_f32 v[6:7], v[6:7], v[32:33]
	v_pk_add_f32 v[22:23], v[22:23], v[4:5] neg_lo:[0,1] neg_hi:[0,1]
	global_store_dwordx2 v[36:37], v[6:7], off
.LBB219_16:                             ;   in Loop: Header=BB219_5 Depth=1
	s_or_b64 exec, exec, s[20:21]
	v_mov_b64_e32 v[4:5], v[22:23]
                                        ; implicit-def: $vgpr12_vgpr13
                                        ; implicit-def: $vgpr6
                                        ; implicit-def: $vgpr14_vgpr15
                                        ; implicit-def: $vgpr38
                                        ; implicit-def: $vgpr34
                                        ; implicit-def: $vgpr32
                                        ; implicit-def: $vgpr28
                                        ; implicit-def: $vgpr26
                                        ; implicit-def: $vgpr24
                                        ; implicit-def: $vgpr20
                                        ; implicit-def: $vgpr18
.LBB219_17:                             ;   in Loop: Header=BB219_5 Depth=1
	s_or_saveexec_b64 s[2:3], s[4:5]
	v_mov_b32_e32 v8, s27
	s_xor_b64 exec, exec, s[2:3]
	s_cbranch_execz .LBB219_4
; %bb.18:                               ;   in Loop: Header=BB219_5 Depth=1
	v_mov_b32_e32 v29, v3
	v_lshl_add_u64 v[10:11], v[2:3], 3, s[8:9]
	v_mov_b32_e32 v39, v3
	v_mov_b32_e32 v35, v3
	;; [unrolled: 1-line block ×3, first 2 shown]
	v_lshl_add_u64 v[42:43], v[28:29], 3, s[8:9]
	v_mov_b32_e32 v27, v3
	v_mov_b32_e32 v25, v3
	;; [unrolled: 1-line block ×3, first 2 shown]
	v_lshl_add_u64 v[36:37], v[38:39], 3, s[8:9]
	v_lshl_add_u64 v[34:35], v[34:35], 3, s[8:9]
	;; [unrolled: 1-line block ×3, first 2 shown]
	global_load_dwordx2 v[16:17], v[10:11], off
	global_load_dwordx2 v[22:23], v[36:37], off
	global_load_dwordx2 v[38:39], v[34:35], off
	global_load_dwordx2 v[40:41], v[32:33], off
	v_lshl_add_u64 v[44:45], v[26:27], 3, s[8:9]
	v_lshl_add_u64 v[46:47], v[24:25], 3, s[8:9]
	;; [unrolled: 1-line block ×3, first 2 shown]
	global_load_dwordx2 v[20:21], v[42:43], off
	global_load_dwordx2 v[50:51], v[44:45], off
	;; [unrolled: 1-line block ×4, first 2 shown]
	v_mul_f32_e32 v2, v5, v5
	v_fmac_f32_e32 v2, v4, v4
	v_div_scale_f32 v9, s[4:5], v2, v2, 1.0
	v_rcp_f32_e32 v19, v9
	v_fma_f32 v8, 0, v5, v4
	v_fma_f32 v5, v4, 0, -v5
	v_div_scale_f32 v4, vcc, 1.0, v2, 1.0
	v_fma_f32 v24, -v9, v19, 1.0
	v_fmac_f32_e32 v19, v24, v19
	v_mul_f32_e32 v24, v4, v19
	v_fma_f32 v25, -v9, v24, v4
	v_fmac_f32_e32 v24, v25, v19
	v_fma_f32 v4, -v9, v24, v4
	v_div_fmas_f32 v4, v4, v19, v24
	v_div_fixup_f32 v2, v4, v2, 1.0
	v_mul_f32_e32 v4, v8, v2
	v_mul_f32_e32 v8, v5, v2
	s_waitcnt vmcnt(7)
	v_pk_mul_f32 v[24:25], v[8:9], v[16:17] op_sel:[0,1] op_sel_hi:[0,0] neg_lo:[0,1]
	v_pk_fma_f32 v[26:27], v[16:17], v[4:5], v[24:25] op_sel_hi:[1,0,1]
	s_waitcnt vmcnt(6)
	v_pk_mul_f32 v[16:17], v[8:9], v[22:23] op_sel:[0,1] op_sel_hi:[0,0] neg_lo:[0,1]
	s_waitcnt vmcnt(5)
	v_pk_mul_f32 v[24:25], v[8:9], v[38:39] op_sel:[0,1] op_sel_hi:[0,0] neg_lo:[0,1]
	s_waitcnt vmcnt(4)
	v_pk_mul_f32 v[56:57], v[8:9], v[40:41] op_sel:[0,1] op_sel_hi:[0,0] neg_lo:[0,1]
	s_waitcnt vmcnt(3)
	v_pk_mul_f32 v[58:59], v[8:9], v[20:21] op_sel:[0,1] op_sel_hi:[0,0] neg_lo:[0,1]
	s_waitcnt vmcnt(2)
	v_pk_mul_f32 v[60:61], v[8:9], v[50:51] op_sel:[0,1] op_sel_hi:[0,0] neg_lo:[0,1]
	s_waitcnt vmcnt(1)
	v_pk_mul_f32 v[62:63], v[8:9], v[52:53] op_sel:[0,1] op_sel_hi:[0,0] neg_lo:[0,1]
	s_waitcnt vmcnt(0)
	v_pk_mul_f32 v[64:65], v[8:9], v[54:55] op_sel:[0,1] op_sel_hi:[0,0] neg_lo:[0,1]
	global_store_dwordx2 v[10:11], v[26:27], off
	v_pk_fma_f32 v[30:31], v[22:23], v[4:5], v[16:17] op_sel_hi:[1,0,1]
	v_pk_fma_f32 v[28:29], v[38:39], v[4:5], v[24:25] op_sel_hi:[1,0,1]
	;; [unrolled: 1-line block ×7, first 2 shown]
	global_store_dwordx2 v[36:37], v[30:31], off
	global_store_dwordx2 v[34:35], v[28:29], off
	;; [unrolled: 1-line block ×7, first 2 shown]
	s_and_saveexec_b64 s[4:5], s[0:1]
	s_cbranch_execz .LBB219_3
; %bb.19:                               ;   in Loop: Header=BB219_5 Depth=1
	v_add_u32_e32 v5, v92, v93
	v_add_u32_e32 v2, s28, v5
	v_lshl_add_u64 v[32:33], v[2:3], 3, s[8:9]
	global_load_dwordx2 v[34:35], v[32:33], off
	v_add_u32_e32 v2, s29, v5
	v_xor_b32_e32 v36, 0x80000000, v6
	v_mov_b32_e32 v37, v18
	v_lshl_add_u64 v[40:41], v[2:3], 3, s[8:9]
	v_mov_b32_e32 v38, v7
	v_mov_b32_e32 v39, v36
	global_load_dwordx2 v[42:43], v[40:41], off
	v_add_u32_e32 v2, s30, v5
	v_lshl_add_u64 v[44:45], v[2:3], 3, s[8:9]
	v_add_u32_e32 v2, s31, v5
	s_waitcnt vmcnt(1)
	v_pk_fma_f32 v[34:35], v[36:37], v[26:27], v[34:35] op_sel_hi:[1,0,1]
	s_nop 0
	v_pk_fma_f32 v[26:27], v[38:39], v[26:27], v[34:35] op_sel:[0,1,0]
	global_store_dwordx2 v[32:33], v[26:27], off
	global_load_dwordx2 v[26:27], v[44:45], off
	v_lshl_add_u64 v[32:33], v[2:3], 3, s[8:9]
	v_add_u32_e32 v2, s33, v5
	v_lshl_add_u64 v[34:35], v[2:3], 3, s[8:9]
	s_waitcnt vmcnt(2)
	v_pk_fma_f32 v[42:43], v[36:37], v[30:31], v[42:43] op_sel_hi:[1,0,1]
	v_add_u32_e32 v2, s34, v5
	v_pk_fma_f32 v[30:31], v[38:39], v[30:31], v[42:43] op_sel:[0,1,0]
	global_store_dwordx2 v[40:41], v[30:31], off
	global_load_dwordx2 v[30:31], v[32:33], off
	s_waitcnt vmcnt(2)
	v_pk_fma_f32 v[26:27], v[36:37], v[28:29], v[26:27] op_sel_hi:[1,0,1]
	s_nop 0
	v_pk_fma_f32 v[26:27], v[38:39], v[28:29], v[26:27] op_sel:[0,1,0]
	global_store_dwordx2 v[44:45], v[26:27], off
	global_load_dwordx2 v[26:27], v[34:35], off
	v_lshl_add_u64 v[28:29], v[2:3], 3, s[8:9]
	v_add_u32_e32 v2, s35, v5
	s_waitcnt vmcnt(2)
	v_pk_fma_f32 v[30:31], v[36:37], v[24:25], v[30:31] op_sel_hi:[1,0,1]
	s_nop 0
	v_pk_fma_f32 v[24:25], v[38:39], v[24:25], v[30:31] op_sel:[0,1,0]
	global_store_dwordx2 v[32:33], v[24:25], off
	s_waitcnt vmcnt(1)
	v_pk_fma_f32 v[24:25], v[36:37], v[22:23], v[26:27] op_sel_hi:[1,0,1]
	s_nop 0
	v_pk_fma_f32 v[22:23], v[38:39], v[22:23], v[24:25] op_sel:[0,1,0]
	global_store_dwordx2 v[34:35], v[22:23], off
	global_load_dwordx2 v[22:23], v[28:29], off
	v_lshl_add_u64 v[24:25], v[2:3], 3, s[8:9]
	v_add_u32_e32 v2, s36, v5
	s_waitcnt vmcnt(0)
	v_pk_fma_f32 v[22:23], v[36:37], v[20:21], v[22:23] op_sel_hi:[1,0,1]
	s_nop 0
	v_pk_fma_f32 v[20:21], v[38:39], v[20:21], v[22:23] op_sel:[0,1,0]
	global_store_dwordx2 v[28:29], v[20:21], off
	global_load_dwordx2 v[20:21], v[24:25], off
	s_waitcnt vmcnt(0)
	v_pk_fma_f32 v[20:21], v[36:37], v[16:17], v[20:21] op_sel_hi:[1,0,1]
	s_nop 0
	v_pk_fma_f32 v[16:17], v[38:39], v[16:17], v[20:21] op_sel:[0,1,0]
	global_store_dwordx2 v[24:25], v[16:17], off
	v_lshl_add_u64 v[16:17], v[2:3], 3, s[8:9]
	global_load_dwordx2 v[20:21], v[16:17], off
	s_waitcnt vmcnt(0)
	v_pk_fma_f32 v[20:21], v[36:37], v[10:11], v[20:21] op_sel_hi:[1,0,1]
	s_nop 0
	v_pk_fma_f32 v[10:11], v[38:39], v[10:11], v[20:21] op_sel:[0,1,0]
	global_store_dwordx2 v[16:17], v[10:11], off
	s_branch .LBB219_3
.LBB219_20:
	s_or_b64 exec, exec, s[18:19]
	s_branch .LBB219_22
.LBB219_21:
	v_mov_b32_e32 v93, 0
.LBB219_22:
	v_subrev_u32_e32 v1, s22, v93
	v_add_u32_e32 v2, v1, v0
	v_ashrrev_i32_e32 v3, 31, v2
	s_waitcnt lgkmcnt(0)
	v_lshl_add_u64 v[2:3], v[2:3], 2, s[6:7]
	buffer_wbl2 sc1
	s_waitcnt vmcnt(0)
	buffer_inv sc1
	global_load_dword v2, v[2:3], off
	s_waitcnt vmcnt(0)
	v_mul_lo_u32 v2, v2, s22
	v_sub_u32_e32 v1, v1, v2
	v_cmp_lt_i32_e32 vcc, -1, v1
	s_and_b64 exec, exec, vcc
	s_cbranch_execz .LBB219_29
; %bb.23:
	s_lshl_b32 s4, s24, 3
	s_add_i32 s5, s4, s23
	s_add_i32 s12, s5, s23
	s_add_i32 s13, s12, s23
	s_add_i32 s14, s13, s23
	s_add_i32 s15, s14, s23
	s_add_i32 s16, s15, s23
	s_add_i32 s17, s16, s23
	s_lshl_b32 s18, s22, 1
	s_mov_b64 s[0:1], 0
	v_mov_b32_e32 v3, 0
	s_branch .LBB219_25
.LBB219_24:                             ;   in Loop: Header=BB219_25 Depth=1
	s_or_b64 exec, exec, s[2:3]
	v_sub_u32_e32 v1, v1, v2
	v_cmp_gt_i32_e32 vcc, 0, v1
	s_or_b64 s[0:1], vcc, s[0:1]
	s_andn2_b64 exec, exec, s[0:1]
	s_cbranch_execz .LBB219_29
.LBB219_25:                             ; =>This Inner Loop Header: Depth=1
	v_add_u32_e32 v4, v1, v0
	v_ashrrev_i32_e32 v5, 31, v4
	s_waitcnt vmcnt(0)
	v_lshl_add_u64 v[6:7], v[4:5], 2, s[6:7]
	global_load_dword v2, v[6:7], off
	v_lshl_add_u64 v[6:7], v[4:5], 3, s[10:11]
	global_load_dwordx2 v[6:7], v[6:7], off
	s_waitcnt vmcnt(1)
	v_cmp_ne_u32_e32 vcc, 1, v2
	s_and_saveexec_b64 s[2:3], vcc
	s_xor_b64 s[2:3], exec, s[2:3]
	s_cbranch_execz .LBB219_27
; %bb.26:                               ;   in Loop: Header=BB219_25 Depth=1
	v_add_u32_e32 v5, v92, v1
	v_add_u32_e32 v2, s4, v5
	v_lshl_add_u64 v[8:9], v[2:3], 3, s[8:9]
	v_add_u32_e32 v2, s5, v5
	v_lshl_add_u64 v[10:11], v[2:3], 3, s[8:9]
	;; [unrolled: 2-line block ×9, first 2 shown]
	global_load_dwordx2 v[8:9], v[8:9], off
	s_waitcnt vmcnt(1)
	v_pk_add_f32 v[28:29], v[6:7], 0 neg_lo:[1,1] neg_hi:[1,1]
	global_load_dwordx2 v[26:27], v[24:25], off
	v_xor_b32_e32 v31, 0x80000000, v7
	v_mov_b32_e32 v30, v28
	v_pk_mov_b32 v[6:7], v[6:7], v[28:29] op_sel:[1,0]
	global_load_dwordx2 v[28:29], v[10:11], off
	global_load_dwordx2 v[32:33], v[12:13], off
	;; [unrolled: 1-line block ×7, first 2 shown]
	v_add_u32_e32 v2, s5, v4
	v_lshl_add_u64 v[10:11], v[2:3], 3, s[8:9]
	v_add_u32_e32 v2, s12, v4
	v_lshl_add_u64 v[14:15], v[2:3], 3, s[8:9]
	v_add_u32_e32 v2, s13, v4
	s_waitcnt vmcnt(7)
	v_pk_fma_f32 v[12:13], v[30:31], v[8:9], v[26:27] op_sel_hi:[1,0,1]
	s_nop 0
	v_pk_fma_f32 v[12:13], v[6:7], v[8:9], v[12:13] op_sel:[0,1,0]
	global_store_dwordx2 v[24:25], v[12:13], off
	global_load_dwordx2 v[12:13], v[10:11], off
	s_waitcnt vmcnt(0)
	v_pk_fma_f32 v[12:13], v[30:31], v[28:29], v[12:13] op_sel_hi:[1,0,1]
	s_nop 0
	v_pk_fma_f32 v[12:13], v[6:7], v[28:29], v[12:13] op_sel:[0,1,0]
	global_store_dwordx2 v[10:11], v[12:13], off
	global_load_dwordx2 v[10:11], v[14:15], off
	v_lshl_add_u64 v[12:13], v[2:3], 3, s[8:9]
	v_add_u32_e32 v2, s14, v4
	s_waitcnt vmcnt(0)
	v_pk_fma_f32 v[10:11], v[30:31], v[32:33], v[10:11] op_sel_hi:[1,0,1]
	s_nop 0
	v_pk_fma_f32 v[10:11], v[6:7], v[32:33], v[10:11] op_sel:[0,1,0]
	global_store_dwordx2 v[14:15], v[10:11], off
	global_load_dwordx2 v[10:11], v[12:13], off
	v_lshl_add_u64 v[14:15], v[2:3], 3, s[8:9]
	v_add_u32_e32 v2, s15, v4
	;; [unrolled: 8-line block ×4, first 2 shown]
	v_lshl_add_u64 v[4:5], v[2:3], 3, s[8:9]
	v_subrev_u32_e32 v2, s22, v1
	s_waitcnt vmcnt(0)
	v_pk_fma_f32 v[10:11], v[30:31], v[38:39], v[10:11] op_sel_hi:[1,0,1]
	s_nop 0
	v_pk_fma_f32 v[10:11], v[6:7], v[38:39], v[10:11] op_sel:[0,1,0]
	global_store_dwordx2 v[12:13], v[10:11], off
	global_load_dwordx2 v[10:11], v[14:15], off
	v_add_u32_e32 v12, v2, v0
	v_ashrrev_i32_e32 v13, 31, v12
	v_add_u32_e32 v2, s4, v12
	v_lshl_add_u64 v[16:17], v[2:3], 3, s[8:9]
	v_add_u32_e32 v2, s5, v12
	s_waitcnt vmcnt(0)
	v_pk_fma_f32 v[10:11], v[30:31], v[40:41], v[10:11] op_sel_hi:[1,0,1]
	s_nop 0
	v_pk_fma_f32 v[10:11], v[6:7], v[40:41], v[10:11] op_sel:[0,1,0]
	global_store_dwordx2 v[14:15], v[10:11], off
	global_load_dwordx2 v[10:11], v[4:5], off
	v_lshl_add_u64 v[14:15], v[12:13], 3, s[10:11]
	global_load_dwordx2 v[14:15], v[14:15], off
	s_waitcnt vmcnt(1)
	v_pk_fma_f32 v[10:11], v[30:31], v[42:43], v[10:11] op_sel_hi:[1,0,1]
	s_nop 0
	v_pk_fma_f32 v[6:7], v[6:7], v[42:43], v[10:11] op_sel:[0,1,0]
	global_store_dwordx2 v[4:5], v[6:7], off
	global_load_dwordx2 v[4:5], v[16:17], off
	s_waitcnt vmcnt(2)
	v_pk_add_f32 v[10:11], v[14:15], 0 neg_lo:[1,1] neg_hi:[1,1]
	v_lshl_add_u64 v[6:7], v[2:3], 3, s[8:9]
	v_pk_mov_b32 v[10:11], v[14:15], v[10:11] op_sel:[1,0]
	v_add_u32_e32 v2, s12, v12
	s_waitcnt vmcnt(0)
	v_pk_fma_f32 v[4:5], v[14:15], v[8:9], v[4:5] op_sel_hi:[1,0,1] neg_lo:[1,0,0] neg_hi:[1,0,0]
	s_nop 0
	v_pk_fma_f32 v[4:5], v[10:11], v[8:9], v[4:5] op_sel:[0,1,0]
	global_store_dwordx2 v[16:17], v[4:5], off
	global_load_dwordx2 v[4:5], v[6:7], off
	v_lshl_add_u64 v[8:9], v[2:3], 3, s[8:9]
	v_add_u32_e32 v2, s13, v12
	s_waitcnt vmcnt(0)
	v_pk_fma_f32 v[4:5], v[14:15], v[28:29], v[4:5] op_sel_hi:[1,0,1] neg_lo:[1,0,0] neg_hi:[1,0,0]
	s_nop 0
	v_pk_fma_f32 v[4:5], v[10:11], v[28:29], v[4:5] op_sel:[0,1,0]
	global_store_dwordx2 v[6:7], v[4:5], off
	global_load_dwordx2 v[4:5], v[8:9], off
	v_lshl_add_u64 v[6:7], v[2:3], 3, s[8:9]
	;; [unrolled: 8-line block ×6, first 2 shown]
	s_waitcnt vmcnt(0)
	v_pk_fma_f32 v[4:5], v[14:15], v[40:41], v[4:5] op_sel_hi:[1,0,1] neg_lo:[1,0,0] neg_hi:[1,0,0]
	s_nop 0
	v_pk_fma_f32 v[4:5], v[10:11], v[40:41], v[4:5] op_sel:[0,1,0]
	global_store_dwordx2 v[8:9], v[4:5], off
	global_load_dwordx2 v[4:5], v[6:7], off
	s_waitcnt vmcnt(0)
	v_pk_fma_f32 v[4:5], v[14:15], v[42:43], v[4:5] op_sel_hi:[1,0,1] neg_lo:[1,0,0] neg_hi:[1,0,0]
	s_nop 0
	v_pk_fma_f32 v[4:5], v[10:11], v[42:43], v[4:5] op_sel:[0,1,0]
	global_store_dwordx2 v[6:7], v[4:5], off
                                        ; implicit-def: $vgpr4
                                        ; implicit-def: $vgpr6_vgpr7
.LBB219_27:                             ;   in Loop: Header=BB219_25 Depth=1
	s_or_saveexec_b64 s[2:3], s[2:3]
	v_mov_b32_e32 v2, s18
	s_xor_b64 exec, exec, s[2:3]
	s_cbranch_execz .LBB219_24
; %bb.28:                               ;   in Loop: Header=BB219_25 Depth=1
	v_add_u32_e32 v5, v92, v1
	v_add_u32_e32 v2, s4, v5
	v_lshl_add_u64 v[8:9], v[2:3], 3, s[8:9]
	v_add_u32_e32 v2, s4, v4
	v_lshl_add_u64 v[10:11], v[2:3], 3, s[8:9]
	global_load_dwordx2 v[12:13], v[8:9], off
	global_load_dwordx2 v[14:15], v[10:11], off
	s_waitcnt vmcnt(2)
	v_pk_add_f32 v[8:9], v[6:7], 0 neg_lo:[1,1] neg_hi:[1,1]
	v_xor_b32_e32 v17, 0x80000000, v7
	v_mov_b32_e32 v16, v8
	v_pk_mov_b32 v[8:9], v[6:7], v[8:9] op_sel:[1,0]
	v_add_u32_e32 v2, s5, v5
	v_lshl_add_u64 v[18:19], v[2:3], 3, s[8:9]
	v_add_u32_e32 v2, s5, v4
	v_lshl_add_u64 v[20:21], v[2:3], 3, s[8:9]
	v_add_u32_e32 v2, s12, v5
	s_waitcnt vmcnt(0)
	v_pk_fma_f32 v[14:15], v[16:17], v[12:13], v[14:15] op_sel_hi:[1,0,1]
	s_nop 0
	v_pk_fma_f32 v[12:13], v[8:9], v[12:13], v[14:15] op_sel:[0,1,0]
	global_store_dwordx2 v[10:11], v[12:13], off
	global_load_dwordx2 v[10:11], v[18:19], off
	s_nop 0
	global_load_dwordx2 v[12:13], v[20:21], off
	v_lshl_add_u64 v[14:15], v[2:3], 3, s[8:9]
	v_add_u32_e32 v2, s12, v4
	v_lshl_add_u64 v[18:19], v[2:3], 3, s[8:9]
	v_add_u32_e32 v2, s13, v5
	s_waitcnt vmcnt(0)
	v_pk_fma_f32 v[12:13], v[16:17], v[10:11], v[12:13] op_sel_hi:[1,0,1]
	s_nop 0
	v_pk_fma_f32 v[10:11], v[8:9], v[10:11], v[12:13] op_sel:[0,1,0]
	global_store_dwordx2 v[20:21], v[10:11], off
	global_load_dwordx2 v[10:11], v[14:15], off
	s_nop 0
	global_load_dwordx2 v[12:13], v[18:19], off
	;; [unrolled: 12-line block ×6, first 2 shown]
	v_lshl_add_u64 v[14:15], v[2:3], 3, s[8:9]
	v_add_u32_e32 v2, s17, v4
	v_lshl_add_u64 v[4:5], v[2:3], 3, s[8:9]
	v_mov_b32_e32 v2, s22
	s_waitcnt vmcnt(0)
	v_pk_fma_f32 v[12:13], v[16:17], v[10:11], v[12:13] op_sel_hi:[1,0,1]
	s_nop 0
	v_pk_fma_f32 v[10:11], v[8:9], v[10:11], v[12:13] op_sel:[0,1,0]
	global_store_dwordx2 v[18:19], v[10:11], off
	global_load_dwordx2 v[10:11], v[14:15], off
	s_nop 0
	global_load_dwordx2 v[12:13], v[4:5], off
	s_waitcnt vmcnt(0)
	v_pk_fma_f32 v[6:7], v[6:7], v[10:11], v[12:13] op_sel_hi:[1,0,1] neg_lo:[1,0,0] neg_hi:[1,0,0]
	s_nop 0
	v_pk_fma_f32 v[6:7], v[8:9], v[10:11], v[6:7] op_sel:[0,1,0]
	global_store_dwordx2 v[4:5], v[6:7], off
	s_branch .LBB219_24
.LBB219_29:
	s_endpgm
	.section	.rodata,"a",@progbits
	.p2align	6, 0x0
	.amdhsa_kernel _ZN9rocsparseL19gtsv_LBM_rhs_kernelILj256ELj16ELj8E21rocsparse_complex_numIfEEEviiiPKT2_S5_S5_PS3_S5_PKi
		.amdhsa_group_segment_fixed_size 0
		.amdhsa_private_segment_fixed_size 0
		.amdhsa_kernarg_size 64
		.amdhsa_user_sgpr_count 2
		.amdhsa_user_sgpr_dispatch_ptr 0
		.amdhsa_user_sgpr_queue_ptr 0
		.amdhsa_user_sgpr_kernarg_segment_ptr 1
		.amdhsa_user_sgpr_dispatch_id 0
		.amdhsa_user_sgpr_kernarg_preload_length 0
		.amdhsa_user_sgpr_kernarg_preload_offset 0
		.amdhsa_user_sgpr_private_segment_size 0
		.amdhsa_uses_dynamic_stack 0
		.amdhsa_enable_private_segment 0
		.amdhsa_system_sgpr_workgroup_id_x 1
		.amdhsa_system_sgpr_workgroup_id_y 1
		.amdhsa_system_sgpr_workgroup_id_z 0
		.amdhsa_system_sgpr_workgroup_info 0
		.amdhsa_system_vgpr_workitem_id 0
		.amdhsa_next_free_vgpr 120
		.amdhsa_next_free_sgpr 37
		.amdhsa_accum_offset 120
		.amdhsa_reserve_vcc 1
		.amdhsa_float_round_mode_32 0
		.amdhsa_float_round_mode_16_64 0
		.amdhsa_float_denorm_mode_32 3
		.amdhsa_float_denorm_mode_16_64 3
		.amdhsa_dx10_clamp 1
		.amdhsa_ieee_mode 1
		.amdhsa_fp16_overflow 0
		.amdhsa_tg_split 0
		.amdhsa_exception_fp_ieee_invalid_op 0
		.amdhsa_exception_fp_denorm_src 0
		.amdhsa_exception_fp_ieee_div_zero 0
		.amdhsa_exception_fp_ieee_overflow 0
		.amdhsa_exception_fp_ieee_underflow 0
		.amdhsa_exception_fp_ieee_inexact 0
		.amdhsa_exception_int_div_zero 0
	.end_amdhsa_kernel
	.section	.text._ZN9rocsparseL19gtsv_LBM_rhs_kernelILj256ELj16ELj8E21rocsparse_complex_numIfEEEviiiPKT2_S5_S5_PS3_S5_PKi,"axG",@progbits,_ZN9rocsparseL19gtsv_LBM_rhs_kernelILj256ELj16ELj8E21rocsparse_complex_numIfEEEviiiPKT2_S5_S5_PS3_S5_PKi,comdat
.Lfunc_end219:
	.size	_ZN9rocsparseL19gtsv_LBM_rhs_kernelILj256ELj16ELj8E21rocsparse_complex_numIfEEEviiiPKT2_S5_S5_PS3_S5_PKi, .Lfunc_end219-_ZN9rocsparseL19gtsv_LBM_rhs_kernelILj256ELj16ELj8E21rocsparse_complex_numIfEEEviiiPKT2_S5_S5_PS3_S5_PKi
                                        ; -- End function
	.set _ZN9rocsparseL19gtsv_LBM_rhs_kernelILj256ELj16ELj8E21rocsparse_complex_numIfEEEviiiPKT2_S5_S5_PS3_S5_PKi.num_vgpr, 120
	.set _ZN9rocsparseL19gtsv_LBM_rhs_kernelILj256ELj16ELj8E21rocsparse_complex_numIfEEEviiiPKT2_S5_S5_PS3_S5_PKi.num_agpr, 0
	.set _ZN9rocsparseL19gtsv_LBM_rhs_kernelILj256ELj16ELj8E21rocsparse_complex_numIfEEEviiiPKT2_S5_S5_PS3_S5_PKi.numbered_sgpr, 37
	.set _ZN9rocsparseL19gtsv_LBM_rhs_kernelILj256ELj16ELj8E21rocsparse_complex_numIfEEEviiiPKT2_S5_S5_PS3_S5_PKi.num_named_barrier, 0
	.set _ZN9rocsparseL19gtsv_LBM_rhs_kernelILj256ELj16ELj8E21rocsparse_complex_numIfEEEviiiPKT2_S5_S5_PS3_S5_PKi.private_seg_size, 0
	.set _ZN9rocsparseL19gtsv_LBM_rhs_kernelILj256ELj16ELj8E21rocsparse_complex_numIfEEEviiiPKT2_S5_S5_PS3_S5_PKi.uses_vcc, 1
	.set _ZN9rocsparseL19gtsv_LBM_rhs_kernelILj256ELj16ELj8E21rocsparse_complex_numIfEEEviiiPKT2_S5_S5_PS3_S5_PKi.uses_flat_scratch, 0
	.set _ZN9rocsparseL19gtsv_LBM_rhs_kernelILj256ELj16ELj8E21rocsparse_complex_numIfEEEviiiPKT2_S5_S5_PS3_S5_PKi.has_dyn_sized_stack, 0
	.set _ZN9rocsparseL19gtsv_LBM_rhs_kernelILj256ELj16ELj8E21rocsparse_complex_numIfEEEviiiPKT2_S5_S5_PS3_S5_PKi.has_recursion, 0
	.set _ZN9rocsparseL19gtsv_LBM_rhs_kernelILj256ELj16ELj8E21rocsparse_complex_numIfEEEviiiPKT2_S5_S5_PS3_S5_PKi.has_indirect_call, 0
	.section	.AMDGPU.csdata,"",@progbits
; Kernel info:
; codeLenInByte = 6184
; TotalNumSgprs: 43
; NumVgprs: 120
; NumAgprs: 0
; TotalNumVgprs: 120
; ScratchSize: 0
; MemoryBound: 0
; FloatMode: 240
; IeeeMode: 1
; LDSByteSize: 0 bytes/workgroup (compile time only)
; SGPRBlocks: 5
; VGPRBlocks: 14
; NumSGPRsForWavesPerEU: 43
; NumVGPRsForWavesPerEU: 120
; AccumOffset: 120
; Occupancy: 4
; WaveLimiterHint : 0
; COMPUTE_PGM_RSRC2:SCRATCH_EN: 0
; COMPUTE_PGM_RSRC2:USER_SGPR: 2
; COMPUTE_PGM_RSRC2:TRAP_HANDLER: 0
; COMPUTE_PGM_RSRC2:TGID_X_EN: 1
; COMPUTE_PGM_RSRC2:TGID_Y_EN: 1
; COMPUTE_PGM_RSRC2:TGID_Z_EN: 0
; COMPUTE_PGM_RSRC2:TIDIG_COMP_CNT: 0
; COMPUTE_PGM_RSRC3_GFX90A:ACCUM_OFFSET: 29
; COMPUTE_PGM_RSRC3_GFX90A:TG_SPLIT: 0
	.section	.text._ZN9rocsparseL19gtsv_LBM_rhs_kernelILj256ELj16ELj4E21rocsparse_complex_numIfEEEviiiPKT2_S5_S5_PS3_S5_PKi,"axG",@progbits,_ZN9rocsparseL19gtsv_LBM_rhs_kernelILj256ELj16ELj4E21rocsparse_complex_numIfEEEviiiPKT2_S5_S5_PS3_S5_PKi,comdat
	.globl	_ZN9rocsparseL19gtsv_LBM_rhs_kernelILj256ELj16ELj4E21rocsparse_complex_numIfEEEviiiPKT2_S5_S5_PS3_S5_PKi ; -- Begin function _ZN9rocsparseL19gtsv_LBM_rhs_kernelILj256ELj16ELj4E21rocsparse_complex_numIfEEEviiiPKT2_S5_S5_PS3_S5_PKi
	.p2align	8
	.type	_ZN9rocsparseL19gtsv_LBM_rhs_kernelILj256ELj16ELj4E21rocsparse_complex_numIfEEEviiiPKT2_S5_S5_PS3_S5_PKi,@function
_ZN9rocsparseL19gtsv_LBM_rhs_kernelILj256ELj16ELj4E21rocsparse_complex_numIfEEEviiiPKT2_S5_S5_PS3_S5_PKi: ; @_ZN9rocsparseL19gtsv_LBM_rhs_kernelILj256ELj16ELj4E21rocsparse_complex_numIfEEEviiiPKT2_S5_S5_PS3_S5_PKi
; %bb.0:
	s_load_dword s23, s[0:1], 0x0
	v_lshl_or_b32 v0, s2, 8, v0
	s_waitcnt lgkmcnt(0)
	s_lshr_b32 s22, s23, 4
	v_cmp_gt_i32_e32 vcc, s22, v0
	s_and_saveexec_b64 s[4:5], vcc
	s_cbranch_execz .LBB220_29
; %bb.1:
	s_load_dwordx4 s[8:11], s[0:1], 0x28
	s_load_dwordx2 s[6:7], s[0:1], 0x38
	s_cmp_lt_i32 s23, 1
	v_add_u32_e32 v56, s22, v0
	s_mul_i32 s24, s3, s23
	s_cbranch_scc1 .LBB220_21
; %bb.2:
	s_load_dwordx4 s[12:15], s[0:1], 0x10
	s_load_dwordx2 s[16:17], s[0:1], 0x20
	v_ashrrev_i32_e32 v1, 31, v0
	s_lshl_b32 s28, s24, 2
	s_add_i32 s29, s28, s23
	s_waitcnt lgkmcnt(0)
	v_lshl_add_u64 v[2:3], v[0:1], 3, s[14:15]
	global_load_dwordx2 v[4:5], v[2:3], off
	s_add_i32 s30, s29, s23
	s_mul_i32 s25, s22, 15
	s_mul_i32 s26, s22, 14
	s_lshl_b32 s27, s22, 1
	v_add_u32_e32 v57, s22, v56
	s_add_i32 s31, s30, s23
	v_mov_b32_e32 v3, 0
	s_mov_b64 s[18:19], 0
	v_mov_b32_e32 v1, 0
	s_branch .LBB220_5
.LBB220_3:                              ;   in Loop: Header=BB220_5 Depth=1
	s_or_b64 exec, exec, s[4:5]
	v_mov_b32_e32 v17, v6
	v_pk_mul_f32 v[14:15], v[8:9], v[16:17] op_sel:[1,0]
	s_nop 0
	v_pk_fma_f32 v[6:7], v[6:7], v[8:9], v[14:15] op_sel_hi:[1,0,1]
	s_nop 0
	v_xor_b32_e32 v8, 0x80000000, v7
	v_mov_b32_e32 v9, v6
	v_pk_mul_f32 v[8:9], v[10:11], v[8:9] op_sel_hi:[0,1]
	v_pk_fma_f32 v[4:5], v[6:7], v[4:5], v[8:9] op_sel_hi:[1,0,1]
	v_mov_b32_e32 v10, s22
	v_pk_add_f32 v[4:5], v[12:13], v[4:5] neg_lo:[0,1] neg_hi:[0,1]
.LBB220_4:                              ;   in Loop: Header=BB220_5 Depth=1
	s_or_b64 exec, exec, s[2:3]
	v_add_u32_e32 v1, v10, v1
	v_cmp_le_i32_e32 vcc, s23, v1
	s_or_b64 s[18:19], vcc, s[18:19]
	s_andn2_b64 exec, exec, s[18:19]
	s_cbranch_execz .LBB220_20
.LBB220_5:                              ; =>This Inner Loop Header: Depth=1
	v_add_u32_e32 v16, v1, v0
	v_ashrrev_i32_e32 v17, 31, v16
	v_lshl_add_u64 v[6:7], v[16:17], 3, s[16:17]
	global_load_dwordx2 v[8:9], v[6:7], off
	v_cmp_gt_u32_e64 s[0:1], s25, v1
	v_mov_b32_e32 v6, 0
	v_mov_b32_e32 v7, 0
	s_and_saveexec_b64 s[2:3], s[0:1]
	s_cbranch_execz .LBB220_7
; %bb.6:                                ;   in Loop: Header=BB220_5 Depth=1
	v_add_u32_e32 v6, v56, v1
	v_ashrrev_i32_e32 v7, 31, v6
	v_lshl_add_u64 v[6:7], v[6:7], 3, s[12:13]
	global_load_dwordx2 v[6:7], v[6:7], off
.LBB220_7:                              ;   in Loop: Header=BB220_5 Depth=1
	s_or_b64 exec, exec, s[2:3]
	v_mov_b32_e32 v10, 0
	v_mov_b32_e32 v12, 0
	;; [unrolled: 1-line block ×3, first 2 shown]
	s_and_saveexec_b64 s[2:3], s[0:1]
	s_cbranch_execz .LBB220_9
; %bb.8:                                ;   in Loop: Header=BB220_5 Depth=1
	v_add_u32_e32 v12, v56, v1
	v_ashrrev_i32_e32 v13, 31, v12
	v_lshl_add_u64 v[12:13], v[12:13], 3, s[14:15]
	global_load_dwordx2 v[12:13], v[12:13], off
.LBB220_9:                              ;   in Loop: Header=BB220_5 Depth=1
	s_or_b64 exec, exec, s[2:3]
	v_mov_b32_e32 v11, 0
	s_and_saveexec_b64 s[2:3], s[0:1]
	s_cbranch_execz .LBB220_11
; %bb.10:                               ;   in Loop: Header=BB220_5 Depth=1
	v_add_u32_e32 v10, v56, v1
	v_ashrrev_i32_e32 v11, 31, v10
	v_lshl_add_u64 v[10:11], v[10:11], 3, s[16:17]
	global_load_dwordx2 v[10:11], v[10:11], off
.LBB220_11:                             ;   in Loop: Header=BB220_5 Depth=1
	s_or_b64 exec, exec, s[2:3]
	v_cmp_gt_u32_e64 s[2:3], s26, v1
	v_mov_b32_e32 v14, 0
	v_mov_b32_e32 v15, 0
	s_and_saveexec_b64 s[4:5], s[2:3]
	s_cbranch_execz .LBB220_13
; %bb.12:                               ;   in Loop: Header=BB220_5 Depth=1
	v_add_u32_e32 v14, v57, v1
	v_ashrrev_i32_e32 v15, 31, v14
	v_lshl_add_u64 v[14:15], v[14:15], 3, s[12:13]
	global_load_dwordx2 v[14:15], v[14:15], off
.LBB220_13:                             ;   in Loop: Header=BB220_5 Depth=1
	s_or_b64 exec, exec, s[4:5]
	v_lshl_add_u64 v[18:19], v[16:17], 2, s[6:7]
	global_load_dword v17, v[18:19], off
	v_cmp_ne_u32_e32 vcc, s25, v1
	v_add_u32_e32 v2, s28, v16
	v_add_u32_e32 v22, s29, v16
	;; [unrolled: 1-line block ×4, first 2 shown]
	s_waitcnt vmcnt(1)
	v_xor_b32_e32 v16, 0x80000000, v7
	s_waitcnt vmcnt(0)
	v_cmp_ne_u32_e64 s[4:5], 1, v17
	s_and_b64 s[4:5], vcc, s[4:5]
	s_and_saveexec_b64 s[20:21], s[4:5]
	s_xor_b64 s[4:5], exec, s[20:21]
	s_cbranch_execz .LBB220_17
; %bb.14:                               ;   in Loop: Header=BB220_5 Depth=1
	v_add_u32_e32 v17, v56, v1
	v_lshl_add_u64 v[24:25], v[2:3], 3, s[8:9]
	v_add_u32_e32 v2, s28, v17
	v_lshl_add_u64 v[54:55], v[2:3], 3, s[8:9]
	global_load_dwordx2 v[26:27], v[24:25], off
	global_load_dwordx2 v[28:29], v[54:55], off
	v_mov_b32_e32 v23, v3
	v_add_u32_e32 v2, s29, v17
	v_mov_b32_e32 v21, v3
	v_lshl_add_u64 v[22:23], v[22:23], 3, s[8:9]
	v_lshl_add_u64 v[58:59], v[2:3], 3, s[8:9]
	;; [unrolled: 1-line block ×3, first 2 shown]
	global_load_dwordx2 v[32:33], v[58:59], off
	global_load_dwordx2 v[40:41], v[34:35], off
	;; [unrolled: 1-line block ×3, first 2 shown]
	v_add_u32_e32 v2, s30, v17
	v_lshl_add_u64 v[60:61], v[2:3], 3, s[8:9]
	global_load_dwordx2 v[62:63], v[60:61], off
	v_mov_b32_e32 v19, v3
	v_lshl_add_u64 v[64:65], v[18:19], 3, s[8:9]
	v_add_u32_e32 v2, s31, v17
	global_load_dwordx2 v[66:67], v[64:65], off
	v_lshl_add_u64 v[68:69], v[2:3], 3, s[8:9]
	global_load_dwordx2 v[70:71], v[68:69], off
	v_xor_b32_e32 v18, 0x80000000, v5
	v_mov_b32_e32 v19, v4
	v_mov_b32_e32 v17, v6
	v_pk_mul_f32 v[20:21], v[12:13], v[18:19] op_sel:[1,0]
	v_pk_mul_f32 v[16:17], v[8:9], v[16:17] op_sel:[1,0]
	v_pk_fma_f32 v[20:21], v[4:5], v[12:13], v[20:21] op_sel_hi:[1,0,1]
	v_pk_fma_f32 v[16:17], v[6:7], v[8:9], v[16:17] op_sel_hi:[1,0,1]
	v_xor_b32_e32 v72, 0x80000000, v13
	v_pk_add_f32 v[16:17], v[20:21], v[16:17] neg_lo:[0,1] neg_hi:[0,1]
	v_xor_b32_e32 v74, 0x80000000, v9
	v_mul_f32_e32 v2, v17, v17
	v_fmac_f32_e32 v2, v16, v16
	v_div_scale_f32 v21, s[20:21], v2, v2, 1.0
	v_rcp_f32_e32 v36, v21
	v_fma_f32 v20, 0, v17, v16
	v_fma_f32 v17, v16, 0, -v17
	v_div_scale_f32 v16, vcc, 1.0, v2, 1.0
	v_fma_f32 v37, -v21, v36, 1.0
	v_fmac_f32_e32 v36, v37, v36
	v_mul_f32_e32 v37, v16, v36
	v_fma_f32 v38, -v21, v37, v16
	v_fmac_f32_e32 v37, v38, v36
	v_fma_f32 v16, -v21, v37, v16
	v_div_fmas_f32 v16, v16, v36, v37
	v_div_fixup_f32 v2, v16, v2, 1.0
	v_mul_f32_e32 v16, v20, v2
	v_mul_f32_e32 v20, v17, v2
	v_mov_b32_e32 v73, v12
	v_mov_b32_e32 v75, v8
	;; [unrolled: 1-line block ×3, first 2 shown]
	s_waitcnt vmcnt(7)
	v_mul_f32_e32 v48, v20, v26
	s_waitcnt vmcnt(6)
	v_mul_f32_e32 v44, v20, v28
	v_mul_f32_e64 v46, v20, -v27
	v_fmac_f32_e32 v48, v27, v16
	v_mul_f32_e64 v42, v20, -v29
	v_fmac_f32_e32 v44, v29, v16
	v_fmac_f32_e32 v46, v26, v16
	;; [unrolled: 1-line block ×3, first 2 shown]
	v_pk_mul_f32 v[26:27], v[48:49], v[72:73] op_sel_hi:[0,1]
	v_pk_mul_f32 v[28:29], v[44:45], v[74:75] op_sel_hi:[0,1]
	v_pk_fma_f32 v[26:27], v[12:13], v[46:47], v[26:27] op_sel_hi:[1,0,1]
	v_pk_fma_f32 v[28:29], v[8:9], v[42:43], v[28:29] op_sel_hi:[1,0,1]
	s_waitcnt vmcnt(3)
	v_mul_f32_e32 v38, v20, v30
	v_mul_f32_e32 v52, v20, v32
	v_pk_add_f32 v[26:27], v[26:27], v[28:29] neg_lo:[0,1] neg_hi:[0,1]
	v_mul_f32_e64 v36, v20, -v31
	v_fmac_f32_e32 v38, v31, v16
	v_mul_f32_e64 v50, v20, -v33
	v_fmac_f32_e32 v52, v33, v16
	global_store_dwordx2 v[24:25], v[26:27], off
	v_fmac_f32_e32 v36, v30, v16
	v_fmac_f32_e32 v50, v32, v16
	v_pk_mul_f32 v[24:25], v[38:39], v[72:73] op_sel_hi:[0,1]
	v_pk_mul_f32 v[26:27], v[52:53], v[74:75] op_sel_hi:[0,1]
	v_pk_fma_f32 v[24:25], v[12:13], v[36:37], v[24:25] op_sel_hi:[1,0,1]
	v_pk_fma_f32 v[26:27], v[8:9], v[50:51], v[26:27] op_sel_hi:[1,0,1]
	s_waitcnt vmcnt(3)
	v_mul_f32_e32 v28, v20, v62
	v_pk_add_f32 v[24:25], v[24:25], v[26:27] neg_lo:[0,1] neg_hi:[0,1]
	global_store_dwordx2 v[22:23], v[24:25], off
	v_mul_f32_e32 v24, v20, v40
	v_mul_f32_e64 v22, v20, -v41
	v_fmac_f32_e32 v24, v41, v16
	v_mul_f32_e64 v26, v20, -v63
	v_fmac_f32_e32 v28, v63, v16
	v_fmac_f32_e32 v22, v40, v16
	;; [unrolled: 1-line block ×3, first 2 shown]
	v_pk_mul_f32 v[30:31], v[24:25], v[72:73] op_sel_hi:[0,1]
	v_pk_mul_f32 v[32:33], v[28:29], v[74:75] op_sel_hi:[0,1]
	v_pk_fma_f32 v[30:31], v[12:13], v[22:23], v[30:31] op_sel_hi:[1,0,1]
	v_pk_fma_f32 v[32:33], v[8:9], v[26:27], v[32:33] op_sel_hi:[1,0,1]
	s_waitcnt vmcnt(2)
	v_mul_f32_e32 v40, v20, v70
	v_pk_add_f32 v[30:31], v[30:31], v[32:33] neg_lo:[0,1] neg_hi:[0,1]
	v_mul_f32_e32 v32, v20, v66
	global_store_dwordx2 v[34:35], v[30:31], off
	v_mul_f32_e64 v30, v20, -v67
	v_fmac_f32_e32 v32, v67, v16
	v_fmac_f32_e32 v30, v66, v16
	v_mul_f32_e64 v34, v20, -v71
	v_fmac_f32_e32 v40, v71, v16
	v_pk_mul_f32 v[62:63], v[32:33], v[72:73] op_sel_hi:[0,1]
	v_fmac_f32_e32 v34, v70, v16
	v_pk_fma_f32 v[12:13], v[12:13], v[30:31], v[62:63] op_sel_hi:[1,0,1]
	v_pk_mul_f32 v[62:63], v[40:41], v[74:75] op_sel_hi:[0,1]
	v_pk_fma_f32 v[8:9], v[8:9], v[34:35], v[62:63] op_sel_hi:[1,0,1]
	v_pk_mul_f32 v[62:63], v[44:45], v[18:19] op_sel_hi:[0,1]
	v_pk_add_f32 v[8:9], v[12:13], v[8:9] neg_lo:[0,1] neg_hi:[0,1]
	v_pk_add_f32 v[12:13], v[6:7], 0 neg_lo:[1,1] neg_hi:[1,1]
	global_store_dwordx2 v[64:65], v[8:9], off
	v_pk_mov_b32 v[12:13], v[6:7], v[12:13] op_sel:[1,0]
	v_pk_fma_f32 v[62:63], v[4:5], v[42:43], v[62:63] op_sel_hi:[1,0,1]
	v_pk_mul_f32 v[8:9], v[12:13], v[48:49] op_sel_hi:[1,0]
	s_nop 0
	v_pk_fma_f32 v[8:9], v[6:7], v[46:47], v[8:9] op_sel_hi:[1,0,1] neg_lo:[1,0,0] neg_hi:[1,0,0]
	s_nop 0
	v_pk_add_f32 v[62:63], v[8:9], v[62:63]
	global_store_dwordx2 v[54:55], v[62:63], off
	v_pk_mul_f32 v[54:55], v[12:13], v[38:39] op_sel_hi:[1,0]
	v_pk_mul_f32 v[62:63], v[52:53], v[18:19] op_sel_hi:[0,1]
	v_pk_fma_f32 v[54:55], v[6:7], v[36:37], v[54:55] op_sel_hi:[1,0,1] neg_lo:[1,0,0] neg_hi:[1,0,0]
	v_pk_fma_f32 v[62:63], v[4:5], v[50:51], v[62:63] op_sel_hi:[1,0,1]
	v_mov_b32_e32 v8, v4
	v_pk_add_f32 v[54:55], v[54:55], v[62:63]
	global_store_dwordx2 v[58:59], v[54:55], off
	v_pk_mul_f32 v[54:55], v[12:13], v[24:25] op_sel_hi:[1,0]
	v_pk_mul_f32 v[58:59], v[28:29], v[18:19] op_sel_hi:[0,1]
	v_pk_fma_f32 v[54:55], v[6:7], v[22:23], v[54:55] op_sel_hi:[1,0,1] neg_lo:[1,0,0] neg_hi:[1,0,0]
	v_pk_fma_f32 v[58:59], v[4:5], v[26:27], v[58:59] op_sel_hi:[1,0,1]
	v_mov_b32_e32 v9, v4
	v_pk_add_f32 v[54:55], v[54:55], v[58:59]
	global_store_dwordx2 v[60:61], v[54:55], off
	v_pk_mul_f32 v[54:55], v[12:13], v[32:33] op_sel_hi:[1,0]
	v_pk_mul_f32 v[58:59], v[40:41], v[18:19] op_sel_hi:[0,1]
	v_pk_fma_f32 v[54:55], v[6:7], v[30:31], v[54:55] op_sel_hi:[1,0,1] neg_lo:[1,0,0] neg_hi:[1,0,0]
	v_pk_fma_f32 v[58:59], v[4:5], v[34:35], v[58:59] op_sel_hi:[1,0,1]
	s_nop 0
	v_pk_add_f32 v[54:55], v[54:55], v[58:59]
	global_store_dwordx2 v[68:69], v[54:55], off
	v_mov_b64_e32 v[54:55], v[2:3]
	s_and_saveexec_b64 s[20:21], s[2:3]
	s_cbranch_execz .LBB220_16
; %bb.15:                               ;   in Loop: Header=BB220_5 Depth=1
	v_mov_b32_e32 v60, v15
	v_pk_mul_f32 v[12:13], v[60:61], v[12:13] op_sel_hi:[0,1]
	v_pk_fma_f32 v[6:7], v[6:7], v[14:15], v[12:13] op_sel_hi:[1,0,1] neg_lo:[1,0,0] neg_hi:[1,0,0]
	v_pk_mul_f32 v[18:19], v[60:61], v[18:19] op_sel_hi:[0,1]
	v_pk_add_f32 v[60:61], v[6:7], 0 neg_lo:[1,1] neg_hi:[1,1]
	v_mov_b32_e32 v49, v48
	v_pk_mov_b32 v[60:61], v[6:7], v[60:61] op_sel:[1,0]
	v_mov_b32_e32 v47, v46
	v_add_u32_e32 v54, v57, v1
	v_pk_fma_f32 v[18:19], v[4:5], v[14:15], v[18:19] op_sel_hi:[1,0,1]
	v_pk_mul_f32 v[48:49], v[60:61], v[48:49]
	v_mov_b32_e32 v45, v44
	v_add_u32_e32 v2, s28, v54
	v_pk_fma_f32 v[46:47], v[6:7], v[46:47], v[48:49] neg_lo:[1,0,0] neg_hi:[1,0,0]
	v_xor_b32_e32 v48, 0x80000000, v19
	v_mov_b32_e32 v49, v18
	v_mov_b32_e32 v43, v42
	v_lshl_add_u64 v[58:59], v[2:3], 3, s[8:9]
	v_pk_mul_f32 v[44:45], v[44:45], v[48:49]
	v_mov_b32_e32 v53, v52
	v_add_u32_e32 v2, s29, v54
	v_pk_fma_f32 v[42:43], v[18:19], v[42:43], v[44:45]
	global_load_dwordx2 v[44:45], v[58:59], off
	v_mov_b32_e32 v51, v50
	v_lshl_add_u64 v[12:13], v[2:3], 3, s[8:9]
	v_pk_mul_f32 v[52:53], v[52:53], v[48:49]
	v_mov_b32_e32 v39, v38
	v_pk_fma_f32 v[50:51], v[18:19], v[50:51], v[52:53]
	global_load_dwordx2 v[52:53], v[12:13], off
	v_mov_b32_e32 v37, v36
	v_pk_mul_f32 v[38:39], v[60:61], v[38:39]
	v_pk_add_f32 v[42:43], v[46:47], v[42:43] neg_lo:[0,1] neg_hi:[0,1]
	v_add_u32_e32 v2, s30, v54
	v_pk_fma_f32 v[36:37], v[6:7], v[36:37], v[38:39] neg_lo:[1,0,0] neg_hi:[1,0,0]
	v_lshl_add_u64 v[38:39], v[2:3], 3, s[8:9]
	v_pk_add_f32 v[36:37], v[36:37], v[50:51] neg_lo:[0,1] neg_hi:[0,1]
	v_ashrrev_i32_e32 v55, 31, v54
	v_add_u32_e32 v2, s31, v54
	v_lshl_add_u64 v[46:47], v[2:3], 3, s[8:9]
	v_mov_b32_e32 v2, v11
	v_mov_b32_e32 v29, v28
	;; [unrolled: 1-line block ×9, first 2 shown]
	v_pk_mul_f32 v[24:25], v[60:61], v[24:25]
	s_waitcnt vmcnt(1)
	v_pk_add_f32 v[42:43], v[42:43], v[44:45]
	global_store_dwordx2 v[58:59], v[42:43], off
	global_load_dwordx2 v[42:43], v[38:39], off
	v_xor_b32_e32 v44, 0x80000000, v15
	v_mov_b32_e32 v45, v14
	v_pk_mul_f32 v[4:5], v[4:5], v[44:45] op_sel:[1,0]
	s_waitcnt vmcnt(2)
	v_pk_add_f32 v[36:37], v[36:37], v[52:53]
	global_store_dwordx2 v[12:13], v[36:37], off
	v_lshl_add_u64 v[36:37], v[54:55], 3, s[14:15]
	global_load_dwordx2 v[12:13], v[46:47], off
	v_pk_fma_f32 v[4:5], v[14:15], v[8:9], v[4:5]
	global_load_dwordx2 v[36:37], v[36:37], off
	v_xor_b32_e32 v8, 0x80000000, v5
	v_mov_b32_e32 v9, v4
	v_pk_mul_f32 v[8:9], v[2:3], v[8:9] op_sel_hi:[0,1]
	v_pk_mul_f32 v[14:15], v[28:29], v[48:49]
	v_pk_fma_f32 v[4:5], v[4:5], v[10:11], v[8:9] op_sel_hi:[1,0,1]
	v_pk_mul_f32 v[28:29], v[40:41], v[48:49]
	v_pk_fma_f32 v[14:15], v[18:19], v[26:27], v[14:15]
	v_pk_mul_f32 v[26:27], v[60:61], v[32:33]
	v_xor_b32_e32 v10, 0x80000000, v5
	v_mov_b32_e32 v11, v4
	v_pk_fma_f32 v[18:19], v[18:19], v[34:35], v[28:29]
	v_pk_fma_f32 v[8:9], v[6:7], v[22:23], v[24:25] neg_lo:[1,0,0] neg_hi:[1,0,0]
	v_pk_fma_f32 v[6:7], v[6:7], v[30:31], v[26:27] neg_lo:[1,0,0] neg_hi:[1,0,0]
	v_pk_mul_f32 v[10:11], v[20:21], v[10:11] op_sel_hi:[0,1]
	v_pk_add_f32 v[8:9], v[8:9], v[14:15] neg_lo:[0,1] neg_hi:[0,1]
	v_pk_add_f32 v[6:7], v[6:7], v[18:19] neg_lo:[0,1] neg_hi:[0,1]
	v_pk_fma_f32 v[4:5], v[4:5], v[16:17], v[10:11] op_sel_hi:[1,0,1]
	s_waitcnt vmcnt(3)
	v_pk_add_f32 v[8:9], v[8:9], v[42:43]
	global_store_dwordx2 v[38:39], v[8:9], off
	s_waitcnt vmcnt(2)
	v_pk_add_f32 v[6:7], v[6:7], v[12:13]
	global_store_dwordx2 v[46:47], v[6:7], off
	s_waitcnt vmcnt(2)
	v_pk_add_f32 v[54:55], v[36:37], v[4:5] neg_lo:[0,1] neg_hi:[0,1]
.LBB220_16:                             ;   in Loop: Header=BB220_5 Depth=1
	s_or_b64 exec, exec, s[20:21]
	v_mov_b64_e32 v[4:5], v[54:55]
                                        ; implicit-def: $vgpr8_vgpr9
                                        ; implicit-def: $vgpr6
                                        ; implicit-def: $vgpr12_vgpr13
                                        ; implicit-def: $vgpr22
                                        ; implicit-def: $vgpr20
                                        ; implicit-def: $vgpr18
                                        ; implicit-def: $vgpr16
.LBB220_17:                             ;   in Loop: Header=BB220_5 Depth=1
	s_or_saveexec_b64 s[2:3], s[4:5]
	v_mov_b32_e32 v10, s27
	s_xor_b64 exec, exec, s[2:3]
	s_cbranch_execz .LBB220_4
; %bb.18:                               ;   in Loop: Header=BB220_5 Depth=1
	v_lshl_add_u64 v[24:25], v[2:3], 3, s[8:9]
	v_mov_b32_e32 v23, v3
	global_load_dwordx2 v[14:15], v[24:25], off
	v_lshl_add_u64 v[26:27], v[22:23], 3, s[8:9]
	v_mov_b32_e32 v21, v3
	v_mov_b32_e32 v19, v3
	v_lshl_add_u64 v[28:29], v[20:21], 3, s[8:9]
	v_lshl_add_u64 v[30:31], v[18:19], 3, s[8:9]
	global_load_dwordx2 v[18:19], v[26:27], off
	global_load_dwordx2 v[20:21], v[28:29], off
	;; [unrolled: 1-line block ×3, first 2 shown]
	v_mul_f32_e32 v2, v5, v5
	v_fmac_f32_e32 v2, v4, v4
	v_div_scale_f32 v11, s[4:5], v2, v2, 1.0
	v_rcp_f32_e32 v17, v11
	v_fma_f32 v10, 0, v5, v4
	v_fma_f32 v5, v4, 0, -v5
	v_div_scale_f32 v4, vcc, 1.0, v2, 1.0
	v_fma_f32 v22, -v11, v17, 1.0
	v_fmac_f32_e32 v17, v22, v17
	v_mul_f32_e32 v22, v4, v17
	v_fma_f32 v23, -v11, v22, v4
	v_fmac_f32_e32 v22, v23, v17
	v_fma_f32 v4, -v11, v22, v4
	v_div_fmas_f32 v4, v4, v17, v22
	v_div_fixup_f32 v2, v4, v2, 1.0
	v_mul_f32_e32 v4, v10, v2
	v_mul_f32_e32 v10, v5, v2
	s_waitcnt vmcnt(3)
	v_pk_mul_f32 v[22:23], v[10:11], v[14:15] op_sel:[0,1] op_sel_hi:[0,0] neg_lo:[0,1]
	v_pk_fma_f32 v[14:15], v[14:15], v[4:5], v[22:23] op_sel_hi:[1,0,1]
	global_store_dwordx2 v[24:25], v[14:15], off
	s_waitcnt vmcnt(3)
	v_pk_mul_f32 v[22:23], v[10:11], v[18:19] op_sel:[0,1] op_sel_hi:[0,0] neg_lo:[0,1]
	s_waitcnt vmcnt(2)
	v_pk_mul_f32 v[34:35], v[10:11], v[20:21] op_sel:[0,1] op_sel_hi:[0,0] neg_lo:[0,1]
	s_waitcnt vmcnt(1)
	v_pk_mul_f32 v[36:37], v[10:11], v[32:33] op_sel:[0,1] op_sel_hi:[0,0] neg_lo:[0,1]
	v_pk_fma_f32 v[22:23], v[18:19], v[4:5], v[22:23] op_sel_hi:[1,0,1]
	v_pk_fma_f32 v[20:21], v[20:21], v[4:5], v[34:35] op_sel_hi:[1,0,1]
	;; [unrolled: 1-line block ×3, first 2 shown]
	global_store_dwordx2 v[26:27], v[22:23], off
	global_store_dwordx2 v[28:29], v[20:21], off
	;; [unrolled: 1-line block ×3, first 2 shown]
	s_and_saveexec_b64 s[4:5], s[0:1]
	s_cbranch_execz .LBB220_3
; %bb.19:                               ;   in Loop: Header=BB220_5 Depth=1
	v_add_u32_e32 v5, v56, v1
	v_add_u32_e32 v2, s28, v5
	v_lshl_add_u64 v[24:25], v[2:3], 3, s[8:9]
	v_add_u32_e32 v2, s29, v5
	global_load_dwordx2 v[26:27], v[24:25], off
	v_lshl_add_u64 v[28:29], v[2:3], 3, s[8:9]
	global_load_dwordx2 v[30:31], v[28:29], off
	v_xor_b32_e32 v32, 0x80000000, v6
	v_mov_b32_e32 v33, v16
	v_mov_b32_e32 v34, v7
	;; [unrolled: 1-line block ×3, first 2 shown]
	v_add_u32_e32 v2, s30, v5
	v_lshl_add_u64 v[36:37], v[2:3], 3, s[8:9]
	v_add_u32_e32 v2, s31, v5
	v_lshl_add_u64 v[38:39], v[2:3], 3, s[8:9]
	s_waitcnt vmcnt(1)
	v_pk_fma_f32 v[26:27], v[32:33], v[14:15], v[26:27] op_sel_hi:[1,0,1]
	s_nop 0
	v_pk_fma_f32 v[14:15], v[34:35], v[14:15], v[26:27] op_sel:[0,1,0]
	s_waitcnt vmcnt(0)
	v_pk_fma_f32 v[26:27], v[32:33], v[22:23], v[30:31] op_sel_hi:[1,0,1]
	global_store_dwordx2 v[24:25], v[14:15], off
	v_pk_fma_f32 v[14:15], v[34:35], v[22:23], v[26:27] op_sel:[0,1,0]
	global_store_dwordx2 v[28:29], v[14:15], off
	global_load_dwordx2 v[22:23], v[36:37], off
	s_nop 0
	global_load_dwordx2 v[14:15], v[38:39], off
	s_waitcnt vmcnt(1)
	v_pk_fma_f32 v[22:23], v[32:33], v[20:21], v[22:23] op_sel_hi:[1,0,1]
	s_nop 0
	v_pk_fma_f32 v[20:21], v[34:35], v[20:21], v[22:23] op_sel:[0,1,0]
	s_waitcnt vmcnt(0)
	v_pk_fma_f32 v[14:15], v[32:33], v[18:19], v[14:15] op_sel_hi:[1,0,1]
	global_store_dwordx2 v[36:37], v[20:21], off
	v_pk_fma_f32 v[14:15], v[34:35], v[18:19], v[14:15] op_sel:[0,1,0]
	global_store_dwordx2 v[38:39], v[14:15], off
	s_branch .LBB220_3
.LBB220_20:
	s_or_b64 exec, exec, s[18:19]
	s_branch .LBB220_22
.LBB220_21:
	v_mov_b32_e32 v1, 0
.LBB220_22:
	v_subrev_u32_e32 v1, s22, v1
	v_add_u32_e32 v2, v1, v0
	v_ashrrev_i32_e32 v3, 31, v2
	s_waitcnt lgkmcnt(0)
	v_lshl_add_u64 v[2:3], v[2:3], 2, s[6:7]
	buffer_wbl2 sc1
	s_waitcnt vmcnt(0)
	buffer_inv sc1
	global_load_dword v2, v[2:3], off
	s_waitcnt vmcnt(0)
	v_mul_lo_u32 v2, v2, s22
	v_sub_u32_e32 v1, v1, v2
	v_cmp_lt_i32_e32 vcc, -1, v1
	s_and_b64 exec, exec, vcc
	s_cbranch_execz .LBB220_29
; %bb.23:
	s_lshl_b32 s4, s24, 2
	s_add_i32 s5, s4, s23
	s_add_i32 s12, s5, s23
	;; [unrolled: 1-line block ×3, first 2 shown]
	s_lshl_b32 s14, s22, 1
	s_mov_b64 s[0:1], 0
	v_mov_b32_e32 v3, 0
	s_branch .LBB220_25
.LBB220_24:                             ;   in Loop: Header=BB220_25 Depth=1
	s_or_b64 exec, exec, s[2:3]
	v_sub_u32_e32 v1, v1, v2
	v_cmp_gt_i32_e32 vcc, 0, v1
	s_or_b64 s[0:1], vcc, s[0:1]
	s_andn2_b64 exec, exec, s[0:1]
	s_cbranch_execz .LBB220_29
.LBB220_25:                             ; =>This Inner Loop Header: Depth=1
	v_add_u32_e32 v4, v1, v0
	v_ashrrev_i32_e32 v5, 31, v4
	s_waitcnt vmcnt(0)
	v_lshl_add_u64 v[6:7], v[4:5], 2, s[6:7]
	global_load_dword v2, v[6:7], off
	v_lshl_add_u64 v[6:7], v[4:5], 3, s[10:11]
	global_load_dwordx2 v[6:7], v[6:7], off
	s_waitcnt vmcnt(1)
	v_cmp_ne_u32_e32 vcc, 1, v2
	s_and_saveexec_b64 s[2:3], vcc
	s_xor_b64 s[2:3], exec, s[2:3]
	s_cbranch_execz .LBB220_27
; %bb.26:                               ;   in Loop: Header=BB220_25 Depth=1
	v_add_u32_e32 v5, v56, v1
	v_add_u32_e32 v2, s4, v5
	v_lshl_add_u64 v[8:9], v[2:3], 3, s[8:9]
	v_add_u32_e32 v2, s5, v5
	v_lshl_add_u64 v[10:11], v[2:3], 3, s[8:9]
	;; [unrolled: 2-line block ×5, first 2 shown]
	global_load_dwordx2 v[8:9], v[8:9], off
	s_waitcnt vmcnt(1)
	v_pk_add_f32 v[20:21], v[6:7], 0 neg_lo:[1,1] neg_hi:[1,1]
	global_load_dwordx2 v[18:19], v[16:17], off
	v_xor_b32_e32 v23, 0x80000000, v7
	v_mov_b32_e32 v22, v20
	v_pk_mov_b32 v[6:7], v[6:7], v[20:21] op_sel:[1,0]
	global_load_dwordx2 v[20:21], v[10:11], off
	global_load_dwordx2 v[24:25], v[12:13], off
	;; [unrolled: 1-line block ×3, first 2 shown]
	v_add_u32_e32 v2, s5, v4
	v_lshl_add_u64 v[10:11], v[2:3], 3, s[8:9]
	v_add_u32_e32 v2, s12, v4
	v_lshl_add_u64 v[14:15], v[2:3], 3, s[8:9]
	;; [unrolled: 2-line block ×3, first 2 shown]
	v_subrev_u32_e32 v2, s22, v1
	s_waitcnt vmcnt(3)
	v_pk_fma_f32 v[12:13], v[22:23], v[8:9], v[18:19] op_sel_hi:[1,0,1]
	s_nop 0
	v_pk_fma_f32 v[12:13], v[6:7], v[8:9], v[12:13] op_sel:[0,1,0]
	global_store_dwordx2 v[16:17], v[12:13], off
	global_load_dwordx2 v[12:13], v[10:11], off
	s_waitcnt vmcnt(0)
	v_pk_fma_f32 v[12:13], v[22:23], v[20:21], v[12:13] op_sel_hi:[1,0,1]
	s_nop 0
	v_pk_fma_f32 v[12:13], v[6:7], v[20:21], v[12:13] op_sel:[0,1,0]
	global_store_dwordx2 v[10:11], v[12:13], off
	global_load_dwordx2 v[10:11], v[14:15], off
	v_add_u32_e32 v12, v2, v0
	v_ashrrev_i32_e32 v13, 31, v12
	v_add_u32_e32 v2, s4, v12
	v_lshl_add_u64 v[16:17], v[2:3], 3, s[8:9]
	v_add_u32_e32 v2, s5, v12
	s_waitcnt vmcnt(0)
	v_pk_fma_f32 v[10:11], v[22:23], v[24:25], v[10:11] op_sel_hi:[1,0,1]
	s_nop 0
	v_pk_fma_f32 v[10:11], v[6:7], v[24:25], v[10:11] op_sel:[0,1,0]
	global_store_dwordx2 v[14:15], v[10:11], off
	global_load_dwordx2 v[10:11], v[4:5], off
	v_lshl_add_u64 v[14:15], v[12:13], 3, s[10:11]
	global_load_dwordx2 v[14:15], v[14:15], off
	s_waitcnt vmcnt(1)
	v_pk_fma_f32 v[10:11], v[22:23], v[26:27], v[10:11] op_sel_hi:[1,0,1]
	s_nop 0
	v_pk_fma_f32 v[6:7], v[6:7], v[26:27], v[10:11] op_sel:[0,1,0]
	global_store_dwordx2 v[4:5], v[6:7], off
	global_load_dwordx2 v[4:5], v[16:17], off
	s_waitcnt vmcnt(2)
	v_pk_add_f32 v[10:11], v[14:15], 0 neg_lo:[1,1] neg_hi:[1,1]
	v_lshl_add_u64 v[6:7], v[2:3], 3, s[8:9]
	v_pk_mov_b32 v[10:11], v[14:15], v[10:11] op_sel:[1,0]
	v_add_u32_e32 v2, s12, v12
	s_waitcnt vmcnt(0)
	v_pk_fma_f32 v[4:5], v[14:15], v[8:9], v[4:5] op_sel_hi:[1,0,1] neg_lo:[1,0,0] neg_hi:[1,0,0]
	s_nop 0
	v_pk_fma_f32 v[4:5], v[10:11], v[8:9], v[4:5] op_sel:[0,1,0]
	global_store_dwordx2 v[16:17], v[4:5], off
	global_load_dwordx2 v[4:5], v[6:7], off
	v_lshl_add_u64 v[8:9], v[2:3], 3, s[8:9]
	v_add_u32_e32 v2, s13, v12
	s_waitcnt vmcnt(0)
	v_pk_fma_f32 v[4:5], v[14:15], v[20:21], v[4:5] op_sel_hi:[1,0,1] neg_lo:[1,0,0] neg_hi:[1,0,0]
	s_nop 0
	v_pk_fma_f32 v[4:5], v[10:11], v[20:21], v[4:5] op_sel:[0,1,0]
	global_store_dwordx2 v[6:7], v[4:5], off
	global_load_dwordx2 v[4:5], v[8:9], off
	v_lshl_add_u64 v[6:7], v[2:3], 3, s[8:9]
	s_waitcnt vmcnt(0)
	v_pk_fma_f32 v[4:5], v[14:15], v[24:25], v[4:5] op_sel_hi:[1,0,1] neg_lo:[1,0,0] neg_hi:[1,0,0]
	s_nop 0
	v_pk_fma_f32 v[4:5], v[10:11], v[24:25], v[4:5] op_sel:[0,1,0]
	global_store_dwordx2 v[8:9], v[4:5], off
	global_load_dwordx2 v[4:5], v[6:7], off
	s_waitcnt vmcnt(0)
	v_pk_fma_f32 v[4:5], v[14:15], v[26:27], v[4:5] op_sel_hi:[1,0,1] neg_lo:[1,0,0] neg_hi:[1,0,0]
	s_nop 0
	v_pk_fma_f32 v[4:5], v[10:11], v[26:27], v[4:5] op_sel:[0,1,0]
	global_store_dwordx2 v[6:7], v[4:5], off
                                        ; implicit-def: $vgpr4
                                        ; implicit-def: $vgpr6_vgpr7
.LBB220_27:                             ;   in Loop: Header=BB220_25 Depth=1
	s_or_saveexec_b64 s[2:3], s[2:3]
	v_mov_b32_e32 v2, s14
	s_xor_b64 exec, exec, s[2:3]
	s_cbranch_execz .LBB220_24
; %bb.28:                               ;   in Loop: Header=BB220_25 Depth=1
	v_add_u32_e32 v5, v56, v1
	v_add_u32_e32 v2, s4, v5
	v_lshl_add_u64 v[8:9], v[2:3], 3, s[8:9]
	v_add_u32_e32 v2, s4, v4
	v_lshl_add_u64 v[10:11], v[2:3], 3, s[8:9]
	global_load_dwordx2 v[12:13], v[8:9], off
	global_load_dwordx2 v[14:15], v[10:11], off
	s_waitcnt vmcnt(2)
	v_pk_add_f32 v[8:9], v[6:7], 0 neg_lo:[1,1] neg_hi:[1,1]
	v_xor_b32_e32 v17, 0x80000000, v7
	v_mov_b32_e32 v16, v8
	v_pk_mov_b32 v[8:9], v[6:7], v[8:9] op_sel:[1,0]
	v_add_u32_e32 v2, s5, v5
	v_lshl_add_u64 v[18:19], v[2:3], 3, s[8:9]
	v_add_u32_e32 v2, s5, v4
	v_lshl_add_u64 v[20:21], v[2:3], 3, s[8:9]
	v_add_u32_e32 v2, s12, v5
	s_waitcnt vmcnt(0)
	v_pk_fma_f32 v[14:15], v[16:17], v[12:13], v[14:15] op_sel_hi:[1,0,1]
	s_nop 0
	v_pk_fma_f32 v[12:13], v[8:9], v[12:13], v[14:15] op_sel:[0,1,0]
	global_store_dwordx2 v[10:11], v[12:13], off
	global_load_dwordx2 v[10:11], v[18:19], off
	s_nop 0
	global_load_dwordx2 v[12:13], v[20:21], off
	v_lshl_add_u64 v[14:15], v[2:3], 3, s[8:9]
	v_add_u32_e32 v2, s12, v4
	v_lshl_add_u64 v[18:19], v[2:3], 3, s[8:9]
	v_add_u32_e32 v2, s13, v5
	s_waitcnt vmcnt(0)
	v_pk_fma_f32 v[12:13], v[16:17], v[10:11], v[12:13] op_sel_hi:[1,0,1]
	s_nop 0
	v_pk_fma_f32 v[10:11], v[8:9], v[10:11], v[12:13] op_sel:[0,1,0]
	global_store_dwordx2 v[20:21], v[10:11], off
	global_load_dwordx2 v[10:11], v[14:15], off
	s_nop 0
	global_load_dwordx2 v[12:13], v[18:19], off
	v_lshl_add_u64 v[14:15], v[2:3], 3, s[8:9]
	v_add_u32_e32 v2, s13, v4
	v_lshl_add_u64 v[4:5], v[2:3], 3, s[8:9]
	v_mov_b32_e32 v2, s22
	s_waitcnt vmcnt(0)
	v_pk_fma_f32 v[12:13], v[16:17], v[10:11], v[12:13] op_sel_hi:[1,0,1]
	s_nop 0
	v_pk_fma_f32 v[10:11], v[8:9], v[10:11], v[12:13] op_sel:[0,1,0]
	global_store_dwordx2 v[18:19], v[10:11], off
	global_load_dwordx2 v[10:11], v[14:15], off
	s_nop 0
	global_load_dwordx2 v[12:13], v[4:5], off
	s_waitcnt vmcnt(0)
	v_pk_fma_f32 v[6:7], v[6:7], v[10:11], v[12:13] op_sel_hi:[1,0,1] neg_lo:[1,0,0] neg_hi:[1,0,0]
	s_nop 0
	v_pk_fma_f32 v[6:7], v[8:9], v[10:11], v[6:7] op_sel:[0,1,0]
	global_store_dwordx2 v[4:5], v[6:7], off
	s_branch .LBB220_24
.LBB220_29:
	s_endpgm
	.section	.rodata,"a",@progbits
	.p2align	6, 0x0
	.amdhsa_kernel _ZN9rocsparseL19gtsv_LBM_rhs_kernelILj256ELj16ELj4E21rocsparse_complex_numIfEEEviiiPKT2_S5_S5_PS3_S5_PKi
		.amdhsa_group_segment_fixed_size 0
		.amdhsa_private_segment_fixed_size 0
		.amdhsa_kernarg_size 64
		.amdhsa_user_sgpr_count 2
		.amdhsa_user_sgpr_dispatch_ptr 0
		.amdhsa_user_sgpr_queue_ptr 0
		.amdhsa_user_sgpr_kernarg_segment_ptr 1
		.amdhsa_user_sgpr_dispatch_id 0
		.amdhsa_user_sgpr_kernarg_preload_length 0
		.amdhsa_user_sgpr_kernarg_preload_offset 0
		.amdhsa_user_sgpr_private_segment_size 0
		.amdhsa_uses_dynamic_stack 0
		.amdhsa_enable_private_segment 0
		.amdhsa_system_sgpr_workgroup_id_x 1
		.amdhsa_system_sgpr_workgroup_id_y 1
		.amdhsa_system_sgpr_workgroup_id_z 0
		.amdhsa_system_sgpr_workgroup_info 0
		.amdhsa_system_vgpr_workitem_id 0
		.amdhsa_next_free_vgpr 76
		.amdhsa_next_free_sgpr 32
		.amdhsa_accum_offset 76
		.amdhsa_reserve_vcc 1
		.amdhsa_float_round_mode_32 0
		.amdhsa_float_round_mode_16_64 0
		.amdhsa_float_denorm_mode_32 3
		.amdhsa_float_denorm_mode_16_64 3
		.amdhsa_dx10_clamp 1
		.amdhsa_ieee_mode 1
		.amdhsa_fp16_overflow 0
		.amdhsa_tg_split 0
		.amdhsa_exception_fp_ieee_invalid_op 0
		.amdhsa_exception_fp_denorm_src 0
		.amdhsa_exception_fp_ieee_div_zero 0
		.amdhsa_exception_fp_ieee_overflow 0
		.amdhsa_exception_fp_ieee_underflow 0
		.amdhsa_exception_fp_ieee_inexact 0
		.amdhsa_exception_int_div_zero 0
	.end_amdhsa_kernel
	.section	.text._ZN9rocsparseL19gtsv_LBM_rhs_kernelILj256ELj16ELj4E21rocsparse_complex_numIfEEEviiiPKT2_S5_S5_PS3_S5_PKi,"axG",@progbits,_ZN9rocsparseL19gtsv_LBM_rhs_kernelILj256ELj16ELj4E21rocsparse_complex_numIfEEEviiiPKT2_S5_S5_PS3_S5_PKi,comdat
.Lfunc_end220:
	.size	_ZN9rocsparseL19gtsv_LBM_rhs_kernelILj256ELj16ELj4E21rocsparse_complex_numIfEEEviiiPKT2_S5_S5_PS3_S5_PKi, .Lfunc_end220-_ZN9rocsparseL19gtsv_LBM_rhs_kernelILj256ELj16ELj4E21rocsparse_complex_numIfEEEviiiPKT2_S5_S5_PS3_S5_PKi
                                        ; -- End function
	.set _ZN9rocsparseL19gtsv_LBM_rhs_kernelILj256ELj16ELj4E21rocsparse_complex_numIfEEEviiiPKT2_S5_S5_PS3_S5_PKi.num_vgpr, 76
	.set _ZN9rocsparseL19gtsv_LBM_rhs_kernelILj256ELj16ELj4E21rocsparse_complex_numIfEEEviiiPKT2_S5_S5_PS3_S5_PKi.num_agpr, 0
	.set _ZN9rocsparseL19gtsv_LBM_rhs_kernelILj256ELj16ELj4E21rocsparse_complex_numIfEEEviiiPKT2_S5_S5_PS3_S5_PKi.numbered_sgpr, 32
	.set _ZN9rocsparseL19gtsv_LBM_rhs_kernelILj256ELj16ELj4E21rocsparse_complex_numIfEEEviiiPKT2_S5_S5_PS3_S5_PKi.num_named_barrier, 0
	.set _ZN9rocsparseL19gtsv_LBM_rhs_kernelILj256ELj16ELj4E21rocsparse_complex_numIfEEEviiiPKT2_S5_S5_PS3_S5_PKi.private_seg_size, 0
	.set _ZN9rocsparseL19gtsv_LBM_rhs_kernelILj256ELj16ELj4E21rocsparse_complex_numIfEEEviiiPKT2_S5_S5_PS3_S5_PKi.uses_vcc, 1
	.set _ZN9rocsparseL19gtsv_LBM_rhs_kernelILj256ELj16ELj4E21rocsparse_complex_numIfEEEviiiPKT2_S5_S5_PS3_S5_PKi.uses_flat_scratch, 0
	.set _ZN9rocsparseL19gtsv_LBM_rhs_kernelILj256ELj16ELj4E21rocsparse_complex_numIfEEEviiiPKT2_S5_S5_PS3_S5_PKi.has_dyn_sized_stack, 0
	.set _ZN9rocsparseL19gtsv_LBM_rhs_kernelILj256ELj16ELj4E21rocsparse_complex_numIfEEEviiiPKT2_S5_S5_PS3_S5_PKi.has_recursion, 0
	.set _ZN9rocsparseL19gtsv_LBM_rhs_kernelILj256ELj16ELj4E21rocsparse_complex_numIfEEEviiiPKT2_S5_S5_PS3_S5_PKi.has_indirect_call, 0
	.section	.AMDGPU.csdata,"",@progbits
; Kernel info:
; codeLenInByte = 3788
; TotalNumSgprs: 38
; NumVgprs: 76
; NumAgprs: 0
; TotalNumVgprs: 76
; ScratchSize: 0
; MemoryBound: 0
; FloatMode: 240
; IeeeMode: 1
; LDSByteSize: 0 bytes/workgroup (compile time only)
; SGPRBlocks: 4
; VGPRBlocks: 9
; NumSGPRsForWavesPerEU: 38
; NumVGPRsForWavesPerEU: 76
; AccumOffset: 76
; Occupancy: 6
; WaveLimiterHint : 0
; COMPUTE_PGM_RSRC2:SCRATCH_EN: 0
; COMPUTE_PGM_RSRC2:USER_SGPR: 2
; COMPUTE_PGM_RSRC2:TRAP_HANDLER: 0
; COMPUTE_PGM_RSRC2:TGID_X_EN: 1
; COMPUTE_PGM_RSRC2:TGID_Y_EN: 1
; COMPUTE_PGM_RSRC2:TGID_Z_EN: 0
; COMPUTE_PGM_RSRC2:TIDIG_COMP_CNT: 0
; COMPUTE_PGM_RSRC3_GFX90A:ACCUM_OFFSET: 18
; COMPUTE_PGM_RSRC3_GFX90A:TG_SPLIT: 0
	.section	.text._ZN9rocsparseL19gtsv_LBM_rhs_kernelILj256ELj16ELj2E21rocsparse_complex_numIfEEEviiiPKT2_S5_S5_PS3_S5_PKi,"axG",@progbits,_ZN9rocsparseL19gtsv_LBM_rhs_kernelILj256ELj16ELj2E21rocsparse_complex_numIfEEEviiiPKT2_S5_S5_PS3_S5_PKi,comdat
	.globl	_ZN9rocsparseL19gtsv_LBM_rhs_kernelILj256ELj16ELj2E21rocsparse_complex_numIfEEEviiiPKT2_S5_S5_PS3_S5_PKi ; -- Begin function _ZN9rocsparseL19gtsv_LBM_rhs_kernelILj256ELj16ELj2E21rocsparse_complex_numIfEEEviiiPKT2_S5_S5_PS3_S5_PKi
	.p2align	8
	.type	_ZN9rocsparseL19gtsv_LBM_rhs_kernelILj256ELj16ELj2E21rocsparse_complex_numIfEEEviiiPKT2_S5_S5_PS3_S5_PKi,@function
_ZN9rocsparseL19gtsv_LBM_rhs_kernelILj256ELj16ELj2E21rocsparse_complex_numIfEEEviiiPKT2_S5_S5_PS3_S5_PKi: ; @_ZN9rocsparseL19gtsv_LBM_rhs_kernelILj256ELj16ELj2E21rocsparse_complex_numIfEEEviiiPKT2_S5_S5_PS3_S5_PKi
; %bb.0:
	s_load_dword s23, s[0:1], 0x0
	v_lshl_or_b32 v0, s2, 8, v0
	s_waitcnt lgkmcnt(0)
	s_lshr_b32 s22, s23, 4
	v_cmp_gt_i32_e32 vcc, s22, v0
	s_and_saveexec_b64 s[4:5], vcc
	s_cbranch_execz .LBB221_29
; %bb.1:
	s_load_dwordx4 s[8:11], s[0:1], 0x28
	s_load_dwordx2 s[6:7], s[0:1], 0x38
	s_cmp_lt_i32 s23, 1
	v_add_u32_e32 v25, s22, v0
	s_mul_i32 s24, s3, s23
	s_cbranch_scc1 .LBB221_21
; %bb.2:
	s_load_dwordx4 s[12:15], s[0:1], 0x10
	s_load_dwordx2 s[16:17], s[0:1], 0x20
	v_ashrrev_i32_e32 v1, 31, v0
	s_lshl_b32 s28, s24, 1
	s_mul_i32 s25, s22, 15
	s_waitcnt lgkmcnt(0)
	v_lshl_add_u64 v[2:3], v[0:1], 3, s[14:15]
	global_load_dwordx2 v[6:7], v[2:3], off
	s_mul_i32 s26, s22, 14
	s_lshl_b32 s27, s22, 1
	v_add_u32_e32 v42, s22, v25
	s_add_i32 s29, s28, s23
	v_mov_b32_e32 v3, 0
	s_mov_b64 s[18:19], 0
	v_mov_b32_e32 v1, 0
	s_branch .LBB221_5
.LBB221_3:                              ;   in Loop: Header=BB221_5 Depth=1
	s_or_b64 exec, exec, s[4:5]
	v_mov_b32_e32 v21, v4
	v_pk_mul_f32 v[14:15], v[8:9], v[20:21] op_sel:[1,0]
	s_nop 0
	v_pk_fma_f32 v[4:5], v[4:5], v[8:9], v[14:15] op_sel_hi:[1,0,1]
	s_nop 0
	v_xor_b32_e32 v8, 0x80000000, v5
	v_mov_b32_e32 v9, v4
	v_pk_mul_f32 v[8:9], v[12:13], v[8:9] op_sel_hi:[0,1]
	v_pk_fma_f32 v[4:5], v[4:5], v[6:7], v[8:9] op_sel_hi:[1,0,1]
	v_mov_b32_e32 v12, s22
	v_pk_add_f32 v[6:7], v[10:11], v[4:5] neg_lo:[0,1] neg_hi:[0,1]
.LBB221_4:                              ;   in Loop: Header=BB221_5 Depth=1
	s_or_b64 exec, exec, s[2:3]
	v_add_u32_e32 v1, v12, v1
	v_cmp_le_i32_e32 vcc, s23, v1
	s_or_b64 s[18:19], vcc, s[18:19]
	s_andn2_b64 exec, exec, s[18:19]
	s_cbranch_execz .LBB221_20
.LBB221_5:                              ; =>This Inner Loop Header: Depth=1
	v_add_u32_e32 v16, v1, v0
	v_ashrrev_i32_e32 v17, 31, v16
	v_lshl_add_u64 v[4:5], v[16:17], 3, s[16:17]
	global_load_dwordx2 v[8:9], v[4:5], off
	v_cmp_gt_u32_e64 s[0:1], s25, v1
	v_mov_b32_e32 v4, 0
	v_mov_b32_e32 v5, 0
	s_and_saveexec_b64 s[2:3], s[0:1]
	s_cbranch_execz .LBB221_7
; %bb.6:                                ;   in Loop: Header=BB221_5 Depth=1
	v_add_u32_e32 v4, v25, v1
	v_ashrrev_i32_e32 v5, 31, v4
	v_lshl_add_u64 v[4:5], v[4:5], 3, s[12:13]
	global_load_dwordx2 v[4:5], v[4:5], off
.LBB221_7:                              ;   in Loop: Header=BB221_5 Depth=1
	s_or_b64 exec, exec, s[2:3]
	v_mov_b32_e32 v12, 0
	v_mov_b32_e32 v10, 0
	;; [unrolled: 1-line block ×3, first 2 shown]
	s_and_saveexec_b64 s[2:3], s[0:1]
	s_cbranch_execz .LBB221_9
; %bb.8:                                ;   in Loop: Header=BB221_5 Depth=1
	v_add_u32_e32 v10, v25, v1
	v_ashrrev_i32_e32 v11, 31, v10
	v_lshl_add_u64 v[10:11], v[10:11], 3, s[14:15]
	global_load_dwordx2 v[10:11], v[10:11], off
.LBB221_9:                              ;   in Loop: Header=BB221_5 Depth=1
	s_or_b64 exec, exec, s[2:3]
	v_mov_b32_e32 v13, 0
	s_and_saveexec_b64 s[2:3], s[0:1]
	s_cbranch_execz .LBB221_11
; %bb.10:                               ;   in Loop: Header=BB221_5 Depth=1
	v_add_u32_e32 v12, v25, v1
	v_ashrrev_i32_e32 v13, 31, v12
	v_lshl_add_u64 v[12:13], v[12:13], 3, s[16:17]
	global_load_dwordx2 v[12:13], v[12:13], off
.LBB221_11:                             ;   in Loop: Header=BB221_5 Depth=1
	s_or_b64 exec, exec, s[2:3]
	v_cmp_gt_u32_e64 s[2:3], s26, v1
	v_mov_b32_e32 v14, 0
	v_mov_b32_e32 v15, 0
	s_and_saveexec_b64 s[4:5], s[2:3]
	s_cbranch_execz .LBB221_13
; %bb.12:                               ;   in Loop: Header=BB221_5 Depth=1
	v_add_u32_e32 v14, v42, v1
	v_ashrrev_i32_e32 v15, 31, v14
	v_lshl_add_u64 v[14:15], v[14:15], 3, s[12:13]
	global_load_dwordx2 v[14:15], v[14:15], off
.LBB221_13:                             ;   in Loop: Header=BB221_5 Depth=1
	s_or_b64 exec, exec, s[4:5]
	v_lshl_add_u64 v[18:19], v[16:17], 2, s[6:7]
	global_load_dword v17, v[18:19], off
	v_cmp_ne_u32_e32 vcc, s25, v1
	v_add_u32_e32 v2, s28, v16
	v_add_u32_e32 v16, s29, v16
	s_waitcnt vmcnt(1)
	v_xor_b32_e32 v20, 0x80000000, v5
	s_waitcnt vmcnt(0)
	v_cmp_ne_u32_e64 s[4:5], 1, v17
	s_and_b64 s[4:5], vcc, s[4:5]
	s_and_saveexec_b64 s[20:21], s[4:5]
	s_xor_b64 s[4:5], exec, s[20:21]
	s_cbranch_execz .LBB221_17
; %bb.14:                               ;   in Loop: Header=BB221_5 Depth=1
	v_mov_b32_e32 v17, v3
	v_lshl_add_u64 v[46:47], v[16:17], 3, s[8:9]
	v_add_u32_e32 v16, v25, v1
	v_lshl_add_u64 v[44:45], v[2:3], 3, s[8:9]
	v_add_u32_e32 v2, s28, v16
	global_load_dwordx2 v[28:29], v[44:45], off
	global_load_dwordx2 v[34:35], v[46:47], off
	v_lshl_add_u64 v[48:49], v[2:3], 3, s[8:9]
	v_add_u32_e32 v2, s29, v16
	v_lshl_add_u64 v[50:51], v[2:3], 3, s[8:9]
	global_load_dwordx2 v[36:37], v[48:49], off
	global_load_dwordx2 v[52:53], v[50:51], off
	v_xor_b32_e32 v16, 0x80000000, v7
	v_mov_b32_e32 v17, v6
	v_mov_b32_e32 v21, v4
	v_pk_mul_f32 v[26:27], v[10:11], v[16:17] op_sel:[1,0]
	v_pk_mul_f32 v[20:21], v[8:9], v[20:21] op_sel:[1,0]
	v_pk_fma_f32 v[26:27], v[6:7], v[10:11], v[26:27] op_sel_hi:[1,0,1]
	v_pk_fma_f32 v[20:21], v[4:5], v[8:9], v[20:21] op_sel_hi:[1,0,1]
	v_xor_b32_e32 v54, 0x80000000, v11
	v_pk_add_f32 v[20:21], v[26:27], v[20:21] neg_lo:[0,1] neg_hi:[0,1]
	v_xor_b32_e32 v56, 0x80000000, v9
	v_mul_f32_e32 v24, v21, v21
	v_fmac_f32_e32 v24, v20, v20
	v_div_scale_f32 v27, s[20:21], v24, v24, 1.0
	v_rcp_f32_e32 v30, v27
	v_fma_f32 v26, 0, v21, v20
	v_fma_f32 v21, v20, 0, -v21
	v_div_scale_f32 v20, vcc, 1.0, v24, 1.0
	v_fma_f32 v31, -v27, v30, 1.0
	v_fmac_f32_e32 v30, v31, v30
	v_mul_f32_e32 v31, v20, v30
	v_fma_f32 v32, -v27, v31, v20
	v_fmac_f32_e32 v31, v32, v30
	v_fma_f32 v20, -v27, v31, v20
	v_div_fmas_f32 v20, v20, v30, v31
	v_div_fixup_f32 v24, v20, v24, 1.0
	v_mul_f32_e32 v20, v26, v24
	v_mul_f32_e32 v24, v21, v24
	v_pk_add_f32 v[22:23], v[4:5], 0 neg_lo:[1,1] neg_hi:[1,1]
	v_mov_b32_e32 v55, v10
	v_mov_b32_e32 v57, v8
	v_pk_mov_b32 v[22:23], v[4:5], v[22:23] op_sel:[1,0]
	v_mov_b32_e32 v2, v3
	v_mov_b32_e32 v18, v6
	;; [unrolled: 1-line block ×3, first 2 shown]
	s_waitcnt vmcnt(3)
	v_mul_f32_e64 v26, v24, -v29
	v_mul_f32_e32 v30, v24, v28
	v_fmac_f32_e32 v26, v28, v20
	s_waitcnt vmcnt(2)
	v_mul_f32_e64 v28, v24, -v35
	v_mul_f32_e32 v32, v24, v34
	v_fmac_f32_e32 v28, v34, v20
	s_waitcnt vmcnt(1)
	v_mul_f32_e64 v34, v24, -v37
	v_mul_f32_e32 v38, v24, v36
	s_waitcnt vmcnt(0)
	v_mul_f32_e32 v40, v24, v52
	v_fmac_f32_e32 v30, v29, v20
	v_fmac_f32_e32 v32, v35, v20
	;; [unrolled: 1-line block ×4, first 2 shown]
	v_mul_f32_e64 v36, v24, -v53
	v_fmac_f32_e32 v40, v53, v20
	v_pk_mul_f32 v[58:59], v[30:31], v[54:55] op_sel_hi:[0,1]
	v_pk_mul_f32 v[54:55], v[32:33], v[54:55] op_sel_hi:[0,1]
	v_fmac_f32_e32 v36, v52, v20
	v_pk_mul_f32 v[52:53], v[38:39], v[56:57] op_sel_hi:[0,1]
	v_pk_mul_f32 v[56:57], v[40:41], v[56:57] op_sel_hi:[0,1]
	;; [unrolled: 1-line block ×3, first 2 shown]
	v_pk_fma_f32 v[58:59], v[10:11], v[26:27], v[58:59] op_sel_hi:[1,0,1]
	v_pk_mul_f32 v[62:63], v[22:23], v[32:33] op_sel_hi:[1,0]
	v_pk_fma_f32 v[10:11], v[10:11], v[28:29], v[54:55] op_sel_hi:[1,0,1]
	v_pk_mul_f32 v[54:55], v[38:39], v[16:17] op_sel_hi:[0,1]
	;; [unrolled: 2-line block ×3, first 2 shown]
	v_pk_fma_f32 v[8:9], v[8:9], v[36:37], v[56:57] op_sel_hi:[1,0,1]
	v_pk_fma_f32 v[60:61], v[4:5], v[26:27], v[60:61] op_sel_hi:[1,0,1] neg_lo:[1,0,0] neg_hi:[1,0,0]
	v_pk_fma_f32 v[62:63], v[4:5], v[28:29], v[62:63] op_sel_hi:[1,0,1] neg_lo:[1,0,0] neg_hi:[1,0,0]
	v_pk_fma_f32 v[54:55], v[6:7], v[34:35], v[54:55] op_sel_hi:[1,0,1]
	v_pk_add_f32 v[52:53], v[58:59], v[52:53] neg_lo:[0,1] neg_hi:[0,1]
	v_pk_fma_f32 v[56:57], v[6:7], v[36:37], v[64:65] op_sel_hi:[1,0,1]
	v_pk_add_f32 v[8:9], v[10:11], v[8:9] neg_lo:[0,1] neg_hi:[0,1]
	v_pk_add_f32 v[54:55], v[60:61], v[54:55]
	global_store_dwordx2 v[44:45], v[52:53], off
	v_pk_add_f32 v[10:11], v[62:63], v[56:57]
	global_store_dwordx2 v[46:47], v[8:9], off
	global_store_dwordx2 v[48:49], v[54:55], off
	;; [unrolled: 1-line block ×3, first 2 shown]
	v_mov_b64_e32 v[8:9], v[2:3]
	s_and_saveexec_b64 s[20:21], s[2:3]
	s_cbranch_execz .LBB221_16
; %bb.15:                               ;   in Loop: Header=BB221_5 Depth=1
	v_add_u32_e32 v8, v42, v1
	v_add_u32_e32 v2, s28, v8
	v_ashrrev_i32_e32 v9, 31, v8
	v_lshl_add_u64 v[10:11], v[2:3], 3, s[8:9]
	v_add_u32_e32 v2, s29, v8
	v_lshl_add_u64 v[8:9], v[8:9], 3, s[14:15]
	v_lshl_add_u64 v[44:45], v[2:3], 3, s[8:9]
	global_load_dwordx2 v[46:47], v[10:11], off
	global_load_dwordx2 v[48:49], v[44:45], off
	v_mov_b32_e32 v2, v15
	global_load_dwordx2 v[8:9], v[8:9], off
	v_xor_b32_e32 v50, 0x80000000, v15
	v_mov_b32_e32 v51, v14
	v_pk_mul_f32 v[22:23], v[2:3], v[22:23] op_sel_hi:[0,1]
	v_pk_mul_f32 v[16:17], v[2:3], v[16:17] op_sel_hi:[0,1]
	v_pk_mul_f32 v[50:51], v[6:7], v[50:51] op_sel:[1,0]
	v_pk_fma_f32 v[4:5], v[4:5], v[14:15], v[22:23] op_sel_hi:[1,0,1] neg_lo:[1,0,0] neg_hi:[1,0,0]
	v_pk_fma_f32 v[6:7], v[6:7], v[14:15], v[16:17] op_sel_hi:[1,0,1]
	v_pk_fma_f32 v[14:15], v[14:15], v[18:19], v[50:51]
	v_mov_b32_e32 v52, v13
	v_pk_add_f32 v[16:17], v[4:5], 0 neg_lo:[1,1] neg_hi:[1,1]
	v_xor_b32_e32 v22, 0x80000000, v15
	v_mov_b32_e32 v23, v14
	v_mov_b32_e32 v31, v30
	;; [unrolled: 1-line block ×5, first 2 shown]
	v_xor_b32_e32 v18, 0x80000000, v7
	v_mov_b32_e32 v19, v6
	v_pk_mov_b32 v[16:17], v[4:5], v[16:17] op_sel:[1,0]
	v_pk_mul_f32 v[22:23], v[52:53], v[22:23] op_sel_hi:[0,1]
	v_mov_b32_e32 v27, v26
	v_mov_b32_e32 v35, v34
	;; [unrolled: 1-line block ×4, first 2 shown]
	v_pk_mul_f32 v[38:39], v[38:39], v[18:19]
	v_pk_mul_f32 v[18:19], v[40:41], v[18:19]
	;; [unrolled: 1-line block ×4, first 2 shown]
	v_pk_fma_f32 v[12:13], v[14:15], v[12:13], v[22:23] op_sel_hi:[1,0,1]
	v_pk_fma_f32 v[34:35], v[6:7], v[34:35], v[38:39]
	v_pk_fma_f32 v[6:7], v[6:7], v[36:37], v[18:19]
	v_pk_fma_f32 v[14:15], v[4:5], v[26:27], v[30:31] neg_lo:[1,0,0] neg_hi:[1,0,0]
	v_pk_fma_f32 v[4:5], v[4:5], v[28:29], v[16:17] neg_lo:[1,0,0] neg_hi:[1,0,0]
	v_xor_b32_e32 v16, 0x80000000, v13
	v_mov_b32_e32 v17, v12
	v_pk_add_f32 v[4:5], v[4:5], v[6:7] neg_lo:[0,1] neg_hi:[0,1]
	v_pk_mul_f32 v[6:7], v[24:25], v[16:17] op_sel_hi:[0,1]
	v_pk_add_f32 v[14:15], v[14:15], v[34:35] neg_lo:[0,1] neg_hi:[0,1]
	v_pk_fma_f32 v[6:7], v[12:13], v[20:21], v[6:7] op_sel_hi:[1,0,1]
	s_waitcnt vmcnt(2)
	v_pk_add_f32 v[12:13], v[14:15], v[46:47]
	s_waitcnt vmcnt(1)
	v_pk_add_f32 v[4:5], v[4:5], v[48:49]
	global_store_dwordx2 v[10:11], v[12:13], off
	s_waitcnt vmcnt(1)
	v_pk_add_f32 v[8:9], v[8:9], v[6:7] neg_lo:[0,1] neg_hi:[0,1]
	global_store_dwordx2 v[44:45], v[4:5], off
.LBB221_16:                             ;   in Loop: Header=BB221_5 Depth=1
	s_or_b64 exec, exec, s[20:21]
	v_mov_b64_e32 v[6:7], v[8:9]
                                        ; implicit-def: $vgpr8_vgpr9
                                        ; implicit-def: $vgpr4
                                        ; implicit-def: $vgpr10_vgpr11
                                        ; implicit-def: $vgpr16
                                        ; implicit-def: $vgpr20
.LBB221_17:                             ;   in Loop: Header=BB221_5 Depth=1
	s_or_saveexec_b64 s[2:3], s[4:5]
	v_mov_b32_e32 v12, s27
	s_xor_b64 exec, exec, s[2:3]
	s_cbranch_execz .LBB221_4
; %bb.18:                               ;   in Loop: Header=BB221_5 Depth=1
	v_lshl_add_u64 v[18:19], v[2:3], 3, s[8:9]
	v_mov_b32_e32 v17, v3
	global_load_dwordx2 v[14:15], v[18:19], off
	v_lshl_add_u64 v[22:23], v[16:17], 3, s[8:9]
	global_load_dwordx2 v[16:17], v[22:23], off
	v_mul_f32_e32 v2, v7, v7
	v_fmac_f32_e32 v2, v6, v6
	v_div_scale_f32 v13, s[4:5], v2, v2, 1.0
	v_rcp_f32_e32 v21, v13
	v_fma_f32 v12, 0, v7, v6
	v_fma_f32 v7, v6, 0, -v7
	v_div_scale_f32 v6, vcc, 1.0, v2, 1.0
	v_fma_f32 v24, -v13, v21, 1.0
	v_fmac_f32_e32 v21, v24, v21
	v_mul_f32_e32 v24, v6, v21
	v_fma_f32 v26, -v13, v24, v6
	v_fmac_f32_e32 v24, v26, v21
	v_fma_f32 v6, -v13, v24, v6
	v_div_fmas_f32 v6, v6, v21, v24
	v_div_fixup_f32 v2, v6, v2, 1.0
	v_mul_f32_e32 v6, v12, v2
	v_mul_f32_e32 v12, v7, v2
	s_waitcnt vmcnt(1)
	v_pk_mul_f32 v[26:27], v[12:13], v[14:15] op_sel:[0,1] op_sel_hi:[0,0] neg_lo:[0,1]
	v_pk_fma_f32 v[14:15], v[14:15], v[6:7], v[26:27] op_sel_hi:[1,0,1]
	s_waitcnt vmcnt(0)
	v_pk_mul_f32 v[26:27], v[12:13], v[16:17] op_sel:[0,1] op_sel_hi:[0,0] neg_lo:[0,1]
	v_pk_fma_f32 v[16:17], v[16:17], v[6:7], v[26:27] op_sel_hi:[1,0,1]
	global_store_dwordx2 v[18:19], v[14:15], off
	global_store_dwordx2 v[22:23], v[16:17], off
	s_and_saveexec_b64 s[4:5], s[0:1]
	s_cbranch_execz .LBB221_3
; %bb.19:                               ;   in Loop: Header=BB221_5 Depth=1
	v_add_u32_e32 v7, v25, v1
	v_add_u32_e32 v2, s28, v7
	v_lshl_add_u64 v[18:19], v[2:3], 3, s[8:9]
	v_add_u32_e32 v2, s29, v7
	global_load_dwordx2 v[22:23], v[18:19], off
	v_lshl_add_u64 v[26:27], v[2:3], 3, s[8:9]
	global_load_dwordx2 v[28:29], v[26:27], off
	v_xor_b32_e32 v30, 0x80000000, v4
	v_mov_b32_e32 v31, v20
	v_mov_b32_e32 v32, v5
	;; [unrolled: 1-line block ×3, first 2 shown]
	s_waitcnt vmcnt(1)
	v_pk_fma_f32 v[22:23], v[30:31], v[14:15], v[22:23] op_sel_hi:[1,0,1]
	s_nop 0
	v_pk_fma_f32 v[14:15], v[32:33], v[14:15], v[22:23] op_sel:[0,1,0]
	s_waitcnt vmcnt(0)
	v_pk_fma_f32 v[22:23], v[30:31], v[16:17], v[28:29] op_sel_hi:[1,0,1]
	global_store_dwordx2 v[18:19], v[14:15], off
	v_pk_fma_f32 v[14:15], v[32:33], v[16:17], v[22:23] op_sel:[0,1,0]
	global_store_dwordx2 v[26:27], v[14:15], off
	s_branch .LBB221_3
.LBB221_20:
	s_or_b64 exec, exec, s[18:19]
	s_branch .LBB221_22
.LBB221_21:
	v_mov_b32_e32 v1, 0
.LBB221_22:
	v_subrev_u32_e32 v1, s22, v1
	v_add_u32_e32 v2, v1, v0
	v_ashrrev_i32_e32 v3, 31, v2
	s_waitcnt lgkmcnt(0)
	v_lshl_add_u64 v[2:3], v[2:3], 2, s[6:7]
	buffer_wbl2 sc1
	s_waitcnt vmcnt(0)
	buffer_inv sc1
	global_load_dword v2, v[2:3], off
	s_waitcnt vmcnt(0)
	v_mul_lo_u32 v2, v2, s22
	v_sub_u32_e32 v1, v1, v2
	v_cmp_lt_i32_e32 vcc, -1, v1
	s_and_b64 exec, exec, vcc
	s_cbranch_execz .LBB221_29
; %bb.23:
	s_lshl_b32 s4, s24, 1
	s_add_i32 s5, s4, s23
	s_lshl_b32 s12, s22, 1
	s_mov_b64 s[0:1], 0
	v_mov_b32_e32 v3, 0
	s_branch .LBB221_25
.LBB221_24:                             ;   in Loop: Header=BB221_25 Depth=1
	s_or_b64 exec, exec, s[2:3]
	v_sub_u32_e32 v1, v1, v2
	v_cmp_gt_i32_e32 vcc, 0, v1
	s_or_b64 s[0:1], vcc, s[0:1]
	s_andn2_b64 exec, exec, s[0:1]
	s_cbranch_execz .LBB221_29
.LBB221_25:                             ; =>This Inner Loop Header: Depth=1
	v_add_u32_e32 v4, v1, v0
	v_ashrrev_i32_e32 v5, 31, v4
	s_waitcnt vmcnt(0)
	v_lshl_add_u64 v[6:7], v[4:5], 2, s[6:7]
	global_load_dword v2, v[6:7], off
	v_lshl_add_u64 v[6:7], v[4:5], 3, s[10:11]
	global_load_dwordx2 v[6:7], v[6:7], off
	s_waitcnt vmcnt(1)
	v_cmp_ne_u32_e32 vcc, 1, v2
	s_and_saveexec_b64 s[2:3], vcc
	s_xor_b64 s[2:3], exec, s[2:3]
	s_cbranch_execz .LBB221_27
; %bb.26:                               ;   in Loop: Header=BB221_25 Depth=1
	v_add_u32_e32 v5, v25, v1
	v_add_u32_e32 v2, s4, v5
	v_lshl_add_u64 v[8:9], v[2:3], 3, s[8:9]
	v_add_u32_e32 v2, s5, v5
	v_lshl_add_u64 v[10:11], v[2:3], 3, s[8:9]
	v_add_u32_e32 v2, s4, v4
	v_lshl_add_u64 v[12:13], v[2:3], 3, s[8:9]
	global_load_dwordx2 v[14:15], v[8:9], off
	global_load_dwordx2 v[16:17], v[12:13], off
	;; [unrolled: 1-line block ×3, first 2 shown]
	s_waitcnt vmcnt(3)
	v_pk_add_f32 v[8:9], v[6:7], 0 neg_lo:[1,1] neg_hi:[1,1]
	v_xor_b32_e32 v11, 0x80000000, v7
	v_mov_b32_e32 v10, v8
	v_pk_mov_b32 v[6:7], v[6:7], v[8:9] op_sel:[1,0]
	v_add_u32_e32 v2, s5, v4
	v_lshl_add_u64 v[4:5], v[2:3], 3, s[8:9]
	v_subrev_u32_e32 v2, s22, v1
	s_waitcnt vmcnt(1)
	v_pk_fma_f32 v[8:9], v[10:11], v[14:15], v[16:17] op_sel_hi:[1,0,1]
	s_nop 0
	v_pk_fma_f32 v[8:9], v[6:7], v[14:15], v[8:9] op_sel:[0,1,0]
	global_store_dwordx2 v[12:13], v[8:9], off
	global_load_dwordx2 v[8:9], v[4:5], off
	v_add_u32_e32 v12, v2, v0
	v_ashrrev_i32_e32 v13, 31, v12
	v_lshl_add_u64 v[16:17], v[12:13], 3, s[10:11]
	v_add_u32_e32 v2, s4, v12
	global_load_dwordx2 v[16:17], v[16:17], off
	v_lshl_add_u64 v[20:21], v[2:3], 3, s[8:9]
	v_add_u32_e32 v2, s5, v12
	s_waitcnt vmcnt(1)
	v_pk_fma_f32 v[8:9], v[10:11], v[18:19], v[8:9] op_sel_hi:[1,0,1]
	s_nop 0
	v_pk_fma_f32 v[6:7], v[6:7], v[18:19], v[8:9] op_sel:[0,1,0]
	global_store_dwordx2 v[4:5], v[6:7], off
	global_load_dwordx2 v[4:5], v[20:21], off
	v_lshl_add_u64 v[6:7], v[2:3], 3, s[8:9]
	s_waitcnt vmcnt(2)
	v_pk_add_f32 v[8:9], v[16:17], 0 neg_lo:[1,1] neg_hi:[1,1]
	s_waitcnt vmcnt(0)
	v_pk_fma_f32 v[4:5], v[16:17], v[14:15], v[4:5] op_sel_hi:[1,0,1] neg_lo:[1,0,0] neg_hi:[1,0,0]
	v_pk_mov_b32 v[8:9], v[16:17], v[8:9] op_sel:[1,0]
	s_nop 0
	v_pk_fma_f32 v[4:5], v[8:9], v[14:15], v[4:5] op_sel:[0,1,0]
	global_store_dwordx2 v[20:21], v[4:5], off
	global_load_dwordx2 v[4:5], v[6:7], off
	s_waitcnt vmcnt(0)
	v_pk_fma_f32 v[4:5], v[16:17], v[18:19], v[4:5] op_sel_hi:[1,0,1] neg_lo:[1,0,0] neg_hi:[1,0,0]
	s_nop 0
	v_pk_fma_f32 v[4:5], v[8:9], v[18:19], v[4:5] op_sel:[0,1,0]
	global_store_dwordx2 v[6:7], v[4:5], off
                                        ; implicit-def: $vgpr4
                                        ; implicit-def: $vgpr6_vgpr7
.LBB221_27:                             ;   in Loop: Header=BB221_25 Depth=1
	s_or_saveexec_b64 s[2:3], s[2:3]
	v_mov_b32_e32 v2, s12
	s_xor_b64 exec, exec, s[2:3]
	s_cbranch_execz .LBB221_24
; %bb.28:                               ;   in Loop: Header=BB221_25 Depth=1
	v_add_u32_e32 v5, v25, v1
	v_add_u32_e32 v2, s4, v5
	v_lshl_add_u64 v[8:9], v[2:3], 3, s[8:9]
	v_add_u32_e32 v2, s4, v4
	v_lshl_add_u64 v[10:11], v[2:3], 3, s[8:9]
	global_load_dwordx2 v[12:13], v[8:9], off
	global_load_dwordx2 v[14:15], v[10:11], off
	s_waitcnt vmcnt(2)
	v_pk_add_f32 v[8:9], v[6:7], 0 neg_lo:[1,1] neg_hi:[1,1]
	v_xor_b32_e32 v17, 0x80000000, v7
	v_mov_b32_e32 v16, v8
	v_pk_mov_b32 v[8:9], v[6:7], v[8:9] op_sel:[1,0]
	v_add_u32_e32 v2, s5, v5
	v_lshl_add_u64 v[18:19], v[2:3], 3, s[8:9]
	v_add_u32_e32 v2, s5, v4
	v_lshl_add_u64 v[4:5], v[2:3], 3, s[8:9]
	v_mov_b32_e32 v2, s22
	s_waitcnt vmcnt(0)
	v_pk_fma_f32 v[14:15], v[16:17], v[12:13], v[14:15] op_sel_hi:[1,0,1]
	s_nop 0
	v_pk_fma_f32 v[12:13], v[8:9], v[12:13], v[14:15] op_sel:[0,1,0]
	global_store_dwordx2 v[10:11], v[12:13], off
	global_load_dwordx2 v[10:11], v[18:19], off
	s_nop 0
	global_load_dwordx2 v[12:13], v[4:5], off
	s_waitcnt vmcnt(0)
	v_pk_fma_f32 v[6:7], v[6:7], v[10:11], v[12:13] op_sel_hi:[1,0,1] neg_lo:[1,0,0] neg_hi:[1,0,0]
	s_nop 0
	v_pk_fma_f32 v[6:7], v[8:9], v[10:11], v[6:7] op_sel:[0,1,0]
	global_store_dwordx2 v[4:5], v[6:7], off
	s_branch .LBB221_24
.LBB221_29:
	s_endpgm
	.section	.rodata,"a",@progbits
	.p2align	6, 0x0
	.amdhsa_kernel _ZN9rocsparseL19gtsv_LBM_rhs_kernelILj256ELj16ELj2E21rocsparse_complex_numIfEEEviiiPKT2_S5_S5_PS3_S5_PKi
		.amdhsa_group_segment_fixed_size 0
		.amdhsa_private_segment_fixed_size 0
		.amdhsa_kernarg_size 64
		.amdhsa_user_sgpr_count 2
		.amdhsa_user_sgpr_dispatch_ptr 0
		.amdhsa_user_sgpr_queue_ptr 0
		.amdhsa_user_sgpr_kernarg_segment_ptr 1
		.amdhsa_user_sgpr_dispatch_id 0
		.amdhsa_user_sgpr_kernarg_preload_length 0
		.amdhsa_user_sgpr_kernarg_preload_offset 0
		.amdhsa_user_sgpr_private_segment_size 0
		.amdhsa_uses_dynamic_stack 0
		.amdhsa_enable_private_segment 0
		.amdhsa_system_sgpr_workgroup_id_x 1
		.amdhsa_system_sgpr_workgroup_id_y 1
		.amdhsa_system_sgpr_workgroup_id_z 0
		.amdhsa_system_sgpr_workgroup_info 0
		.amdhsa_system_vgpr_workitem_id 0
		.amdhsa_next_free_vgpr 66
		.amdhsa_next_free_sgpr 30
		.amdhsa_accum_offset 68
		.amdhsa_reserve_vcc 1
		.amdhsa_float_round_mode_32 0
		.amdhsa_float_round_mode_16_64 0
		.amdhsa_float_denorm_mode_32 3
		.amdhsa_float_denorm_mode_16_64 3
		.amdhsa_dx10_clamp 1
		.amdhsa_ieee_mode 1
		.amdhsa_fp16_overflow 0
		.amdhsa_tg_split 0
		.amdhsa_exception_fp_ieee_invalid_op 0
		.amdhsa_exception_fp_denorm_src 0
		.amdhsa_exception_fp_ieee_div_zero 0
		.amdhsa_exception_fp_ieee_overflow 0
		.amdhsa_exception_fp_ieee_underflow 0
		.amdhsa_exception_fp_ieee_inexact 0
		.amdhsa_exception_int_div_zero 0
	.end_amdhsa_kernel
	.section	.text._ZN9rocsparseL19gtsv_LBM_rhs_kernelILj256ELj16ELj2E21rocsparse_complex_numIfEEEviiiPKT2_S5_S5_PS3_S5_PKi,"axG",@progbits,_ZN9rocsparseL19gtsv_LBM_rhs_kernelILj256ELj16ELj2E21rocsparse_complex_numIfEEEviiiPKT2_S5_S5_PS3_S5_PKi,comdat
.Lfunc_end221:
	.size	_ZN9rocsparseL19gtsv_LBM_rhs_kernelILj256ELj16ELj2E21rocsparse_complex_numIfEEEviiiPKT2_S5_S5_PS3_S5_PKi, .Lfunc_end221-_ZN9rocsparseL19gtsv_LBM_rhs_kernelILj256ELj16ELj2E21rocsparse_complex_numIfEEEviiiPKT2_S5_S5_PS3_S5_PKi
                                        ; -- End function
	.set _ZN9rocsparseL19gtsv_LBM_rhs_kernelILj256ELj16ELj2E21rocsparse_complex_numIfEEEviiiPKT2_S5_S5_PS3_S5_PKi.num_vgpr, 66
	.set _ZN9rocsparseL19gtsv_LBM_rhs_kernelILj256ELj16ELj2E21rocsparse_complex_numIfEEEviiiPKT2_S5_S5_PS3_S5_PKi.num_agpr, 0
	.set _ZN9rocsparseL19gtsv_LBM_rhs_kernelILj256ELj16ELj2E21rocsparse_complex_numIfEEEviiiPKT2_S5_S5_PS3_S5_PKi.numbered_sgpr, 30
	.set _ZN9rocsparseL19gtsv_LBM_rhs_kernelILj256ELj16ELj2E21rocsparse_complex_numIfEEEviiiPKT2_S5_S5_PS3_S5_PKi.num_named_barrier, 0
	.set _ZN9rocsparseL19gtsv_LBM_rhs_kernelILj256ELj16ELj2E21rocsparse_complex_numIfEEEviiiPKT2_S5_S5_PS3_S5_PKi.private_seg_size, 0
	.set _ZN9rocsparseL19gtsv_LBM_rhs_kernelILj256ELj16ELj2E21rocsparse_complex_numIfEEEviiiPKT2_S5_S5_PS3_S5_PKi.uses_vcc, 1
	.set _ZN9rocsparseL19gtsv_LBM_rhs_kernelILj256ELj16ELj2E21rocsparse_complex_numIfEEEviiiPKT2_S5_S5_PS3_S5_PKi.uses_flat_scratch, 0
	.set _ZN9rocsparseL19gtsv_LBM_rhs_kernelILj256ELj16ELj2E21rocsparse_complex_numIfEEEviiiPKT2_S5_S5_PS3_S5_PKi.has_dyn_sized_stack, 0
	.set _ZN9rocsparseL19gtsv_LBM_rhs_kernelILj256ELj16ELj2E21rocsparse_complex_numIfEEEviiiPKT2_S5_S5_PS3_S5_PKi.has_recursion, 0
	.set _ZN9rocsparseL19gtsv_LBM_rhs_kernelILj256ELj16ELj2E21rocsparse_complex_numIfEEEviiiPKT2_S5_S5_PS3_S5_PKi.has_indirect_call, 0
	.section	.AMDGPU.csdata,"",@progbits
; Kernel info:
; codeLenInByte = 2604
; TotalNumSgprs: 36
; NumVgprs: 66
; NumAgprs: 0
; TotalNumVgprs: 66
; ScratchSize: 0
; MemoryBound: 0
; FloatMode: 240
; IeeeMode: 1
; LDSByteSize: 0 bytes/workgroup (compile time only)
; SGPRBlocks: 4
; VGPRBlocks: 8
; NumSGPRsForWavesPerEU: 36
; NumVGPRsForWavesPerEU: 66
; AccumOffset: 68
; Occupancy: 7
; WaveLimiterHint : 0
; COMPUTE_PGM_RSRC2:SCRATCH_EN: 0
; COMPUTE_PGM_RSRC2:USER_SGPR: 2
; COMPUTE_PGM_RSRC2:TRAP_HANDLER: 0
; COMPUTE_PGM_RSRC2:TGID_X_EN: 1
; COMPUTE_PGM_RSRC2:TGID_Y_EN: 1
; COMPUTE_PGM_RSRC2:TGID_Z_EN: 0
; COMPUTE_PGM_RSRC2:TIDIG_COMP_CNT: 0
; COMPUTE_PGM_RSRC3_GFX90A:ACCUM_OFFSET: 16
; COMPUTE_PGM_RSRC3_GFX90A:TG_SPLIT: 0
	.section	.text._ZN9rocsparseL19gtsv_LBM_rhs_kernelILj256ELj16ELj1E21rocsparse_complex_numIfEEEviiiPKT2_S5_S5_PS3_S5_PKi,"axG",@progbits,_ZN9rocsparseL19gtsv_LBM_rhs_kernelILj256ELj16ELj1E21rocsparse_complex_numIfEEEviiiPKT2_S5_S5_PS3_S5_PKi,comdat
	.globl	_ZN9rocsparseL19gtsv_LBM_rhs_kernelILj256ELj16ELj1E21rocsparse_complex_numIfEEEviiiPKT2_S5_S5_PS3_S5_PKi ; -- Begin function _ZN9rocsparseL19gtsv_LBM_rhs_kernelILj256ELj16ELj1E21rocsparse_complex_numIfEEEviiiPKT2_S5_S5_PS3_S5_PKi
	.p2align	8
	.type	_ZN9rocsparseL19gtsv_LBM_rhs_kernelILj256ELj16ELj1E21rocsparse_complex_numIfEEEviiiPKT2_S5_S5_PS3_S5_PKi,@function
_ZN9rocsparseL19gtsv_LBM_rhs_kernelILj256ELj16ELj1E21rocsparse_complex_numIfEEEviiiPKT2_S5_S5_PS3_S5_PKi: ; @_ZN9rocsparseL19gtsv_LBM_rhs_kernelILj256ELj16ELj1E21rocsparse_complex_numIfEEEviiiPKT2_S5_S5_PS3_S5_PKi
; %bb.0:
	s_load_dword s24, s[0:1], 0x0
	v_lshl_or_b32 v0, s2, 8, v0
	s_waitcnt lgkmcnt(0)
	s_lshr_b32 s22, s24, 4
	v_cmp_gt_i32_e32 vcc, s22, v0
	s_and_saveexec_b64 s[4:5], vcc
	s_cbranch_execz .LBB222_29
; %bb.1:
	s_load_dwordx4 s[8:11], s[0:1], 0x28
	s_load_dwordx2 s[6:7], s[0:1], 0x38
	s_cmp_lt_i32 s24, 1
	s_mul_i32 s23, s24, s3
	s_cbranch_scc1 .LBB222_21
; %bb.2:
	s_load_dwordx4 s[12:15], s[0:1], 0x10
	s_load_dwordx2 s[16:17], s[0:1], 0x20
	v_ashrrev_i32_e32 v1, 31, v0
	v_add_u32_e32 v25, s22, v0
	s_mul_i32 s25, s22, 15
	s_waitcnt lgkmcnt(0)
	v_lshl_add_u64 v[2:3], v[0:1], 3, s[14:15]
	global_load_dwordx2 v[4:5], v[2:3], off
	s_mul_i32 s26, s22, 14
	s_lshl_b32 s27, s22, 1
	v_add_u32_e32 v34, s22, v25
	v_add_u32_e32 v35, s23, v25
	v_mov_b32_e32 v3, 0
	s_mov_b64 s[18:19], 0
	v_mov_b32_e32 v1, 0
	s_branch .LBB222_5
.LBB222_3:                              ;   in Loop: Header=BB222_5 Depth=1
	s_or_b64 exec, exec, s[4:5]
	v_mov_b32_e32 v17, v6
	v_pk_mul_f32 v[14:15], v[8:9], v[16:17] op_sel:[1,0]
	s_nop 0
	v_pk_fma_f32 v[6:7], v[6:7], v[8:9], v[14:15] op_sel_hi:[1,0,1]
	s_nop 0
	v_xor_b32_e32 v8, 0x80000000, v7
	v_mov_b32_e32 v9, v6
	v_pk_mul_f32 v[4:5], v[4:5], v[8:9] op_sel_hi:[0,1]
	v_pk_fma_f32 v[4:5], v[6:7], v[12:13], v[4:5] op_sel_hi:[1,0,1]
	v_mov_b32_e32 v12, s22
	v_pk_add_f32 v[4:5], v[10:11], v[4:5] neg_lo:[0,1] neg_hi:[0,1]
.LBB222_4:                              ;   in Loop: Header=BB222_5 Depth=1
	s_or_b64 exec, exec, s[2:3]
	v_add_u32_e32 v1, v12, v1
	v_cmp_le_i32_e32 vcc, s24, v1
	s_or_b64 s[18:19], vcc, s[18:19]
	s_andn2_b64 exec, exec, s[18:19]
	s_cbranch_execz .LBB222_20
.LBB222_5:                              ; =>This Inner Loop Header: Depth=1
	v_add_u32_e32 v16, v1, v0
	v_ashrrev_i32_e32 v17, 31, v16
	v_lshl_add_u64 v[6:7], v[16:17], 3, s[16:17]
	global_load_dwordx2 v[8:9], v[6:7], off
	v_cmp_gt_u32_e64 s[0:1], s25, v1
	v_add_u32_e32 v14, v25, v1
	v_mov_b32_e32 v6, 0
	v_mov_b32_e32 v7, 0
	s_and_saveexec_b64 s[2:3], s[0:1]
	s_cbranch_execz .LBB222_7
; %bb.6:                                ;   in Loop: Header=BB222_5 Depth=1
	v_ashrrev_i32_e32 v15, 31, v14
	v_lshl_add_u64 v[6:7], v[14:15], 3, s[12:13]
	global_load_dwordx2 v[6:7], v[6:7], off
.LBB222_7:                              ;   in Loop: Header=BB222_5 Depth=1
	s_or_b64 exec, exec, s[2:3]
	v_mov_b32_e32 v12, 0
	v_mov_b32_e32 v10, 0
	;; [unrolled: 1-line block ×3, first 2 shown]
	s_and_saveexec_b64 s[2:3], s[0:1]
	s_cbranch_execz .LBB222_9
; %bb.8:                                ;   in Loop: Header=BB222_5 Depth=1
	v_ashrrev_i32_e32 v15, 31, v14
	v_lshl_add_u64 v[10:11], v[14:15], 3, s[14:15]
	global_load_dwordx2 v[10:11], v[10:11], off
.LBB222_9:                              ;   in Loop: Header=BB222_5 Depth=1
	s_or_b64 exec, exec, s[2:3]
	v_mov_b32_e32 v13, 0
	s_and_saveexec_b64 s[2:3], s[0:1]
	s_cbranch_execz .LBB222_11
; %bb.10:                               ;   in Loop: Header=BB222_5 Depth=1
	v_ashrrev_i32_e32 v15, 31, v14
	v_lshl_add_u64 v[12:13], v[14:15], 3, s[16:17]
	global_load_dwordx2 v[12:13], v[12:13], off
.LBB222_11:                             ;   in Loop: Header=BB222_5 Depth=1
	s_or_b64 exec, exec, s[2:3]
	v_cmp_gt_u32_e64 s[2:3], s26, v1
	v_mov_b32_e32 v14, 0
	v_mov_b32_e32 v15, 0
	s_and_saveexec_b64 s[4:5], s[2:3]
	s_cbranch_execz .LBB222_13
; %bb.12:                               ;   in Loop: Header=BB222_5 Depth=1
	v_add_u32_e32 v14, v34, v1
	v_ashrrev_i32_e32 v15, 31, v14
	v_lshl_add_u64 v[14:15], v[14:15], 3, s[12:13]
	global_load_dwordx2 v[14:15], v[14:15], off
.LBB222_13:                             ;   in Loop: Header=BB222_5 Depth=1
	s_or_b64 exec, exec, s[4:5]
	v_lshl_add_u64 v[18:19], v[16:17], 2, s[6:7]
	global_load_dword v17, v[18:19], off
	v_cmp_ne_u32_e32 vcc, s25, v1
	v_add_u32_e32 v2, s23, v16
	s_waitcnt vmcnt(1)
	v_xor_b32_e32 v16, 0x80000000, v7
	s_waitcnt vmcnt(0)
	v_cmp_ne_u32_e64 s[4:5], 1, v17
	s_and_b64 s[4:5], vcc, s[4:5]
	s_and_saveexec_b64 s[20:21], s[4:5]
	s_xor_b64 s[4:5], exec, s[20:21]
	s_cbranch_execz .LBB222_17
; %bb.14:                               ;   in Loop: Header=BB222_5 Depth=1
	v_lshl_add_u64 v[36:37], v[2:3], 3, s[8:9]
	v_add_u32_e32 v2, v35, v1
	global_load_dwordx2 v[30:31], v[36:37], off
	v_lshl_add_u64 v[38:39], v[2:3], 3, s[8:9]
	global_load_dwordx2 v[40:41], v[38:39], off
	v_xor_b32_e32 v18, 0x80000000, v5
	v_mov_b32_e32 v19, v4
	v_mov_b32_e32 v17, v6
	v_pk_mul_f32 v[26:27], v[10:11], v[18:19] op_sel:[1,0]
	v_pk_mul_f32 v[16:17], v[8:9], v[16:17] op_sel:[1,0]
	v_pk_fma_f32 v[26:27], v[4:5], v[10:11], v[26:27] op_sel_hi:[1,0,1]
	v_pk_fma_f32 v[16:17], v[6:7], v[8:9], v[16:17] op_sel_hi:[1,0,1]
	v_xor_b32_e32 v42, 0x80000000, v11
	v_pk_add_f32 v[16:17], v[26:27], v[16:17] neg_lo:[0,1] neg_hi:[0,1]
	v_mov_b32_e32 v43, v10
	v_mul_f32_e32 v24, v17, v17
	v_fmac_f32_e32 v24, v16, v16
	v_div_scale_f32 v27, s[20:21], v24, v24, 1.0
	v_rcp_f32_e32 v28, v27
	v_fma_f32 v26, 0, v17, v16
	v_fma_f32 v17, v16, 0, -v17
	v_div_scale_f32 v16, vcc, 1.0, v24, 1.0
	v_fma_f32 v29, -v27, v28, 1.0
	v_fmac_f32_e32 v28, v29, v28
	v_mul_f32_e32 v29, v16, v28
	v_fma_f32 v32, -v27, v29, v16
	v_fmac_f32_e32 v29, v32, v28
	v_fma_f32 v16, -v27, v29, v16
	v_div_fmas_f32 v16, v16, v28, v29
	v_div_fixup_f32 v24, v16, v24, 1.0
	v_mul_f32_e32 v16, v26, v24
	v_mul_f32_e32 v24, v17, v24
	v_xor_b32_e32 v44, 0x80000000, v9
	v_pk_add_f32 v[22:23], v[6:7], 0 neg_lo:[1,1] neg_hi:[1,1]
	v_mov_b32_e32 v45, v8
	v_pk_mov_b32 v[22:23], v[6:7], v[22:23] op_sel:[1,0]
	v_mov_b32_e32 v2, v3
	v_mov_b32_e32 v20, v4
	;; [unrolled: 1-line block ×3, first 2 shown]
	s_waitcnt vmcnt(1)
	v_mul_f32_e64 v26, v24, -v31
	v_mul_f32_e32 v28, v24, v30
	v_fmac_f32_e32 v26, v30, v16
	v_fmac_f32_e32 v28, v31, v16
	s_waitcnt vmcnt(0)
	v_mul_f32_e64 v30, v24, -v41
	v_mul_f32_e32 v32, v24, v40
	v_fmac_f32_e32 v30, v40, v16
	v_fmac_f32_e32 v32, v41, v16
	v_pk_mul_f32 v[40:41], v[28:29], v[42:43] op_sel_hi:[0,1]
	v_pk_fma_f32 v[10:11], v[10:11], v[26:27], v[40:41] op_sel_hi:[1,0,1]
	v_pk_mul_f32 v[40:41], v[32:33], v[44:45] op_sel_hi:[0,1]
	v_pk_mul_f32 v[42:43], v[22:23], v[28:29] op_sel_hi:[1,0]
	;; [unrolled: 1-line block ×3, first 2 shown]
	v_pk_fma_f32 v[8:9], v[8:9], v[30:31], v[40:41] op_sel_hi:[1,0,1]
	v_pk_fma_f32 v[42:43], v[6:7], v[26:27], v[42:43] op_sel_hi:[1,0,1] neg_lo:[1,0,0] neg_hi:[1,0,0]
	v_pk_fma_f32 v[40:41], v[4:5], v[30:31], v[44:45] op_sel_hi:[1,0,1]
	v_pk_add_f32 v[8:9], v[10:11], v[8:9] neg_lo:[0,1] neg_hi:[0,1]
	v_pk_add_f32 v[10:11], v[42:43], v[40:41]
	global_store_dwordx2 v[36:37], v[8:9], off
	global_store_dwordx2 v[38:39], v[10:11], off
	v_mov_b64_e32 v[8:9], v[2:3]
	s_and_saveexec_b64 s[20:21], s[2:3]
	s_cbranch_execz .LBB222_16
; %bb.15:                               ;   in Loop: Header=BB222_5 Depth=1
	v_add_u32_e32 v8, v34, v1
	v_add_u32_e32 v2, s23, v8
	v_ashrrev_i32_e32 v9, 31, v8
	v_lshl_add_u64 v[10:11], v[2:3], 3, s[8:9]
	v_lshl_add_u64 v[8:9], v[8:9], 3, s[14:15]
	global_load_dwordx2 v[36:37], v[10:11], off
	v_mov_b32_e32 v2, v15
	global_load_dwordx2 v[8:9], v[8:9], off
	v_xor_b32_e32 v38, 0x80000000, v15
	v_mov_b32_e32 v39, v14
	v_pk_mul_f32 v[22:23], v[2:3], v[22:23] op_sel_hi:[0,1]
	v_pk_mul_f32 v[18:19], v[2:3], v[18:19] op_sel_hi:[0,1]
	v_pk_mul_f32 v[38:39], v[4:5], v[38:39] op_sel:[1,0]
	v_pk_fma_f32 v[6:7], v[6:7], v[14:15], v[22:23] op_sel_hi:[1,0,1] neg_lo:[1,0,0] neg_hi:[1,0,0]
	v_pk_fma_f32 v[4:5], v[4:5], v[14:15], v[18:19] op_sel_hi:[1,0,1]
	v_pk_fma_f32 v[14:15], v[14:15], v[20:21], v[38:39]
	v_mov_b32_e32 v40, v13
	v_pk_add_f32 v[18:19], v[6:7], 0 neg_lo:[1,1] neg_hi:[1,1]
	v_xor_b32_e32 v22, 0x80000000, v15
	v_mov_b32_e32 v23, v14
	v_mov_b32_e32 v29, v28
	;; [unrolled: 1-line block ×3, first 2 shown]
	v_xor_b32_e32 v20, 0x80000000, v5
	v_mov_b32_e32 v21, v4
	v_pk_mov_b32 v[18:19], v[6:7], v[18:19] op_sel:[1,0]
	v_pk_mul_f32 v[22:23], v[40:41], v[22:23] op_sel_hi:[0,1]
	v_mov_b32_e32 v27, v26
	v_mov_b32_e32 v31, v30
	v_pk_mul_f32 v[20:21], v[32:33], v[20:21]
	v_pk_mul_f32 v[18:19], v[18:19], v[28:29]
	v_pk_fma_f32 v[12:13], v[14:15], v[12:13], v[22:23] op_sel_hi:[1,0,1]
	v_pk_fma_f32 v[4:5], v[4:5], v[30:31], v[20:21]
	v_pk_fma_f32 v[6:7], v[6:7], v[26:27], v[18:19] neg_lo:[1,0,0] neg_hi:[1,0,0]
	v_xor_b32_e32 v14, 0x80000000, v13
	v_mov_b32_e32 v15, v12
	v_pk_add_f32 v[4:5], v[6:7], v[4:5] neg_lo:[0,1] neg_hi:[0,1]
	v_pk_mul_f32 v[6:7], v[24:25], v[14:15] op_sel_hi:[0,1]
	v_pk_fma_f32 v[6:7], v[12:13], v[16:17], v[6:7] op_sel_hi:[1,0,1]
	s_waitcnt vmcnt(1)
	v_pk_add_f32 v[4:5], v[4:5], v[36:37]
	global_store_dwordx2 v[10:11], v[4:5], off
	s_waitcnt vmcnt(1)
	v_pk_add_f32 v[8:9], v[8:9], v[6:7] neg_lo:[0,1] neg_hi:[0,1]
.LBB222_16:                             ;   in Loop: Header=BB222_5 Depth=1
	s_or_b64 exec, exec, s[20:21]
	v_mov_b64_e32 v[4:5], v[8:9]
                                        ; implicit-def: $vgpr16
                                        ; implicit-def: $vgpr6
                                        ; implicit-def: $vgpr8_vgpr9
                                        ; implicit-def: $vgpr10_vgpr11
.LBB222_17:                             ;   in Loop: Header=BB222_5 Depth=1
	s_or_saveexec_b64 s[2:3], s[4:5]
	v_mov_b32_e32 v12, s27
	s_xor_b64 exec, exec, s[2:3]
	s_cbranch_execz .LBB222_4
; %bb.18:                               ;   in Loop: Header=BB222_5 Depth=1
	v_lshl_add_u64 v[18:19], v[2:3], 3, s[8:9]
	global_load_dwordx2 v[14:15], v[18:19], off
	v_mul_f32_e32 v2, v5, v5
	v_fmac_f32_e32 v2, v4, v4
	v_div_scale_f32 v12, s[4:5], v2, v2, 1.0
	v_rcp_f32_e32 v13, v12
	s_nop 0
	v_fma_f32 v17, -v12, v13, 1.0
	v_fmac_f32_e32 v13, v17, v13
	v_div_scale_f32 v17, vcc, 1.0, v2, 1.0
	v_mul_f32_e32 v20, v17, v13
	v_fma_f32 v21, -v12, v20, v17
	v_fmac_f32_e32 v20, v21, v13
	v_fma_f32 v12, -v12, v20, v17
	v_div_fmas_f32 v12, v12, v13, v20
	v_div_fixup_f32 v2, v12, v2, 1.0
	v_fma_f32 v12, 0, v5, v4
	v_fma_f32 v4, v4, 0, -v5
	v_mul_f32_e32 v4, v4, v2
	v_mul_f32_e32 v12, v12, v2
	s_waitcnt vmcnt(0)
	v_pk_mul_f32 v[20:21], v[4:5], v[14:15] op_sel:[0,1] op_sel_hi:[0,0] neg_lo:[0,1]
	v_pk_fma_f32 v[14:15], v[14:15], v[12:13], v[20:21] op_sel_hi:[1,0,1]
	global_store_dwordx2 v[18:19], v[14:15], off
	s_and_saveexec_b64 s[4:5], s[0:1]
	s_cbranch_execz .LBB222_3
; %bb.19:                               ;   in Loop: Header=BB222_5 Depth=1
	v_add_u32_e32 v2, v35, v1
	v_lshl_add_u64 v[18:19], v[2:3], 3, s[8:9]
	global_load_dwordx2 v[20:21], v[18:19], off
	v_xor_b32_e32 v22, 0x80000000, v6
	v_mov_b32_e32 v23, v16
	v_mov_b32_e32 v26, v7
	;; [unrolled: 1-line block ×3, first 2 shown]
	s_waitcnt vmcnt(0)
	v_pk_fma_f32 v[20:21], v[22:23], v[14:15], v[20:21] op_sel_hi:[1,0,1]
	s_nop 0
	v_pk_fma_f32 v[14:15], v[26:27], v[14:15], v[20:21] op_sel:[0,1,0]
	global_store_dwordx2 v[18:19], v[14:15], off
	s_branch .LBB222_3
.LBB222_20:
	s_or_b64 exec, exec, s[18:19]
	s_branch .LBB222_22
.LBB222_21:
	v_mov_b32_e32 v1, 0
.LBB222_22:
	v_subrev_u32_e32 v1, s22, v1
	v_add_u32_e32 v2, v1, v0
	v_ashrrev_i32_e32 v3, 31, v2
	s_waitcnt lgkmcnt(0)
	v_lshl_add_u64 v[2:3], v[2:3], 2, s[6:7]
	buffer_wbl2 sc1
	s_waitcnt vmcnt(0)
	buffer_inv sc1
	global_load_dword v2, v[2:3], off
	s_waitcnt vmcnt(0)
	v_mul_lo_u32 v2, v2, s22
	v_sub_u32_e32 v1, v1, v2
	v_cmp_lt_i32_e32 vcc, -1, v1
	s_and_b64 exec, exec, vcc
	s_cbranch_execz .LBB222_29
; %bb.23:
	s_add_i32 s0, s23, s22
	v_add_u32_e32 v8, s0, v0
	s_lshl_b32 s4, s22, 1
	s_mov_b64 s[0:1], 0
	v_mov_b32_e32 v3, 0
	s_branch .LBB222_25
.LBB222_24:                             ;   in Loop: Header=BB222_25 Depth=1
	s_or_b64 exec, exec, s[2:3]
	v_sub_u32_e32 v1, v1, v2
	v_cmp_gt_i32_e32 vcc, 0, v1
	s_or_b64 s[0:1], vcc, s[0:1]
	s_andn2_b64 exec, exec, s[0:1]
	s_cbranch_execz .LBB222_29
.LBB222_25:                             ; =>This Inner Loop Header: Depth=1
	v_add_u32_e32 v6, v1, v0
	v_ashrrev_i32_e32 v7, 31, v6
	s_waitcnt vmcnt(0)
	v_lshl_add_u64 v[4:5], v[6:7], 2, s[6:7]
	global_load_dword v2, v[4:5], off
	v_lshl_add_u64 v[4:5], v[6:7], 3, s[10:11]
	global_load_dwordx2 v[4:5], v[4:5], off
	s_waitcnt vmcnt(1)
	v_cmp_ne_u32_e32 vcc, 1, v2
	s_and_saveexec_b64 s[2:3], vcc
	s_xor_b64 s[2:3], exec, s[2:3]
	s_cbranch_execz .LBB222_27
; %bb.26:                               ;   in Loop: Header=BB222_25 Depth=1
	v_add_u32_e32 v2, v8, v1
	v_lshl_add_u64 v[10:11], v[2:3], 3, s[8:9]
	v_add_u32_e32 v2, s23, v6
	v_lshl_add_u64 v[6:7], v[2:3], 3, s[8:9]
	global_load_dwordx2 v[12:13], v[10:11], off
	global_load_dwordx2 v[14:15], v[6:7], off
	v_subrev_u32_e32 v2, s22, v1
	s_waitcnt vmcnt(2)
	v_pk_add_f32 v[10:11], v[4:5], 0 neg_lo:[1,1] neg_hi:[1,1]
	v_add_u32_e32 v16, v2, v0
	v_pk_mov_b32 v[10:11], v[4:5], v[10:11] op_sel:[1,0]
	v_ashrrev_i32_e32 v17, 31, v16
	v_add_u32_e32 v2, s23, v16
	v_lshl_add_u64 v[16:17], v[16:17], 3, s[10:11]
	v_lshl_add_u64 v[18:19], v[2:3], 3, s[8:9]
	global_load_dwordx2 v[16:17], v[16:17], off
	s_waitcnt vmcnt(1)
	v_pk_fma_f32 v[4:5], v[4:5], v[12:13], v[14:15] op_sel_hi:[1,0,1] neg_lo:[1,0,0] neg_hi:[1,0,0]
	s_nop 0
	v_pk_fma_f32 v[4:5], v[10:11], v[12:13], v[4:5] op_sel:[0,1,0]
	global_store_dwordx2 v[6:7], v[4:5], off
	global_load_dwordx2 v[4:5], v[18:19], off
	s_waitcnt vmcnt(2)
	v_pk_add_f32 v[6:7], v[16:17], 0 neg_lo:[1,1] neg_hi:[1,1]
	s_nop 0
	v_pk_mov_b32 v[6:7], v[16:17], v[6:7] op_sel:[1,0]
	s_waitcnt vmcnt(0)
	v_pk_fma_f32 v[4:5], v[16:17], v[12:13], v[4:5] op_sel_hi:[1,0,1] neg_lo:[1,0,0] neg_hi:[1,0,0]
	s_nop 0
	v_pk_fma_f32 v[4:5], v[6:7], v[12:13], v[4:5] op_sel:[0,1,0]
	global_store_dwordx2 v[18:19], v[4:5], off
                                        ; implicit-def: $vgpr6
                                        ; implicit-def: $vgpr4_vgpr5
.LBB222_27:                             ;   in Loop: Header=BB222_25 Depth=1
	s_or_saveexec_b64 s[2:3], s[2:3]
	v_mov_b32_e32 v2, s4
	s_xor_b64 exec, exec, s[2:3]
	s_cbranch_execz .LBB222_24
; %bb.28:                               ;   in Loop: Header=BB222_25 Depth=1
	v_add_u32_e32 v2, v8, v1
	v_lshl_add_u64 v[10:11], v[2:3], 3, s[8:9]
	v_add_u32_e32 v2, s23, v6
	v_lshl_add_u64 v[6:7], v[2:3], 3, s[8:9]
	global_load_dwordx2 v[12:13], v[10:11], off
	global_load_dwordx2 v[14:15], v[6:7], off
	s_waitcnt vmcnt(2)
	v_pk_add_f32 v[10:11], v[4:5], 0 neg_lo:[1,1] neg_hi:[1,1]
	v_mov_b32_e32 v2, s22
	v_pk_mov_b32 v[10:11], v[4:5], v[10:11] op_sel:[1,0]
	s_waitcnt vmcnt(0)
	v_pk_fma_f32 v[4:5], v[4:5], v[12:13], v[14:15] op_sel_hi:[1,0,1] neg_lo:[1,0,0] neg_hi:[1,0,0]
	s_nop 0
	v_pk_fma_f32 v[4:5], v[10:11], v[12:13], v[4:5] op_sel:[0,1,0]
	global_store_dwordx2 v[6:7], v[4:5], off
	s_branch .LBB222_24
.LBB222_29:
	s_endpgm
	.section	.rodata,"a",@progbits
	.p2align	6, 0x0
	.amdhsa_kernel _ZN9rocsparseL19gtsv_LBM_rhs_kernelILj256ELj16ELj1E21rocsparse_complex_numIfEEEviiiPKT2_S5_S5_PS3_S5_PKi
		.amdhsa_group_segment_fixed_size 0
		.amdhsa_private_segment_fixed_size 0
		.amdhsa_kernarg_size 64
		.amdhsa_user_sgpr_count 2
		.amdhsa_user_sgpr_dispatch_ptr 0
		.amdhsa_user_sgpr_queue_ptr 0
		.amdhsa_user_sgpr_kernarg_segment_ptr 1
		.amdhsa_user_sgpr_dispatch_id 0
		.amdhsa_user_sgpr_kernarg_preload_length 0
		.amdhsa_user_sgpr_kernarg_preload_offset 0
		.amdhsa_user_sgpr_private_segment_size 0
		.amdhsa_uses_dynamic_stack 0
		.amdhsa_enable_private_segment 0
		.amdhsa_system_sgpr_workgroup_id_x 1
		.amdhsa_system_sgpr_workgroup_id_y 1
		.amdhsa_system_sgpr_workgroup_id_z 0
		.amdhsa_system_sgpr_workgroup_info 0
		.amdhsa_system_vgpr_workitem_id 0
		.amdhsa_next_free_vgpr 46
		.amdhsa_next_free_sgpr 28
		.amdhsa_accum_offset 48
		.amdhsa_reserve_vcc 1
		.amdhsa_float_round_mode_32 0
		.amdhsa_float_round_mode_16_64 0
		.amdhsa_float_denorm_mode_32 3
		.amdhsa_float_denorm_mode_16_64 3
		.amdhsa_dx10_clamp 1
		.amdhsa_ieee_mode 1
		.amdhsa_fp16_overflow 0
		.amdhsa_tg_split 0
		.amdhsa_exception_fp_ieee_invalid_op 0
		.amdhsa_exception_fp_denorm_src 0
		.amdhsa_exception_fp_ieee_div_zero 0
		.amdhsa_exception_fp_ieee_overflow 0
		.amdhsa_exception_fp_ieee_underflow 0
		.amdhsa_exception_fp_ieee_inexact 0
		.amdhsa_exception_int_div_zero 0
	.end_amdhsa_kernel
	.section	.text._ZN9rocsparseL19gtsv_LBM_rhs_kernelILj256ELj16ELj1E21rocsparse_complex_numIfEEEviiiPKT2_S5_S5_PS3_S5_PKi,"axG",@progbits,_ZN9rocsparseL19gtsv_LBM_rhs_kernelILj256ELj16ELj1E21rocsparse_complex_numIfEEEviiiPKT2_S5_S5_PS3_S5_PKi,comdat
.Lfunc_end222:
	.size	_ZN9rocsparseL19gtsv_LBM_rhs_kernelILj256ELj16ELj1E21rocsparse_complex_numIfEEEviiiPKT2_S5_S5_PS3_S5_PKi, .Lfunc_end222-_ZN9rocsparseL19gtsv_LBM_rhs_kernelILj256ELj16ELj1E21rocsparse_complex_numIfEEEviiiPKT2_S5_S5_PS3_S5_PKi
                                        ; -- End function
	.set _ZN9rocsparseL19gtsv_LBM_rhs_kernelILj256ELj16ELj1E21rocsparse_complex_numIfEEEviiiPKT2_S5_S5_PS3_S5_PKi.num_vgpr, 46
	.set _ZN9rocsparseL19gtsv_LBM_rhs_kernelILj256ELj16ELj1E21rocsparse_complex_numIfEEEviiiPKT2_S5_S5_PS3_S5_PKi.num_agpr, 0
	.set _ZN9rocsparseL19gtsv_LBM_rhs_kernelILj256ELj16ELj1E21rocsparse_complex_numIfEEEviiiPKT2_S5_S5_PS3_S5_PKi.numbered_sgpr, 28
	.set _ZN9rocsparseL19gtsv_LBM_rhs_kernelILj256ELj16ELj1E21rocsparse_complex_numIfEEEviiiPKT2_S5_S5_PS3_S5_PKi.num_named_barrier, 0
	.set _ZN9rocsparseL19gtsv_LBM_rhs_kernelILj256ELj16ELj1E21rocsparse_complex_numIfEEEviiiPKT2_S5_S5_PS3_S5_PKi.private_seg_size, 0
	.set _ZN9rocsparseL19gtsv_LBM_rhs_kernelILj256ELj16ELj1E21rocsparse_complex_numIfEEEviiiPKT2_S5_S5_PS3_S5_PKi.uses_vcc, 1
	.set _ZN9rocsparseL19gtsv_LBM_rhs_kernelILj256ELj16ELj1E21rocsparse_complex_numIfEEEviiiPKT2_S5_S5_PS3_S5_PKi.uses_flat_scratch, 0
	.set _ZN9rocsparseL19gtsv_LBM_rhs_kernelILj256ELj16ELj1E21rocsparse_complex_numIfEEEviiiPKT2_S5_S5_PS3_S5_PKi.has_dyn_sized_stack, 0
	.set _ZN9rocsparseL19gtsv_LBM_rhs_kernelILj256ELj16ELj1E21rocsparse_complex_numIfEEEviiiPKT2_S5_S5_PS3_S5_PKi.has_recursion, 0
	.set _ZN9rocsparseL19gtsv_LBM_rhs_kernelILj256ELj16ELj1E21rocsparse_complex_numIfEEEviiiPKT2_S5_S5_PS3_S5_PKi.has_indirect_call, 0
	.section	.AMDGPU.csdata,"",@progbits
; Kernel info:
; codeLenInByte = 1980
; TotalNumSgprs: 34
; NumVgprs: 46
; NumAgprs: 0
; TotalNumVgprs: 46
; ScratchSize: 0
; MemoryBound: 0
; FloatMode: 240
; IeeeMode: 1
; LDSByteSize: 0 bytes/workgroup (compile time only)
; SGPRBlocks: 4
; VGPRBlocks: 5
; NumSGPRsForWavesPerEU: 34
; NumVGPRsForWavesPerEU: 46
; AccumOffset: 48
; Occupancy: 8
; WaveLimiterHint : 0
; COMPUTE_PGM_RSRC2:SCRATCH_EN: 0
; COMPUTE_PGM_RSRC2:USER_SGPR: 2
; COMPUTE_PGM_RSRC2:TRAP_HANDLER: 0
; COMPUTE_PGM_RSRC2:TGID_X_EN: 1
; COMPUTE_PGM_RSRC2:TGID_Y_EN: 1
; COMPUTE_PGM_RSRC2:TGID_Z_EN: 0
; COMPUTE_PGM_RSRC2:TIDIG_COMP_CNT: 0
; COMPUTE_PGM_RSRC3_GFX90A:ACCUM_OFFSET: 11
; COMPUTE_PGM_RSRC3_GFX90A:TG_SPLIT: 0
	.section	.text._ZN9rocsparseL29gtsv_spike_block_level_kernelILj256ELj16E21rocsparse_complex_numIfEEEviiiPT1_PKS3_S6_S4_S4_S4_S4_S4_,"axG",@progbits,_ZN9rocsparseL29gtsv_spike_block_level_kernelILj256ELj16E21rocsparse_complex_numIfEEEviiiPT1_PKS3_S6_S4_S4_S4_S4_S4_,comdat
	.globl	_ZN9rocsparseL29gtsv_spike_block_level_kernelILj256ELj16E21rocsparse_complex_numIfEEEviiiPT1_PKS3_S6_S4_S4_S4_S4_S4_ ; -- Begin function _ZN9rocsparseL29gtsv_spike_block_level_kernelILj256ELj16E21rocsparse_complex_numIfEEEviiiPT1_PKS3_S6_S4_S4_S4_S4_S4_
	.p2align	8
	.type	_ZN9rocsparseL29gtsv_spike_block_level_kernelILj256ELj16E21rocsparse_complex_numIfEEEviiiPT1_PKS3_S6_S4_S4_S4_S4_S4_,@function
_ZN9rocsparseL29gtsv_spike_block_level_kernelILj256ELj16E21rocsparse_complex_numIfEEEviiiPT1_PKS3_S6_S4_S4_S4_S4_S4_: ; @_ZN9rocsparseL29gtsv_spike_block_level_kernelILj256ELj16E21rocsparse_complex_numIfEEEviiiPT1_PKS3_S6_S4_S4_S4_S4_S4_
; %bb.0:
	s_load_dword s14, s[0:1], 0x0
	s_load_dwordx2 s[8:9], s[0:1], 0x18
	v_lshl_or_b32 v2, s2, 8, v0
	v_mov_b32_e32 v4, 0
	v_mov_b32_e32 v8, 0
	s_waitcnt lgkmcnt(0)
	s_lshr_b32 s18, s14, 4
	v_cmp_gt_i32_e64 s[4:5], s18, v2
	v_mov_b32_e32 v9, 0
	s_and_saveexec_b64 s[6:7], s[4:5]
	s_cbranch_execz .LBB223_2
; %bb.1:
	v_ashrrev_i32_e32 v3, 31, v2
	v_lshl_add_u64 v[6:7], v[2:3], 3, s[8:9]
	global_load_dwordx2 v[8:9], v[6:7], off
.LBB223_2:
	s_or_b64 exec, exec, s[6:7]
	s_load_dwordx2 s[6:7], s[0:1], 0x20
	v_lshlrev_b32_e32 v1, 3, v0
	v_or_b32_e32 v6, 0x1000, v1
	v_mov_b32_e32 v5, 0
	s_waitcnt vmcnt(0)
	ds_write_b64 v1, v[8:9] offset:4096
	s_and_saveexec_b64 s[10:11], s[4:5]
	s_cbranch_execz .LBB223_4
; %bb.3:
	v_mad_u64_u32 v[4:5], s[12:13], s18, 15, v[2:3]
	v_mov_b32_e32 v5, 0
	v_lshl_add_u64 v[4:5], v[4:5], 3, s[8:9]
	global_load_dwordx2 v[4:5], v[4:5], off
.LBB223_4:
	s_or_b64 exec, exec, s[10:11]
	s_waitcnt vmcnt(0)
	ds_write_b64 v6, v[4:5] offset:2048
	v_mov_b32_e32 v4, 0
	v_mov_b32_e32 v8, 0
	;; [unrolled: 1-line block ×3, first 2 shown]
	s_and_saveexec_b64 s[8:9], s[4:5]
	s_cbranch_execz .LBB223_6
; %bb.5:
	v_ashrrev_i32_e32 v3, 31, v2
	s_waitcnt lgkmcnt(0)
	v_lshl_add_u64 v[8:9], v[2:3], 3, s[6:7]
	global_load_dwordx2 v[8:9], v[8:9], off
.LBB223_6:
	s_or_b64 exec, exec, s[8:9]
	s_load_dwordx2 s[12:13], s[0:1], 0x10
	v_mov_b32_e32 v5, 0
	s_waitcnt vmcnt(0)
	ds_write_b64 v1, v[8:9]
	s_and_saveexec_b64 s[8:9], s[4:5]
	s_cbranch_execz .LBB223_8
; %bb.7:
	v_mad_u64_u32 v[4:5], s[10:11], s18, 15, v[2:3]
	v_mov_b32_e32 v5, 0
	s_waitcnt lgkmcnt(0)
	v_lshl_add_u64 v[4:5], v[4:5], 3, s[6:7]
	global_load_dwordx2 v[4:5], v[4:5], off
.LBB223_8:
	s_or_b64 exec, exec, s[8:9]
	s_mul_i32 s14, s14, s3
	s_waitcnt vmcnt(0)
	ds_write_b64 v1, v[4:5] offset:2048
	v_mov_b32_e32 v8, 0
	v_add_u32_e32 v4, s14, v2
	v_mov_b32_e32 v10, 0
	v_mov_b32_e32 v11, 0
	s_waitcnt lgkmcnt(0)
	s_and_saveexec_b64 s[6:7], s[4:5]
	s_cbranch_execz .LBB223_10
; %bb.9:
	v_ashrrev_i32_e32 v5, 31, v4
	v_lshl_add_u64 v[10:11], v[4:5], 3, s[12:13]
	global_load_dwordx2 v[10:11], v[10:11], off
.LBB223_10:
	s_or_b64 exec, exec, s[6:7]
	v_or_b32_e32 v5, 0x2000, v1
	s_mul_i32 s19, s18, 15
	v_mov_b32_e32 v9, 0
	s_waitcnt vmcnt(0)
	ds_write_b64 v1, v[10:11] offset:8192
	s_and_saveexec_b64 s[6:7], s[4:5]
	s_cbranch_execz .LBB223_12
; %bb.11:
	s_mul_i32 s8, s18, 15
	s_add_i32 s8, s8, s14
	v_add_u32_e32 v8, s8, v2
	v_mov_b32_e32 v9, 0
	v_lshl_add_u64 v[8:9], v[8:9], 3, s[12:13]
	global_load_dwordx2 v[8:9], v[8:9], off
.LBB223_12:
	s_or_b64 exec, exec, s[6:7]
	s_movk_i32 s6, 0x80
	v_cmp_gt_u32_e32 vcc, s6, v0
	s_waitcnt vmcnt(0)
	ds_write_b64 v5, v[8:9] offset:2048
	s_waitcnt lgkmcnt(0)
	s_barrier
	s_and_saveexec_b64 s[6:7], vcc
	s_cbranch_execz .LBB223_14
; %bb.13:
	v_add_u32_e32 v3, v6, v1
	ds_read2_b64 v[8:11], v3 offset1:1
	v_add_u32_e32 v7, v1, v1
	ds_read_b128 v[12:15], v7 offset:2048
	ds_read_b64 v[36:37], v3 offset:2056
	s_mov_b64 s[8:9], 0x3f800000
	v_add_u32_e32 v47, v5, v1
	s_waitcnt lgkmcnt(2)
	v_xor_b32_e32 v20, 0x80000000, v11
	v_mov_b32_e32 v21, v10
	s_waitcnt lgkmcnt(1)
	v_pk_mul_f32 v[20:21], v[12:13], v[20:21] op_sel:[1,0]
	ds_read_b128 v[16:19], v7
	v_pk_fma_f32 v[12:13], v[10:11], v[12:13], v[20:21] op_sel_hi:[1,0,1]
	v_add_u32_e32 v28, 0x800, v47
	v_pk_add_f32 v[12:13], v[12:13], s[8:9] neg_lo:[1,0] neg_hi:[1,0]
	s_nop 0
	v_mul_f32_e32 v20, v13, v13
	v_fmac_f32_e32 v20, v12, v12
	v_div_scale_f32 v21, s[8:9], v20, v20, 1.0
	v_rcp_f32_e32 v22, v21
	v_fma_f32 v39, v12, 0, -v13
	v_fmac_f32_e32 v12, 0, v13
	v_add_u32_e32 v13, 0x800, v3
	v_fma_f32 v23, -v21, v22, 1.0
	v_fmac_f32_e32 v22, v23, v22
	v_div_scale_f32 v23, vcc, 1.0, v20, 1.0
	v_mul_f32_e32 v24, v23, v22
	v_fma_f32 v25, -v21, v24, v23
	v_fmac_f32_e32 v24, v25, v22
	v_fma_f32 v21, -v21, v24, v23
	v_div_fmas_f32 v21, v21, v22, v24
	v_div_fixup_f32 v38, v21, v20, 1.0
	ds_read_b128 v[20:23], v47
	ds_read2st64_b64 v[24:27], v7 offset1:4
	ds_read2_b64 v[28:31], v28 offset1:1
	s_waitcnt lgkmcnt(2)
	v_mov_b32_e32 v32, v23
	s_waitcnt lgkmcnt(1)
	v_pk_mul_f32 v[32:33], v[32:33], v[26:27] op_sel:[0,1] op_sel_hi:[0,0] neg_lo:[0,1]
	v_pk_fma_f32 v[32:33], v[26:27], v[22:23], v[32:33] op_sel_hi:[1,0,1]
	s_waitcnt lgkmcnt(0)
	v_pk_mul_f32 v[44:45], v[10:11], v[28:29] op_sel:[1,1] op_sel_hi:[1,0] neg_lo:[0,1]
	v_pk_add_f32 v[40:41], v[28:29], v[32:33] neg_lo:[0,1] neg_hi:[0,1]
	ds_read2_b64 v[32:35], v13 offset1:1
	v_pk_fma_f32 v[28:29], v[28:29], v[10:11], v[44:45] op_sel_hi:[1,0,1]
	v_mov_b32_e32 v13, v39
	v_xor_b32_e32 v42, 0x80000000, v41
	v_mov_b32_e32 v43, v40
	v_pk_add_f32 v[22:23], v[22:23], v[28:29] neg_lo:[0,1] neg_hi:[0,1]
	v_pk_mul_f32 v[38:39], v[12:13], v[38:39] op_sel_hi:[1,0]
	v_xor_b32_e32 v28, 0x80000000, v23
	v_mov_b32_e32 v29, v22
	v_mul_f32_e64 v46, v19, -v27
	v_mul_f32_e32 v48, v19, v26
	v_pk_mul_f32 v[12:13], v[38:39], v[42:43] op_sel:[1,0]
	v_fmac_f32_e32 v46, v26, v18
	v_fmac_f32_e32 v48, v27, v18
	v_pk_fma_f32 v[26:27], v[40:41], v[38:39], v[12:13] op_sel_hi:[1,0,1]
	v_pk_mul_f32 v[12:13], v[38:39], v[28:29] op_sel:[1,0]
	s_waitcnt lgkmcnt(0)
	v_xor_b32_e32 v44, 0x80000000, v35
	v_pk_fma_f32 v[22:23], v[22:23], v[38:39], v[12:13] op_sel_hi:[1,0,1]
	v_mov_b32_e32 v45, v34
	v_pk_mul_f32 v[12:13], v[22:23], v[16:17] op_sel:[1,1] op_sel_hi:[1,0] neg_lo:[0,1]
	s_nop 0
	v_pk_fma_f32 v[12:13], v[16:17], v[22:23], v[12:13] op_sel_hi:[1,0,1]
	v_pk_add_f32 v[16:17], v[38:39], 0 neg_lo:[1,1] neg_hi:[1,1]
	v_pk_add_f32 v[20:21], v[20:21], v[12:13] neg_lo:[0,1] neg_hi:[0,1]
	ds_write_b128 v47, v[20:23]
	v_pk_mov_b32 v[20:21], v[38:39], v[16:17] op_sel:[1,0]
	v_mov_b32_e32 v22, v19
	v_pk_mov_b32 v[16:17], v[16:17], v[38:39] op_sel:[1,0]
	v_pk_mul_f32 v[12:13], v[26:27], v[44:45] op_sel:[1,0]
	v_pk_mul_f32 v[16:17], v[22:23], v[16:17] op_sel_hi:[0,1]
	v_mul_f32_e32 v22, v11, v32
	v_pk_fma_f32 v[18:19], v[38:39], v[18:19], v[16:17] op_sel_hi:[1,0,1]
	v_mul_f32_e64 v16, v11, -v33
	v_fmac_f32_e32 v22, v33, v10
	v_pk_fma_f32 v[12:13], v[34:35], v[26:27], v[12:13] op_sel_hi:[1,0,1]
	v_fmac_f32_e32 v16, v32, v10
	v_pk_mul_f32 v[10:11], v[20:21], v[22:23] op_sel_hi:[1,0]
	v_pk_add_f32 v[28:29], v[30:31], v[12:13] neg_lo:[0,1] neg_hi:[0,1]
	v_pk_fma_f32 v[10:11], v[38:39], v[16:17], v[10:11] op_sel_hi:[1,0,1] neg_lo:[1,0,0] neg_hi:[1,0,0]
	ds_write_b128 v47, v[26:29] offset:2048
	v_xor_b32_e32 v26, 0x80000000, v39
	v_mov_b32_e32 v27, v38
	v_pk_mul_f32 v[22:23], v[10:11], v[24:25] op_sel:[1,1] op_sel_hi:[1,0] neg_lo:[0,1]
	v_pk_mul_f32 v[16:17], v[32:33], v[26:27] op_sel:[1,0]
	v_pk_fma_f32 v[22:23], v[24:25], v[10:11], v[22:23] op_sel_hi:[1,0,1]
	v_pk_mul_f32 v[12:13], v[20:21], v[48:49] op_sel_hi:[1,0]
	v_pk_fma_f32 v[20:21], v[38:39], v[32:33], v[16:17] op_sel_hi:[1,0,1]
	v_pk_add_f32 v[16:17], v[24:25], 0 neg_lo:[1,1] neg_hi:[1,1]
	v_pk_add_f32 v[8:9], v[8:9], v[22:23] neg_lo:[0,1] neg_hi:[0,1]
	ds_write_b128 v3, v[8:11]
	v_pk_mov_b32 v[8:9], v[24:25], v[16:17] op_sel:[1,0]
	v_pk_fma_f32 v[12:13], v[38:39], v[46:47], v[12:13] op_sel_hi:[1,0,1] neg_lo:[1,0,0] neg_hi:[1,0,0]
	v_pk_mul_f32 v[8:9], v[18:19], v[8:9] op_sel:[1,0]
	s_nop 0
	v_pk_fma_f32 v[16:17], v[24:25], v[18:19], v[8:9] op_sel_hi:[1,0,1] neg_lo:[1,0,0] neg_hi:[1,0,0]
	v_xor_b32_e32 v8, 0x80000000, v13
	v_mov_b32_e32 v9, v12
	v_pk_mul_f32 v[8:9], v[36:37], v[8:9] op_sel:[1,0]
	ds_write_b128 v7, v[16:19]
	v_pk_fma_f32 v[8:9], v[12:13], v[36:37], v[8:9] op_sel_hi:[1,0,1]
	s_nop 0
	v_pk_add_f32 v[14:15], v[14:15], v[8:9] neg_lo:[0,1] neg_hi:[0,1]
	v_pk_add_f32 v[8:9], v[36:37], 0 neg_lo:[1,1] neg_hi:[1,1]
	ds_write_b128 v7, v[12:15] offset:2048
	v_pk_mov_b32 v[8:9], v[36:37], v[8:9] op_sel:[1,0]
	s_nop 0
	v_pk_mul_f32 v[8:9], v[20:21], v[8:9] op_sel:[1,0]
	s_nop 0
	v_pk_fma_f32 v[22:23], v[36:37], v[20:21], v[8:9] op_sel_hi:[1,0,1] neg_lo:[1,0,0] neg_hi:[1,0,0]
	ds_write_b128 v3, v[20:23] offset:2048
.LBB223_14:
	s_or_b64 exec, exec, s[6:7]
	v_cmp_gt_u32_e32 vcc, 64, v0
	s_waitcnt lgkmcnt(0)
	s_barrier
	s_and_saveexec_b64 s[6:7], vcc
	s_cbranch_execz .LBB223_16
; %bb.15:
	v_lshlrev_b32_e32 v3, 5, v0
	v_add_u32_e32 v7, 0x1000, v3
	ds_read2_b64 v[8:11], v7 offset1:2
	v_add_u32_e32 v45, 0x800, v3
	ds_read2_b64 v[12:15], v45 offset0:1 offset1:3
	s_mov_b64 s[8:9], 0x3f800000
	v_add_u32_e32 v48, 0x1800, v3
	s_waitcnt lgkmcnt(1)
	v_xor_b32_e32 v16, 0x80000000, v11
	v_mov_b32_e32 v17, v10
	s_waitcnt lgkmcnt(0)
	v_pk_mul_f32 v[16:17], v[12:13], v[16:17] op_sel:[1,0]
	ds_read_b64 v[36:37], v3
	v_pk_fma_f32 v[16:17], v[10:11], v[12:13], v[16:17] op_sel_hi:[1,0,1]
	s_waitcnt lgkmcnt(0)
	v_xor_b32_e32 v40, 0x80000000, v37
	v_pk_add_f32 v[24:25], v[16:17], s[8:9] neg_lo:[1,0] neg_hi:[1,0]
	v_mov_b32_e32 v41, v36
	v_mul_f32_e32 v20, v25, v25
	v_fmac_f32_e32 v20, v24, v24
	v_div_scale_f32 v16, s[8:9], v20, v20, 1.0
	v_rcp_f32_e32 v21, v16
	v_fma_f32 v27, v24, 0, -v25
	v_fmac_f32_e32 v24, 0, v25
	v_mov_b32_e32 v25, v27
	v_fma_f32 v17, -v16, v21, 1.0
	v_fmac_f32_e32 v21, v17, v21
	v_div_scale_f32 v17, vcc, 1.0, v20, 1.0
	v_mul_f32_e32 v22, v17, v21
	v_fma_f32 v18, -v16, v22, v17
	v_fmac_f32_e32 v22, v18, v21
	v_fma_f32 v23, -v16, v22, v17
	v_add_u32_e32 v16, 0x2010, v3
	ds_read2_b64 v[16:19], v16 offset1:255
	v_div_fmas_f32 v21, v23, v21, v22
	v_div_fixup_f32 v26, v21, v20, 1.0
	v_pk_mul_f32 v[46:47], v[24:25], v[26:27] op_sel_hi:[1,0]
	s_waitcnt lgkmcnt(0)
	v_pk_mul_f32 v[20:21], v[16:17], v[12:13] op_sel:[1,1] op_sel_hi:[1,0] neg_lo:[0,1]
	s_nop 0
	v_pk_fma_f32 v[20:21], v[12:13], v[16:17], v[20:21] op_sel_hi:[1,0,1]
	s_nop 0
	v_pk_add_f32 v[28:29], v[18:19], v[20:21] neg_lo:[0,1] neg_hi:[0,1]
	v_pk_mul_f32 v[20:21], v[10:11], v[18:19] op_sel:[1,1] op_sel_hi:[1,0] neg_lo:[0,1]
	v_xor_b32_e32 v30, 0x80000000, v29
	v_pk_fma_f32 v[18:19], v[18:19], v[10:11], v[20:21] op_sel_hi:[1,0,1]
	v_mov_b32_e32 v31, v28
	v_pk_add_f32 v[32:33], v[16:17], v[18:19] neg_lo:[0,1] neg_hi:[0,1]
	ds_read2_b64 v[16:19], v48 offset0:1 offset1:3
	ds_read2_b64 v[20:23], v3 offset1:2
	ds_read_b64 v[38:39], v3 offset:10264
	v_pk_mul_f32 v[24:25], v[46:47], v[30:31] op_sel:[1,0]
	v_xor_b32_e32 v34, 0x80000000, v33
	v_mov_b32_e32 v35, v32
	s_waitcnt lgkmcnt(1)
	v_mul_f32_e64 v44, v23, -v13
	v_fmac_f32_e32 v44, v12, v22
	v_mul_f32_e32 v12, v23, v12
	v_fmac_f32_e32 v12, v13, v22
	v_add_u32_e32 v13, 0x1810, v3
	v_pk_fma_f32 v[28:29], v[28:29], v[46:47], v[24:25] op_sel_hi:[1,0,1]
	ds_read2_b64 v[24:27], v13 offset0:1 offset1:254
	v_pk_mul_f32 v[30:31], v[46:47], v[34:35] op_sel:[1,0]
	v_xor_b32_e32 v42, 0x80000000, v19
	v_pk_fma_f32 v[30:31], v[32:33], v[46:47], v[30:31] op_sel_hi:[1,0,1]
	v_mov_b32_e32 v43, v18
	v_pk_mul_f32 v[32:33], v[30:31], v[40:41] op_sel:[1,0]
	v_add_u32_e32 v13, 0x2000, v3
	v_pk_fma_f32 v[32:33], v[36:37], v[30:31], v[32:33] op_sel_hi:[1,0,1]
	s_waitcnt lgkmcnt(0)
	v_pk_add_f32 v[26:27], v[26:27], v[32:33] neg_lo:[0,1] neg_hi:[0,1]
	ds_write2_b64 v13, v[26:27], v[30:31] offset1:2
	v_pk_mul_f32 v[26:27], v[28:29], v[42:43] op_sel:[1,0]
	v_add_u32_e32 v13, 0x2800, v3
	v_pk_fma_f32 v[18:19], v[18:19], v[28:29], v[26:27] op_sel_hi:[1,0,1]
	s_nop 0
	v_pk_add_f32 v[18:19], v[38:39], v[18:19] neg_lo:[0,1] neg_hi:[0,1]
	ds_write2_b64 v13, v[28:29], v[18:19] offset0:1 offset1:3
	v_pk_add_f32 v[18:19], v[46:47], 0 neg_lo:[1,1] neg_hi:[1,1]
	v_mul_f32_e32 v28, v11, v16
	v_pk_mov_b32 v[26:27], v[46:47], v[18:19] op_sel:[1,0]
	v_pk_mov_b32 v[18:19], v[18:19], v[46:47] op_sel:[1,0]
	v_fmac_f32_e32 v28, v17, v10
	v_pk_mul_f32 v[18:19], v[22:23], v[18:19] op_sel:[1,0]
	v_pk_mul_f32 v[12:13], v[26:27], v[12:13] op_sel_hi:[1,0]
	v_pk_fma_f32 v[18:19], v[46:47], v[22:23], v[18:19] op_sel_hi:[1,0,1]
	v_mul_f32_e64 v22, v11, -v17
	v_fmac_f32_e32 v22, v16, v10
	v_pk_mul_f32 v[26:27], v[26:27], v[28:29] op_sel_hi:[1,0]
	v_xor_b32_e32 v10, 0x80000000, v47
	v_pk_fma_f32 v[22:23], v[46:47], v[22:23], v[26:27] op_sel_hi:[1,0,1] neg_lo:[1,0,0] neg_hi:[1,0,0]
	v_mov_b32_e32 v11, v46
	v_pk_mul_f32 v[26:27], v[22:23], v[20:21] op_sel:[1,1] op_sel_hi:[1,0] neg_lo:[0,1]
	v_pk_mul_f32 v[10:11], v[16:17], v[10:11] op_sel:[1,0]
	v_pk_fma_f32 v[26:27], v[20:21], v[22:23], v[26:27] op_sel_hi:[1,0,1]
	v_pk_fma_f32 v[10:11], v[46:47], v[16:17], v[10:11] op_sel_hi:[1,0,1]
	v_pk_add_f32 v[16:17], v[20:21], 0 neg_lo:[1,1] neg_hi:[1,1]
	v_pk_add_f32 v[8:9], v[8:9], v[26:27] neg_lo:[0,1] neg_hi:[0,1]
	ds_write2_b64 v7, v[8:9], v[22:23] offset1:2
	v_pk_mov_b32 v[8:9], v[20:21], v[16:17] op_sel:[1,0]
	v_pk_fma_f32 v[12:13], v[46:47], v[44:45], v[12:13] op_sel_hi:[1,0,1] neg_lo:[1,0,0] neg_hi:[1,0,0]
	v_pk_mul_f32 v[8:9], v[18:19], v[8:9] op_sel:[1,0]
	s_nop 0
	v_pk_fma_f32 v[8:9], v[20:21], v[18:19], v[8:9] op_sel_hi:[1,0,1] neg_lo:[1,0,0] neg_hi:[1,0,0]
	ds_write2_b64 v3, v[8:9], v[18:19] offset1:2
	v_xor_b32_e32 v8, 0x80000000, v13
	v_mov_b32_e32 v9, v12
	v_pk_mul_f32 v[8:9], v[24:25], v[8:9] op_sel:[1,0]
	s_nop 0
	v_pk_fma_f32 v[8:9], v[12:13], v[24:25], v[8:9] op_sel_hi:[1,0,1]
	s_nop 0
	v_pk_add_f32 v[8:9], v[14:15], v[8:9] neg_lo:[0,1] neg_hi:[0,1]
	ds_write2_b64 v45, v[12:13], v[8:9] offset0:1 offset1:3
	v_pk_add_f32 v[8:9], v[24:25], 0 neg_lo:[1,1] neg_hi:[1,1]
	s_nop 0
	v_pk_mov_b32 v[8:9], v[24:25], v[8:9] op_sel:[1,0]
	s_nop 0
	v_pk_mul_f32 v[8:9], v[10:11], v[8:9] op_sel:[1,0]
	s_nop 0
	v_pk_fma_f32 v[8:9], v[24:25], v[10:11], v[8:9] op_sel_hi:[1,0,1] neg_lo:[1,0,0] neg_hi:[1,0,0]
	ds_write2_b64 v48, v[10:11], v[8:9] offset0:1 offset1:3
.LBB223_16:
	s_or_b64 exec, exec, s[6:7]
	v_cmp_gt_u32_e32 vcc, 32, v0
	s_waitcnt lgkmcnt(0)
	s_barrier
	s_and_saveexec_b64 s[6:7], vcc
	s_cbranch_execz .LBB223_18
; %bb.17:
	v_lshlrev_b32_e32 v3, 6, v0
	v_add_u32_e32 v7, 0x1000, v3
	ds_read2_b64 v[8:11], v7 offset1:4
	v_add_u32_e32 v45, 0x800, v3
	ds_read2_b64 v[12:15], v45 offset0:3 offset1:7
	s_mov_b64 s[8:9], 0x3f800000
	v_add_u32_e32 v48, 0x1800, v3
	s_waitcnt lgkmcnt(1)
	v_xor_b32_e32 v16, 0x80000000, v11
	v_mov_b32_e32 v17, v10
	s_waitcnt lgkmcnt(0)
	v_pk_mul_f32 v[16:17], v[12:13], v[16:17] op_sel:[1,0]
	ds_read_b64 v[36:37], v3
	v_pk_fma_f32 v[16:17], v[10:11], v[12:13], v[16:17] op_sel_hi:[1,0,1]
	s_waitcnt lgkmcnt(0)
	v_xor_b32_e32 v40, 0x80000000, v37
	v_pk_add_f32 v[24:25], v[16:17], s[8:9] neg_lo:[1,0] neg_hi:[1,0]
	v_mov_b32_e32 v41, v36
	v_mul_f32_e32 v20, v25, v25
	v_fmac_f32_e32 v20, v24, v24
	v_div_scale_f32 v16, s[8:9], v20, v20, 1.0
	v_rcp_f32_e32 v21, v16
	v_fma_f32 v27, v24, 0, -v25
	v_fmac_f32_e32 v24, 0, v25
	v_mov_b32_e32 v25, v27
	v_fma_f32 v17, -v16, v21, 1.0
	v_fmac_f32_e32 v21, v17, v21
	v_div_scale_f32 v17, vcc, 1.0, v20, 1.0
	v_mul_f32_e32 v22, v17, v21
	v_fma_f32 v18, -v16, v22, v17
	v_fmac_f32_e32 v22, v18, v21
	v_fma_f32 v23, -v16, v22, v17
	v_add_u32_e32 v16, 0x2020, v3
	ds_read2_b64 v[16:19], v16 offset1:255
	v_div_fmas_f32 v21, v23, v21, v22
	v_div_fixup_f32 v26, v21, v20, 1.0
	v_pk_mul_f32 v[46:47], v[24:25], v[26:27] op_sel_hi:[1,0]
	s_waitcnt lgkmcnt(0)
	v_pk_mul_f32 v[20:21], v[16:17], v[12:13] op_sel:[1,1] op_sel_hi:[1,0] neg_lo:[0,1]
	s_nop 0
	v_pk_fma_f32 v[20:21], v[12:13], v[16:17], v[20:21] op_sel_hi:[1,0,1]
	s_nop 0
	v_pk_add_f32 v[28:29], v[18:19], v[20:21] neg_lo:[0,1] neg_hi:[0,1]
	v_pk_mul_f32 v[20:21], v[10:11], v[18:19] op_sel:[1,1] op_sel_hi:[1,0] neg_lo:[0,1]
	v_xor_b32_e32 v30, 0x80000000, v29
	v_pk_fma_f32 v[18:19], v[18:19], v[10:11], v[20:21] op_sel_hi:[1,0,1]
	v_mov_b32_e32 v31, v28
	v_pk_add_f32 v[32:33], v[16:17], v[18:19] neg_lo:[0,1] neg_hi:[0,1]
	ds_read2_b64 v[16:19], v48 offset0:3 offset1:7
	ds_read2_b64 v[20:23], v3 offset1:4
	ds_read_b64 v[38:39], v3 offset:10296
	v_pk_mul_f32 v[24:25], v[46:47], v[30:31] op_sel:[1,0]
	v_xor_b32_e32 v34, 0x80000000, v33
	v_mov_b32_e32 v35, v32
	s_waitcnt lgkmcnt(1)
	v_mul_f32_e64 v44, v23, -v13
	v_fmac_f32_e32 v44, v12, v22
	v_mul_f32_e32 v12, v23, v12
	v_fmac_f32_e32 v12, v13, v22
	v_add_u32_e32 v13, 0x1820, v3
	v_pk_fma_f32 v[28:29], v[28:29], v[46:47], v[24:25] op_sel_hi:[1,0,1]
	ds_read2_b64 v[24:27], v13 offset0:3 offset1:252
	v_pk_mul_f32 v[30:31], v[46:47], v[34:35] op_sel:[1,0]
	v_xor_b32_e32 v42, 0x80000000, v19
	v_pk_fma_f32 v[30:31], v[32:33], v[46:47], v[30:31] op_sel_hi:[1,0,1]
	v_mov_b32_e32 v43, v18
	v_pk_mul_f32 v[32:33], v[30:31], v[40:41] op_sel:[1,0]
	v_add_u32_e32 v13, 0x2000, v3
	v_pk_fma_f32 v[32:33], v[36:37], v[30:31], v[32:33] op_sel_hi:[1,0,1]
	s_waitcnt lgkmcnt(0)
	v_pk_add_f32 v[26:27], v[26:27], v[32:33] neg_lo:[0,1] neg_hi:[0,1]
	ds_write2_b64 v13, v[26:27], v[30:31] offset1:4
	v_pk_mul_f32 v[26:27], v[28:29], v[42:43] op_sel:[1,0]
	v_add_u32_e32 v13, 0x2800, v3
	v_pk_fma_f32 v[18:19], v[18:19], v[28:29], v[26:27] op_sel_hi:[1,0,1]
	s_nop 0
	v_pk_add_f32 v[18:19], v[38:39], v[18:19] neg_lo:[0,1] neg_hi:[0,1]
	ds_write2_b64 v13, v[28:29], v[18:19] offset0:3 offset1:7
	v_pk_add_f32 v[18:19], v[46:47], 0 neg_lo:[1,1] neg_hi:[1,1]
	v_mul_f32_e32 v28, v11, v16
	v_pk_mov_b32 v[26:27], v[46:47], v[18:19] op_sel:[1,0]
	v_pk_mov_b32 v[18:19], v[18:19], v[46:47] op_sel:[1,0]
	v_fmac_f32_e32 v28, v17, v10
	v_pk_mul_f32 v[18:19], v[22:23], v[18:19] op_sel:[1,0]
	v_pk_mul_f32 v[12:13], v[26:27], v[12:13] op_sel_hi:[1,0]
	v_pk_fma_f32 v[18:19], v[46:47], v[22:23], v[18:19] op_sel_hi:[1,0,1]
	v_mul_f32_e64 v22, v11, -v17
	v_fmac_f32_e32 v22, v16, v10
	v_pk_mul_f32 v[26:27], v[26:27], v[28:29] op_sel_hi:[1,0]
	v_xor_b32_e32 v10, 0x80000000, v47
	v_pk_fma_f32 v[22:23], v[46:47], v[22:23], v[26:27] op_sel_hi:[1,0,1] neg_lo:[1,0,0] neg_hi:[1,0,0]
	v_mov_b32_e32 v11, v46
	v_pk_mul_f32 v[26:27], v[22:23], v[20:21] op_sel:[1,1] op_sel_hi:[1,0] neg_lo:[0,1]
	v_pk_mul_f32 v[10:11], v[16:17], v[10:11] op_sel:[1,0]
	v_pk_fma_f32 v[26:27], v[20:21], v[22:23], v[26:27] op_sel_hi:[1,0,1]
	v_pk_fma_f32 v[10:11], v[46:47], v[16:17], v[10:11] op_sel_hi:[1,0,1]
	v_pk_add_f32 v[16:17], v[20:21], 0 neg_lo:[1,1] neg_hi:[1,1]
	v_pk_add_f32 v[8:9], v[8:9], v[26:27] neg_lo:[0,1] neg_hi:[0,1]
	ds_write2_b64 v7, v[8:9], v[22:23] offset1:4
	v_pk_mov_b32 v[8:9], v[20:21], v[16:17] op_sel:[1,0]
	v_pk_fma_f32 v[12:13], v[46:47], v[44:45], v[12:13] op_sel_hi:[1,0,1] neg_lo:[1,0,0] neg_hi:[1,0,0]
	v_pk_mul_f32 v[8:9], v[18:19], v[8:9] op_sel:[1,0]
	s_nop 0
	v_pk_fma_f32 v[8:9], v[20:21], v[18:19], v[8:9] op_sel_hi:[1,0,1] neg_lo:[1,0,0] neg_hi:[1,0,0]
	ds_write2_b64 v3, v[8:9], v[18:19] offset1:4
	v_xor_b32_e32 v8, 0x80000000, v13
	v_mov_b32_e32 v9, v12
	v_pk_mul_f32 v[8:9], v[24:25], v[8:9] op_sel:[1,0]
	s_nop 0
	v_pk_fma_f32 v[8:9], v[12:13], v[24:25], v[8:9] op_sel_hi:[1,0,1]
	s_nop 0
	v_pk_add_f32 v[8:9], v[14:15], v[8:9] neg_lo:[0,1] neg_hi:[0,1]
	ds_write2_b64 v45, v[12:13], v[8:9] offset0:3 offset1:7
	v_pk_add_f32 v[8:9], v[24:25], 0 neg_lo:[1,1] neg_hi:[1,1]
	s_nop 0
	v_pk_mov_b32 v[8:9], v[24:25], v[8:9] op_sel:[1,0]
	s_nop 0
	v_pk_mul_f32 v[8:9], v[10:11], v[8:9] op_sel:[1,0]
	s_nop 0
	v_pk_fma_f32 v[8:9], v[24:25], v[10:11], v[8:9] op_sel_hi:[1,0,1] neg_lo:[1,0,0] neg_hi:[1,0,0]
	ds_write2_b64 v48, v[10:11], v[8:9] offset0:3 offset1:7
.LBB223_18:
	s_or_b64 exec, exec, s[6:7]
	v_cmp_gt_u32_e32 vcc, 16, v0
	s_waitcnt lgkmcnt(0)
	s_barrier
	s_and_saveexec_b64 s[6:7], vcc
	s_cbranch_execz .LBB223_20
; %bb.19:
	v_lshlrev_b32_e32 v3, 7, v0
	v_add_u32_e32 v7, 0x1000, v3
	ds_read2_b64 v[8:11], v7 offset1:8
	v_add_u32_e32 v45, 0x800, v3
	ds_read2_b64 v[12:15], v45 offset0:7 offset1:15
	s_mov_b64 s[8:9], 0x3f800000
	v_add_u32_e32 v48, 0x1800, v3
	s_waitcnt lgkmcnt(1)
	v_xor_b32_e32 v16, 0x80000000, v11
	v_mov_b32_e32 v17, v10
	s_waitcnt lgkmcnt(0)
	v_pk_mul_f32 v[16:17], v[12:13], v[16:17] op_sel:[1,0]
	ds_read_b64 v[36:37], v3
	v_pk_fma_f32 v[16:17], v[10:11], v[12:13], v[16:17] op_sel_hi:[1,0,1]
	s_waitcnt lgkmcnt(0)
	v_xor_b32_e32 v40, 0x80000000, v37
	v_pk_add_f32 v[24:25], v[16:17], s[8:9] neg_lo:[1,0] neg_hi:[1,0]
	v_mov_b32_e32 v41, v36
	v_mul_f32_e32 v20, v25, v25
	v_fmac_f32_e32 v20, v24, v24
	v_div_scale_f32 v16, s[8:9], v20, v20, 1.0
	v_rcp_f32_e32 v21, v16
	v_fma_f32 v27, v24, 0, -v25
	v_fmac_f32_e32 v24, 0, v25
	v_mov_b32_e32 v25, v27
	v_fma_f32 v17, -v16, v21, 1.0
	v_fmac_f32_e32 v21, v17, v21
	v_div_scale_f32 v17, vcc, 1.0, v20, 1.0
	v_mul_f32_e32 v22, v17, v21
	v_fma_f32 v18, -v16, v22, v17
	v_fmac_f32_e32 v22, v18, v21
	v_fma_f32 v23, -v16, v22, v17
	v_add_u32_e32 v16, 0x2040, v3
	ds_read2_b64 v[16:19], v16 offset1:255
	v_div_fmas_f32 v21, v23, v21, v22
	v_div_fixup_f32 v26, v21, v20, 1.0
	v_pk_mul_f32 v[46:47], v[24:25], v[26:27] op_sel_hi:[1,0]
	s_waitcnt lgkmcnt(0)
	v_pk_mul_f32 v[20:21], v[16:17], v[12:13] op_sel:[1,1] op_sel_hi:[1,0] neg_lo:[0,1]
	s_nop 0
	v_pk_fma_f32 v[20:21], v[12:13], v[16:17], v[20:21] op_sel_hi:[1,0,1]
	s_nop 0
	v_pk_add_f32 v[28:29], v[18:19], v[20:21] neg_lo:[0,1] neg_hi:[0,1]
	v_pk_mul_f32 v[20:21], v[10:11], v[18:19] op_sel:[1,1] op_sel_hi:[1,0] neg_lo:[0,1]
	v_xor_b32_e32 v30, 0x80000000, v29
	v_pk_fma_f32 v[18:19], v[18:19], v[10:11], v[20:21] op_sel_hi:[1,0,1]
	v_mov_b32_e32 v31, v28
	v_pk_add_f32 v[32:33], v[16:17], v[18:19] neg_lo:[0,1] neg_hi:[0,1]
	ds_read2_b64 v[16:19], v48 offset0:7 offset1:15
	ds_read2_b64 v[20:23], v3 offset1:8
	ds_read_b64 v[38:39], v3 offset:10360
	v_pk_mul_f32 v[24:25], v[46:47], v[30:31] op_sel:[1,0]
	v_xor_b32_e32 v34, 0x80000000, v33
	v_mov_b32_e32 v35, v32
	s_waitcnt lgkmcnt(1)
	v_mul_f32_e64 v44, v23, -v13
	v_fmac_f32_e32 v44, v12, v22
	v_mul_f32_e32 v12, v23, v12
	v_fmac_f32_e32 v12, v13, v22
	v_add_u32_e32 v13, 0x1840, v3
	v_pk_fma_f32 v[28:29], v[28:29], v[46:47], v[24:25] op_sel_hi:[1,0,1]
	ds_read2_b64 v[24:27], v13 offset0:7 offset1:248
	v_pk_mul_f32 v[30:31], v[46:47], v[34:35] op_sel:[1,0]
	v_xor_b32_e32 v42, 0x80000000, v19
	v_pk_fma_f32 v[30:31], v[32:33], v[46:47], v[30:31] op_sel_hi:[1,0,1]
	v_mov_b32_e32 v43, v18
	v_pk_mul_f32 v[32:33], v[30:31], v[40:41] op_sel:[1,0]
	v_add_u32_e32 v13, 0x2000, v3
	v_pk_fma_f32 v[32:33], v[36:37], v[30:31], v[32:33] op_sel_hi:[1,0,1]
	s_waitcnt lgkmcnt(0)
	v_pk_add_f32 v[26:27], v[26:27], v[32:33] neg_lo:[0,1] neg_hi:[0,1]
	ds_write2_b64 v13, v[26:27], v[30:31] offset1:8
	v_pk_mul_f32 v[26:27], v[28:29], v[42:43] op_sel:[1,0]
	v_add_u32_e32 v13, 0x2800, v3
	v_pk_fma_f32 v[18:19], v[18:19], v[28:29], v[26:27] op_sel_hi:[1,0,1]
	s_nop 0
	v_pk_add_f32 v[18:19], v[38:39], v[18:19] neg_lo:[0,1] neg_hi:[0,1]
	ds_write2_b64 v13, v[28:29], v[18:19] offset0:7 offset1:15
	v_pk_add_f32 v[18:19], v[46:47], 0 neg_lo:[1,1] neg_hi:[1,1]
	v_mul_f32_e32 v28, v11, v16
	v_pk_mov_b32 v[26:27], v[46:47], v[18:19] op_sel:[1,0]
	v_pk_mov_b32 v[18:19], v[18:19], v[46:47] op_sel:[1,0]
	v_fmac_f32_e32 v28, v17, v10
	v_pk_mul_f32 v[18:19], v[22:23], v[18:19] op_sel:[1,0]
	v_pk_mul_f32 v[12:13], v[26:27], v[12:13] op_sel_hi:[1,0]
	v_pk_fma_f32 v[18:19], v[46:47], v[22:23], v[18:19] op_sel_hi:[1,0,1]
	v_mul_f32_e64 v22, v11, -v17
	v_fmac_f32_e32 v22, v16, v10
	v_pk_mul_f32 v[26:27], v[26:27], v[28:29] op_sel_hi:[1,0]
	v_xor_b32_e32 v10, 0x80000000, v47
	v_pk_fma_f32 v[22:23], v[46:47], v[22:23], v[26:27] op_sel_hi:[1,0,1] neg_lo:[1,0,0] neg_hi:[1,0,0]
	v_mov_b32_e32 v11, v46
	v_pk_mul_f32 v[26:27], v[22:23], v[20:21] op_sel:[1,1] op_sel_hi:[1,0] neg_lo:[0,1]
	v_pk_mul_f32 v[10:11], v[16:17], v[10:11] op_sel:[1,0]
	v_pk_fma_f32 v[26:27], v[20:21], v[22:23], v[26:27] op_sel_hi:[1,0,1]
	v_pk_fma_f32 v[10:11], v[46:47], v[16:17], v[10:11] op_sel_hi:[1,0,1]
	v_pk_add_f32 v[16:17], v[20:21], 0 neg_lo:[1,1] neg_hi:[1,1]
	v_pk_add_f32 v[8:9], v[8:9], v[26:27] neg_lo:[0,1] neg_hi:[0,1]
	ds_write2_b64 v7, v[8:9], v[22:23] offset1:8
	v_pk_mov_b32 v[8:9], v[20:21], v[16:17] op_sel:[1,0]
	v_pk_fma_f32 v[12:13], v[46:47], v[44:45], v[12:13] op_sel_hi:[1,0,1] neg_lo:[1,0,0] neg_hi:[1,0,0]
	v_pk_mul_f32 v[8:9], v[18:19], v[8:9] op_sel:[1,0]
	s_nop 0
	v_pk_fma_f32 v[8:9], v[20:21], v[18:19], v[8:9] op_sel_hi:[1,0,1] neg_lo:[1,0,0] neg_hi:[1,0,0]
	ds_write2_b64 v3, v[8:9], v[18:19] offset1:8
	v_xor_b32_e32 v8, 0x80000000, v13
	v_mov_b32_e32 v9, v12
	v_pk_mul_f32 v[8:9], v[24:25], v[8:9] op_sel:[1,0]
	s_nop 0
	v_pk_fma_f32 v[8:9], v[12:13], v[24:25], v[8:9] op_sel_hi:[1,0,1]
	s_nop 0
	v_pk_add_f32 v[8:9], v[14:15], v[8:9] neg_lo:[0,1] neg_hi:[0,1]
	ds_write2_b64 v45, v[12:13], v[8:9] offset0:7 offset1:15
	v_pk_add_f32 v[8:9], v[24:25], 0 neg_lo:[1,1] neg_hi:[1,1]
	s_nop 0
	v_pk_mov_b32 v[8:9], v[24:25], v[8:9] op_sel:[1,0]
	s_nop 0
	v_pk_mul_f32 v[8:9], v[10:11], v[8:9] op_sel:[1,0]
	s_nop 0
	v_pk_fma_f32 v[8:9], v[24:25], v[10:11], v[8:9] op_sel_hi:[1,0,1] neg_lo:[1,0,0] neg_hi:[1,0,0]
	ds_write2_b64 v48, v[10:11], v[8:9] offset0:7 offset1:15
.LBB223_20:
	s_or_b64 exec, exec, s[6:7]
	v_cmp_gt_u32_e32 vcc, 8, v0
	s_waitcnt lgkmcnt(0)
	s_barrier
	s_and_saveexec_b64 s[6:7], vcc
	s_cbranch_execz .LBB223_22
; %bb.21:
	v_lshlrev_b32_e32 v3, 8, v0
	v_add_u32_e32 v7, 0x1000, v3
	ds_read2_b64 v[8:11], v7 offset1:16
	v_add_u32_e32 v45, 0x800, v3
	ds_read2_b64 v[12:15], v45 offset0:15 offset1:31
	s_mov_b64 s[8:9], 0x3f800000
	v_add_u32_e32 v48, 0x1800, v3
	s_waitcnt lgkmcnt(1)
	v_xor_b32_e32 v16, 0x80000000, v11
	v_mov_b32_e32 v17, v10
	s_waitcnt lgkmcnt(0)
	v_pk_mul_f32 v[16:17], v[12:13], v[16:17] op_sel:[1,0]
	ds_read_b64 v[36:37], v3
	v_pk_fma_f32 v[16:17], v[10:11], v[12:13], v[16:17] op_sel_hi:[1,0,1]
	s_waitcnt lgkmcnt(0)
	v_xor_b32_e32 v40, 0x80000000, v37
	v_pk_add_f32 v[24:25], v[16:17], s[8:9] neg_lo:[1,0] neg_hi:[1,0]
	v_mov_b32_e32 v41, v36
	v_mul_f32_e32 v20, v25, v25
	v_fmac_f32_e32 v20, v24, v24
	v_div_scale_f32 v16, s[8:9], v20, v20, 1.0
	v_rcp_f32_e32 v21, v16
	v_fma_f32 v27, v24, 0, -v25
	v_fmac_f32_e32 v24, 0, v25
	v_mov_b32_e32 v25, v27
	v_fma_f32 v17, -v16, v21, 1.0
	v_fmac_f32_e32 v21, v17, v21
	v_div_scale_f32 v17, vcc, 1.0, v20, 1.0
	v_mul_f32_e32 v22, v17, v21
	v_fma_f32 v18, -v16, v22, v17
	v_fmac_f32_e32 v22, v18, v21
	v_fma_f32 v23, -v16, v22, v17
	v_add_u32_e32 v16, 0x2080, v3
	ds_read2_b64 v[16:19], v16 offset1:255
	v_div_fmas_f32 v21, v23, v21, v22
	v_div_fixup_f32 v26, v21, v20, 1.0
	v_pk_mul_f32 v[46:47], v[24:25], v[26:27] op_sel_hi:[1,0]
	s_waitcnt lgkmcnt(0)
	v_pk_mul_f32 v[20:21], v[16:17], v[12:13] op_sel:[1,1] op_sel_hi:[1,0] neg_lo:[0,1]
	s_nop 0
	v_pk_fma_f32 v[20:21], v[12:13], v[16:17], v[20:21] op_sel_hi:[1,0,1]
	s_nop 0
	v_pk_add_f32 v[28:29], v[18:19], v[20:21] neg_lo:[0,1] neg_hi:[0,1]
	v_pk_mul_f32 v[20:21], v[10:11], v[18:19] op_sel:[1,1] op_sel_hi:[1,0] neg_lo:[0,1]
	v_xor_b32_e32 v30, 0x80000000, v29
	v_pk_fma_f32 v[18:19], v[18:19], v[10:11], v[20:21] op_sel_hi:[1,0,1]
	v_mov_b32_e32 v31, v28
	v_pk_add_f32 v[32:33], v[16:17], v[18:19] neg_lo:[0,1] neg_hi:[0,1]
	ds_read2_b64 v[16:19], v48 offset0:15 offset1:31
	ds_read2_b64 v[20:23], v3 offset1:16
	ds_read_b64 v[38:39], v3 offset:10488
	v_pk_mul_f32 v[24:25], v[46:47], v[30:31] op_sel:[1,0]
	v_xor_b32_e32 v34, 0x80000000, v33
	v_mov_b32_e32 v35, v32
	s_waitcnt lgkmcnt(1)
	v_mul_f32_e64 v44, v23, -v13
	v_fmac_f32_e32 v44, v12, v22
	v_mul_f32_e32 v12, v23, v12
	v_fmac_f32_e32 v12, v13, v22
	v_add_u32_e32 v13, 0x1880, v3
	v_pk_fma_f32 v[28:29], v[28:29], v[46:47], v[24:25] op_sel_hi:[1,0,1]
	ds_read2_b64 v[24:27], v13 offset0:15 offset1:240
	v_pk_mul_f32 v[30:31], v[46:47], v[34:35] op_sel:[1,0]
	v_xor_b32_e32 v42, 0x80000000, v19
	v_pk_fma_f32 v[30:31], v[32:33], v[46:47], v[30:31] op_sel_hi:[1,0,1]
	v_mov_b32_e32 v43, v18
	v_pk_mul_f32 v[32:33], v[30:31], v[40:41] op_sel:[1,0]
	v_add_u32_e32 v13, 0x2000, v3
	v_pk_fma_f32 v[32:33], v[36:37], v[30:31], v[32:33] op_sel_hi:[1,0,1]
	s_waitcnt lgkmcnt(0)
	v_pk_add_f32 v[26:27], v[26:27], v[32:33] neg_lo:[0,1] neg_hi:[0,1]
	ds_write2_b64 v13, v[26:27], v[30:31] offset1:16
	v_pk_mul_f32 v[26:27], v[28:29], v[42:43] op_sel:[1,0]
	v_add_u32_e32 v13, 0x2800, v3
	v_pk_fma_f32 v[18:19], v[18:19], v[28:29], v[26:27] op_sel_hi:[1,0,1]
	s_nop 0
	v_pk_add_f32 v[18:19], v[38:39], v[18:19] neg_lo:[0,1] neg_hi:[0,1]
	ds_write2_b64 v13, v[28:29], v[18:19] offset0:15 offset1:31
	v_pk_add_f32 v[18:19], v[46:47], 0 neg_lo:[1,1] neg_hi:[1,1]
	v_mul_f32_e32 v28, v11, v16
	v_pk_mov_b32 v[26:27], v[46:47], v[18:19] op_sel:[1,0]
	v_pk_mov_b32 v[18:19], v[18:19], v[46:47] op_sel:[1,0]
	v_fmac_f32_e32 v28, v17, v10
	v_pk_mul_f32 v[18:19], v[22:23], v[18:19] op_sel:[1,0]
	v_pk_mul_f32 v[12:13], v[26:27], v[12:13] op_sel_hi:[1,0]
	v_pk_fma_f32 v[18:19], v[46:47], v[22:23], v[18:19] op_sel_hi:[1,0,1]
	v_mul_f32_e64 v22, v11, -v17
	v_fmac_f32_e32 v22, v16, v10
	v_pk_mul_f32 v[26:27], v[26:27], v[28:29] op_sel_hi:[1,0]
	v_xor_b32_e32 v10, 0x80000000, v47
	v_pk_fma_f32 v[22:23], v[46:47], v[22:23], v[26:27] op_sel_hi:[1,0,1] neg_lo:[1,0,0] neg_hi:[1,0,0]
	v_mov_b32_e32 v11, v46
	v_pk_mul_f32 v[26:27], v[22:23], v[20:21] op_sel:[1,1] op_sel_hi:[1,0] neg_lo:[0,1]
	v_pk_mul_f32 v[10:11], v[16:17], v[10:11] op_sel:[1,0]
	v_pk_fma_f32 v[26:27], v[20:21], v[22:23], v[26:27] op_sel_hi:[1,0,1]
	v_pk_fma_f32 v[10:11], v[46:47], v[16:17], v[10:11] op_sel_hi:[1,0,1]
	v_pk_add_f32 v[16:17], v[20:21], 0 neg_lo:[1,1] neg_hi:[1,1]
	v_pk_add_f32 v[8:9], v[8:9], v[26:27] neg_lo:[0,1] neg_hi:[0,1]
	ds_write2_b64 v7, v[8:9], v[22:23] offset1:16
	v_pk_mov_b32 v[8:9], v[20:21], v[16:17] op_sel:[1,0]
	v_pk_fma_f32 v[12:13], v[46:47], v[44:45], v[12:13] op_sel_hi:[1,0,1] neg_lo:[1,0,0] neg_hi:[1,0,0]
	v_pk_mul_f32 v[8:9], v[18:19], v[8:9] op_sel:[1,0]
	s_nop 0
	v_pk_fma_f32 v[8:9], v[20:21], v[18:19], v[8:9] op_sel_hi:[1,0,1] neg_lo:[1,0,0] neg_hi:[1,0,0]
	ds_write2_b64 v3, v[8:9], v[18:19] offset1:16
	v_xor_b32_e32 v8, 0x80000000, v13
	v_mov_b32_e32 v9, v12
	v_pk_mul_f32 v[8:9], v[24:25], v[8:9] op_sel:[1,0]
	s_nop 0
	v_pk_fma_f32 v[8:9], v[12:13], v[24:25], v[8:9] op_sel_hi:[1,0,1]
	s_nop 0
	v_pk_add_f32 v[8:9], v[14:15], v[8:9] neg_lo:[0,1] neg_hi:[0,1]
	ds_write2_b64 v45, v[12:13], v[8:9] offset0:15 offset1:31
	v_pk_add_f32 v[8:9], v[24:25], 0 neg_lo:[1,1] neg_hi:[1,1]
	s_nop 0
	v_pk_mov_b32 v[8:9], v[24:25], v[8:9] op_sel:[1,0]
	s_nop 0
	v_pk_mul_f32 v[8:9], v[10:11], v[8:9] op_sel:[1,0]
	s_nop 0
	v_pk_fma_f32 v[8:9], v[24:25], v[10:11], v[8:9] op_sel_hi:[1,0,1] neg_lo:[1,0,0] neg_hi:[1,0,0]
	ds_write2_b64 v48, v[10:11], v[8:9] offset0:15 offset1:31
.LBB223_22:
	s_or_b64 exec, exec, s[6:7]
	v_cmp_gt_u32_e32 vcc, 4, v0
	s_waitcnt lgkmcnt(0)
	s_barrier
	s_and_saveexec_b64 s[6:7], vcc
	s_cbranch_execz .LBB223_24
; %bb.23:
	v_lshlrev_b32_e32 v3, 9, v0
	v_add_u32_e32 v7, 0x1000, v3
	ds_read2_b64 v[8:11], v7 offset1:32
	v_add_u32_e32 v45, 0x800, v3
	ds_read2_b64 v[12:15], v45 offset0:31 offset1:63
	s_mov_b64 s[8:9], 0x3f800000
	v_add_u32_e32 v48, 0x1800, v3
	s_waitcnt lgkmcnt(1)
	v_xor_b32_e32 v16, 0x80000000, v11
	v_mov_b32_e32 v17, v10
	s_waitcnt lgkmcnt(0)
	v_pk_mul_f32 v[16:17], v[12:13], v[16:17] op_sel:[1,0]
	ds_read_b64 v[36:37], v3
	v_pk_fma_f32 v[16:17], v[10:11], v[12:13], v[16:17] op_sel_hi:[1,0,1]
	s_waitcnt lgkmcnt(0)
	v_xor_b32_e32 v40, 0x80000000, v37
	v_pk_add_f32 v[24:25], v[16:17], s[8:9] neg_lo:[1,0] neg_hi:[1,0]
	v_mov_b32_e32 v41, v36
	v_mul_f32_e32 v20, v25, v25
	v_fmac_f32_e32 v20, v24, v24
	v_div_scale_f32 v16, s[8:9], v20, v20, 1.0
	v_rcp_f32_e32 v21, v16
	v_fma_f32 v27, v24, 0, -v25
	v_fmac_f32_e32 v24, 0, v25
	v_mov_b32_e32 v25, v27
	v_fma_f32 v17, -v16, v21, 1.0
	v_fmac_f32_e32 v21, v17, v21
	v_div_scale_f32 v17, vcc, 1.0, v20, 1.0
	v_mul_f32_e32 v22, v17, v21
	v_fma_f32 v18, -v16, v22, v17
	v_fmac_f32_e32 v22, v18, v21
	v_fma_f32 v23, -v16, v22, v17
	v_add_u32_e32 v16, 0x2100, v3
	ds_read2_b64 v[16:19], v16 offset1:255
	v_div_fmas_f32 v21, v23, v21, v22
	v_div_fixup_f32 v26, v21, v20, 1.0
	v_pk_mul_f32 v[46:47], v[24:25], v[26:27] op_sel_hi:[1,0]
	s_waitcnt lgkmcnt(0)
	v_pk_mul_f32 v[20:21], v[16:17], v[12:13] op_sel:[1,1] op_sel_hi:[1,0] neg_lo:[0,1]
	s_nop 0
	v_pk_fma_f32 v[20:21], v[12:13], v[16:17], v[20:21] op_sel_hi:[1,0,1]
	s_nop 0
	v_pk_add_f32 v[28:29], v[18:19], v[20:21] neg_lo:[0,1] neg_hi:[0,1]
	v_pk_mul_f32 v[20:21], v[10:11], v[18:19] op_sel:[1,1] op_sel_hi:[1,0] neg_lo:[0,1]
	v_xor_b32_e32 v30, 0x80000000, v29
	v_pk_fma_f32 v[18:19], v[18:19], v[10:11], v[20:21] op_sel_hi:[1,0,1]
	v_mov_b32_e32 v31, v28
	v_pk_add_f32 v[32:33], v[16:17], v[18:19] neg_lo:[0,1] neg_hi:[0,1]
	ds_read2_b64 v[16:19], v48 offset0:31 offset1:63
	ds_read2_b64 v[20:23], v3 offset1:32
	ds_read_b64 v[38:39], v3 offset:10744
	v_pk_mul_f32 v[24:25], v[46:47], v[30:31] op_sel:[1,0]
	v_xor_b32_e32 v34, 0x80000000, v33
	v_mov_b32_e32 v35, v32
	s_waitcnt lgkmcnt(1)
	v_mul_f32_e64 v44, v23, -v13
	v_fmac_f32_e32 v44, v12, v22
	v_mul_f32_e32 v12, v23, v12
	v_fmac_f32_e32 v12, v13, v22
	v_add_u32_e32 v13, 0x1900, v3
	v_pk_fma_f32 v[28:29], v[28:29], v[46:47], v[24:25] op_sel_hi:[1,0,1]
	ds_read2_b64 v[24:27], v13 offset0:31 offset1:224
	v_pk_mul_f32 v[30:31], v[46:47], v[34:35] op_sel:[1,0]
	v_xor_b32_e32 v42, 0x80000000, v19
	v_pk_fma_f32 v[30:31], v[32:33], v[46:47], v[30:31] op_sel_hi:[1,0,1]
	v_mov_b32_e32 v43, v18
	v_pk_mul_f32 v[32:33], v[30:31], v[40:41] op_sel:[1,0]
	v_add_u32_e32 v13, 0x2000, v3
	v_pk_fma_f32 v[32:33], v[36:37], v[30:31], v[32:33] op_sel_hi:[1,0,1]
	s_waitcnt lgkmcnt(0)
	v_pk_add_f32 v[26:27], v[26:27], v[32:33] neg_lo:[0,1] neg_hi:[0,1]
	ds_write2_b64 v13, v[26:27], v[30:31] offset1:32
	v_pk_mul_f32 v[26:27], v[28:29], v[42:43] op_sel:[1,0]
	v_add_u32_e32 v13, 0x2800, v3
	v_pk_fma_f32 v[18:19], v[18:19], v[28:29], v[26:27] op_sel_hi:[1,0,1]
	s_nop 0
	v_pk_add_f32 v[18:19], v[38:39], v[18:19] neg_lo:[0,1] neg_hi:[0,1]
	ds_write2_b64 v13, v[28:29], v[18:19] offset0:31 offset1:63
	v_pk_add_f32 v[18:19], v[46:47], 0 neg_lo:[1,1] neg_hi:[1,1]
	v_mul_f32_e32 v28, v11, v16
	v_pk_mov_b32 v[26:27], v[46:47], v[18:19] op_sel:[1,0]
	v_pk_mov_b32 v[18:19], v[18:19], v[46:47] op_sel:[1,0]
	v_fmac_f32_e32 v28, v17, v10
	v_pk_mul_f32 v[18:19], v[22:23], v[18:19] op_sel:[1,0]
	v_pk_mul_f32 v[12:13], v[26:27], v[12:13] op_sel_hi:[1,0]
	v_pk_fma_f32 v[18:19], v[46:47], v[22:23], v[18:19] op_sel_hi:[1,0,1]
	v_mul_f32_e64 v22, v11, -v17
	v_fmac_f32_e32 v22, v16, v10
	v_pk_mul_f32 v[26:27], v[26:27], v[28:29] op_sel_hi:[1,0]
	v_xor_b32_e32 v10, 0x80000000, v47
	v_pk_fma_f32 v[22:23], v[46:47], v[22:23], v[26:27] op_sel_hi:[1,0,1] neg_lo:[1,0,0] neg_hi:[1,0,0]
	v_mov_b32_e32 v11, v46
	v_pk_mul_f32 v[26:27], v[22:23], v[20:21] op_sel:[1,1] op_sel_hi:[1,0] neg_lo:[0,1]
	v_pk_mul_f32 v[10:11], v[16:17], v[10:11] op_sel:[1,0]
	v_pk_fma_f32 v[26:27], v[20:21], v[22:23], v[26:27] op_sel_hi:[1,0,1]
	v_pk_fma_f32 v[10:11], v[46:47], v[16:17], v[10:11] op_sel_hi:[1,0,1]
	v_pk_add_f32 v[16:17], v[20:21], 0 neg_lo:[1,1] neg_hi:[1,1]
	v_pk_add_f32 v[8:9], v[8:9], v[26:27] neg_lo:[0,1] neg_hi:[0,1]
	ds_write2_b64 v7, v[8:9], v[22:23] offset1:32
	v_pk_mov_b32 v[8:9], v[20:21], v[16:17] op_sel:[1,0]
	v_pk_fma_f32 v[12:13], v[46:47], v[44:45], v[12:13] op_sel_hi:[1,0,1] neg_lo:[1,0,0] neg_hi:[1,0,0]
	v_pk_mul_f32 v[8:9], v[18:19], v[8:9] op_sel:[1,0]
	s_nop 0
	v_pk_fma_f32 v[8:9], v[20:21], v[18:19], v[8:9] op_sel_hi:[1,0,1] neg_lo:[1,0,0] neg_hi:[1,0,0]
	ds_write2_b64 v3, v[8:9], v[18:19] offset1:32
	v_xor_b32_e32 v8, 0x80000000, v13
	v_mov_b32_e32 v9, v12
	v_pk_mul_f32 v[8:9], v[24:25], v[8:9] op_sel:[1,0]
	s_nop 0
	v_pk_fma_f32 v[8:9], v[12:13], v[24:25], v[8:9] op_sel_hi:[1,0,1]
	s_nop 0
	v_pk_add_f32 v[8:9], v[14:15], v[8:9] neg_lo:[0,1] neg_hi:[0,1]
	ds_write2_b64 v45, v[12:13], v[8:9] offset0:31 offset1:63
	v_pk_add_f32 v[8:9], v[24:25], 0 neg_lo:[1,1] neg_hi:[1,1]
	s_nop 0
	v_pk_mov_b32 v[8:9], v[24:25], v[8:9] op_sel:[1,0]
	s_nop 0
	v_pk_mul_f32 v[8:9], v[10:11], v[8:9] op_sel:[1,0]
	s_nop 0
	v_pk_fma_f32 v[8:9], v[24:25], v[10:11], v[8:9] op_sel_hi:[1,0,1] neg_lo:[1,0,0] neg_hi:[1,0,0]
	ds_write2_b64 v48, v[10:11], v[8:9] offset0:31 offset1:63
.LBB223_24:
	s_or_b64 exec, exec, s[6:7]
	v_cmp_gt_u32_e32 vcc, 2, v0
	s_waitcnt lgkmcnt(0)
	s_barrier
	s_and_saveexec_b64 s[6:7], vcc
	s_cbranch_execz .LBB223_26
; %bb.25:
	v_lshlrev_b32_e32 v3, 10, v0
	ds_read2st64_b64 v[8:11], v3 offset0:8 offset1:9
	v_add_u32_e32 v7, 0x1f8, v3
	ds_read2st64_b64 v[12:15], v7 offset0:4 offset1:5
	ds_read_b64 v[28:29], v3 offset:11256
	s_mov_b64 s[8:9], 0x3f800000
	ds_read2st64_b64 v[16:19], v7 offset0:12 offset1:13
	s_waitcnt lgkmcnt(3)
	v_xor_b32_e32 v20, 0x80000000, v11
	v_mov_b32_e32 v21, v10
	s_waitcnt lgkmcnt(2)
	v_pk_mul_f32 v[20:21], v[12:13], v[20:21] op_sel:[1,0]
	s_waitcnt lgkmcnt(0)
	v_xor_b32_e32 v42, 0x80000000, v19
	v_pk_fma_f32 v[20:21], v[10:11], v[12:13], v[20:21] op_sel_hi:[1,0,1]
	v_mov_b32_e32 v43, v18
	v_pk_add_f32 v[24:25], v[20:21], s[8:9] neg_lo:[1,0] neg_hi:[1,0]
	s_nop 0
	v_mul_f32_e32 v26, v25, v25
	v_fmac_f32_e32 v26, v24, v24
	v_div_scale_f32 v20, s[8:9], v26, v26, 1.0
	v_rcp_f32_e32 v27, v20
	s_nop 0
	v_fma_f32 v21, -v20, v27, 1.0
	v_fmac_f32_e32 v27, v21, v27
	v_div_scale_f32 v21, vcc, 1.0, v26, 1.0
	v_mul_f32_e32 v30, v21, v27
	v_fma_f32 v22, -v20, v30, v21
	v_fmac_f32_e32 v30, v22, v27
	v_fma_f32 v31, -v20, v30, v21
	v_add_u32_e32 v20, 0x2200, v3
	ds_read2_b64 v[20:23], v20 offset1:255
	v_div_fmas_f32 v27, v31, v27, v30
	v_div_fixup_f32 v26, v27, v26, 1.0
	v_fma_f32 v27, v24, 0, -v25
	v_fmac_f32_e32 v24, 0, v25
	s_waitcnt lgkmcnt(0)
	v_pk_mul_f32 v[30:31], v[20:21], v[12:13] op_sel:[1,1] op_sel_hi:[1,0] neg_lo:[0,1]
	v_pk_mul_f32 v[34:35], v[10:11], v[22:23] op_sel:[1,1] op_sel_hi:[1,0] neg_lo:[0,1]
	v_pk_fma_f32 v[30:31], v[12:13], v[20:21], v[30:31] op_sel_hi:[1,0,1]
	v_mov_b32_e32 v25, v27
	v_pk_add_f32 v[30:31], v[22:23], v[30:31] neg_lo:[0,1] neg_hi:[0,1]
	v_pk_fma_f32 v[22:23], v[22:23], v[10:11], v[34:35] op_sel_hi:[1,0,1]
	ds_read_b64 v[34:35], v3
	v_pk_add_f32 v[36:37], v[20:21], v[22:23] neg_lo:[0,1] neg_hi:[0,1]
	ds_read2st64_b64 v[20:23], v3 offset1:1
	v_xor_b32_e32 v32, 0x80000000, v31
	v_mov_b32_e32 v33, v30
	v_pk_mul_f32 v[46:47], v[24:25], v[26:27] op_sel_hi:[1,0]
	v_xor_b32_e32 v38, 0x80000000, v37
	s_waitcnt lgkmcnt(0)
	v_mul_f32_e64 v44, v23, -v13
	v_fmac_f32_e32 v44, v12, v22
	v_mul_f32_e32 v12, v23, v12
	v_fmac_f32_e32 v12, v13, v22
	v_pk_mul_f32 v[24:25], v[46:47], v[32:33] op_sel:[1,0]
	v_add_u32_e32 v13, 0x1a00, v3
	v_mov_b32_e32 v39, v36
	v_pk_fma_f32 v[30:31], v[30:31], v[46:47], v[24:25] op_sel_hi:[1,0,1]
	ds_read2_b64 v[24:27], v13 offset0:63 offset1:192
	v_pk_mul_f32 v[32:33], v[46:47], v[38:39] op_sel:[1,0]
	v_xor_b32_e32 v40, 0x80000000, v35
	v_mov_b32_e32 v41, v34
	v_pk_fma_f32 v[32:33], v[36:37], v[46:47], v[32:33] op_sel_hi:[1,0,1]
	s_nop 0
	v_pk_mul_f32 v[36:37], v[32:33], v[40:41] op_sel:[1,0]
	s_nop 0
	v_pk_fma_f32 v[34:35], v[34:35], v[32:33], v[36:37] op_sel_hi:[1,0,1]
	s_waitcnt lgkmcnt(0)
	v_pk_add_f32 v[26:27], v[26:27], v[34:35] neg_lo:[0,1] neg_hi:[0,1]
	ds_write2st64_b64 v3, v[26:27], v[32:33] offset0:16 offset1:17
	v_pk_mul_f32 v[26:27], v[30:31], v[42:43] op_sel:[1,0]
	s_nop 0
	v_pk_fma_f32 v[18:19], v[18:19], v[30:31], v[26:27] op_sel_hi:[1,0,1]
	s_nop 0
	v_pk_add_f32 v[18:19], v[28:29], v[18:19] neg_lo:[0,1] neg_hi:[0,1]
	ds_write2st64_b64 v7, v[30:31], v[18:19] offset0:20 offset1:21
	v_pk_add_f32 v[18:19], v[46:47], 0 neg_lo:[1,1] neg_hi:[1,1]
	v_mul_f32_e32 v28, v11, v16
	v_pk_mov_b32 v[26:27], v[46:47], v[18:19] op_sel:[1,0]
	v_pk_mov_b32 v[18:19], v[18:19], v[46:47] op_sel:[1,0]
	v_fmac_f32_e32 v28, v17, v10
	v_pk_mul_f32 v[18:19], v[22:23], v[18:19] op_sel:[1,0]
	v_pk_mul_f32 v[12:13], v[26:27], v[12:13] op_sel_hi:[1,0]
	v_pk_fma_f32 v[18:19], v[46:47], v[22:23], v[18:19] op_sel_hi:[1,0,1]
	v_mul_f32_e64 v22, v11, -v17
	v_fmac_f32_e32 v22, v16, v10
	v_pk_mul_f32 v[26:27], v[26:27], v[28:29] op_sel_hi:[1,0]
	v_xor_b32_e32 v10, 0x80000000, v47
	v_pk_fma_f32 v[22:23], v[46:47], v[22:23], v[26:27] op_sel_hi:[1,0,1] neg_lo:[1,0,0] neg_hi:[1,0,0]
	v_mov_b32_e32 v11, v46
	v_pk_mul_f32 v[26:27], v[22:23], v[20:21] op_sel:[1,1] op_sel_hi:[1,0] neg_lo:[0,1]
	v_pk_mul_f32 v[10:11], v[16:17], v[10:11] op_sel:[1,0]
	v_pk_fma_f32 v[26:27], v[20:21], v[22:23], v[26:27] op_sel_hi:[1,0,1]
	v_pk_fma_f32 v[10:11], v[46:47], v[16:17], v[10:11] op_sel_hi:[1,0,1]
	v_pk_add_f32 v[16:17], v[20:21], 0 neg_lo:[1,1] neg_hi:[1,1]
	v_pk_add_f32 v[8:9], v[8:9], v[26:27] neg_lo:[0,1] neg_hi:[0,1]
	ds_write2st64_b64 v3, v[8:9], v[22:23] offset0:8 offset1:9
	v_pk_mov_b32 v[8:9], v[20:21], v[16:17] op_sel:[1,0]
	v_pk_fma_f32 v[12:13], v[46:47], v[44:45], v[12:13] op_sel_hi:[1,0,1] neg_lo:[1,0,0] neg_hi:[1,0,0]
	v_pk_mul_f32 v[8:9], v[18:19], v[8:9] op_sel:[1,0]
	s_nop 0
	v_pk_fma_f32 v[8:9], v[20:21], v[18:19], v[8:9] op_sel_hi:[1,0,1] neg_lo:[1,0,0] neg_hi:[1,0,0]
	ds_write2st64_b64 v3, v[8:9], v[18:19] offset1:1
	v_xor_b32_e32 v8, 0x80000000, v13
	v_mov_b32_e32 v9, v12
	v_pk_mul_f32 v[8:9], v[24:25], v[8:9] op_sel:[1,0]
	s_nop 0
	v_pk_fma_f32 v[8:9], v[12:13], v[24:25], v[8:9] op_sel_hi:[1,0,1]
	s_nop 0
	v_pk_add_f32 v[8:9], v[14:15], v[8:9] neg_lo:[0,1] neg_hi:[0,1]
	ds_write2st64_b64 v7, v[12:13], v[8:9] offset0:4 offset1:5
	v_pk_add_f32 v[8:9], v[24:25], 0 neg_lo:[1,1] neg_hi:[1,1]
	s_nop 0
	v_pk_mov_b32 v[8:9], v[24:25], v[8:9] op_sel:[1,0]
	s_nop 0
	v_pk_mul_f32 v[8:9], v[10:11], v[8:9] op_sel:[1,0]
	s_nop 0
	v_pk_fma_f32 v[8:9], v[24:25], v[10:11], v[8:9] op_sel_hi:[1,0,1] neg_lo:[1,0,0] neg_hi:[1,0,0]
	ds_write2st64_b64 v7, v[10:11], v[8:9] offset0:12 offset1:13
.LBB223_26:
	s_or_b64 exec, exec, s[6:7]
	s_mov_b32 s11, 0
	v_cmp_eq_u32_e64 s[6:7], 0, v0
	s_waitcnt lgkmcnt(0)
	s_barrier
	s_and_saveexec_b64 s[8:9], s[6:7]
	s_cbranch_execz .LBB223_28
; %bb.27:
	v_mov_b32_e32 v3, 0
	s_movk_i32 s10, 0x1f8
	ds_read2st64_b64 v[8:11], v3 offset0:8 offset1:10
	v_add_u32_e64 v7, s10, 0
	ds_read2st64_b64 v[12:15], v7 offset0:5 offset1:7
	s_mov_b32 s10, 1.0
	s_waitcnt lgkmcnt(1)
	v_xor_b32_e32 v16, 0x80000000, v11
	v_mov_b32_e32 v17, v10
	s_waitcnt lgkmcnt(0)
	v_pk_mul_f32 v[16:17], v[12:13], v[16:17] op_sel:[1,0]
	s_nop 0
	v_pk_fma_f32 v[16:17], v[10:11], v[12:13], v[16:17] op_sel_hi:[1,0,1]
	s_nop 0
	v_pk_add_f32 v[26:27], v[16:17], s[10:11] neg_lo:[1,0] neg_hi:[1,0]
	s_nop 0
	v_mul_f32_e32 v0, v27, v27
	v_fmac_f32_e32 v0, v26, v26
	v_div_scale_f32 v16, s[10:11], v0, v0, 1.0
	v_rcp_f32_e32 v20, v16
	s_movk_i32 s10, 0x2400
	v_add_u32_e64 v39, s10, 0
	v_fma_f32 v40, v26, 0, -v27
	v_fma_f32 v17, -v16, v20, 1.0
	v_fmac_f32_e32 v20, v17, v20
	v_div_scale_f32 v17, vcc, 1.0, v0, 1.0
	v_mul_f32_e32 v21, v17, v20
	v_fma_f32 v18, -v16, v21, v17
	v_fmac_f32_e32 v21, v18, v20
	v_fma_f32 v22, -v16, v21, v17
	ds_read2_b64 v[16:19], v39 offset1:255
	v_div_fmas_f32 v20, v22, v20, v21
	v_div_fixup_f32 v0, v20, v0, 1.0
	v_fmac_f32_e32 v26, 0, v27
	v_mov_b32_e32 v27, v40
	s_waitcnt lgkmcnt(0)
	v_pk_mul_f32 v[20:21], v[16:17], v[12:13] op_sel:[1,1] op_sel_hi:[1,0] neg_lo:[0,1]
	v_pk_mul_f32 v[40:41], v[26:27], v[0:1] op_sel_hi:[1,0]
	v_pk_fma_f32 v[20:21], v[12:13], v[16:17], v[20:21] op_sel_hi:[1,0,1]
	s_movk_i32 s10, 0x1400
	v_pk_add_f32 v[28:29], v[18:19], v[20:21] neg_lo:[0,1] neg_hi:[0,1]
	v_pk_mul_f32 v[20:21], v[10:11], v[18:19] op_sel:[1,1] op_sel_hi:[1,0] neg_lo:[0,1]
	v_xor_b32_e32 v30, 0x80000000, v29
	v_pk_fma_f32 v[22:23], v[18:19], v[10:11], v[20:21] op_sel_hi:[1,0,1]
	ds_read2st64_b64 v[18:21], v3 offset1:2
	v_mov_b32_e32 v31, v28
	v_pk_add_f32 v[16:17], v[16:17], v[22:23] neg_lo:[0,1] neg_hi:[0,1]
	v_pk_mul_f32 v[26:27], v[40:41], v[30:31] op_sel:[1,0]
	v_xor_b32_e32 v32, 0x80000000, v17
	v_mov_b32_e32 v33, v16
	ds_read2st64_b64 v[22:25], v7 offset0:13 offset1:15
	v_pk_fma_f32 v[30:31], v[28:29], v[40:41], v[26:27] op_sel_hi:[1,0,1]
	v_pk_mul_f32 v[26:27], v[40:41], v[32:33] op_sel:[1,0]
	v_mov_b32_e32 v7, 0x1ff8
	v_pk_fma_f32 v[16:17], v[16:17], v[40:41], v[26:27] op_sel_hi:[1,0,1]
	ds_read2_b64 v[26:29], v7 offset1:1
	s_waitcnt lgkmcnt(2)
	v_xor_b32_e32 v34, 0x80000000, v19
	v_mov_b32_e32 v35, v18
	v_pk_mul_f32 v[32:33], v[16:17], v[34:35] op_sel:[1,0]
	ds_read_b64 v[34:35], v3 offset:12280
	s_waitcnt lgkmcnt(2)
	v_xor_b32_e32 v36, 0x80000000, v25
	v_mov_b32_e32 v37, v24
	ds_write2_b64 v39, v[16:17], v[30:31] offset1:255
	v_pk_fma_f32 v[16:17], v[18:19], v[16:17], v[32:33] op_sel_hi:[1,0,1]
	v_mul_f32_e64 v38, v21, -v13
	s_waitcnt lgkmcnt(2)
	v_pk_add_f32 v[16:17], v[28:29], v[16:17] neg_lo:[0,1] neg_hi:[0,1]
	v_pk_mul_f32 v[28:29], v[30:31], v[36:37] op_sel:[1,0]
	v_fmac_f32_e32 v38, v12, v20
	v_pk_fma_f32 v[24:25], v[24:25], v[30:31], v[28:29] op_sel_hi:[1,0,1]
	v_mul_f32_e32 v12, v21, v12
	s_waitcnt lgkmcnt(1)
	v_pk_add_f32 v[24:25], v[34:35], v[24:25] neg_lo:[0,1] neg_hi:[0,1]
	ds_write_b64 v3, v[24:25] offset:12280
	v_xor_b32_e32 v24, 0x80000000, v41
	v_mov_b32_e32 v25, v40
	v_pk_mul_f32 v[30:31], v[20:21], v[24:25] op_sel:[1,0]
	v_fmac_f32_e32 v12, v13, v20
	v_pk_fma_f32 v[20:21], v[40:41], v[20:21], v[30:31] op_sel_hi:[1,0,1]
	v_mul_f32_e32 v30, v11, v22
	v_xor_b32_e32 v29, 0x80000000, v40
	v_mov_b32_e32 v28, v41
	v_mul_f32_e64 v0, v11, -v23
	v_fmac_f32_e32 v30, v23, v10
	v_fmac_f32_e32 v0, v22, v10
	v_pk_mul_f32 v[10:11], v[28:29], v[30:31] op_sel_hi:[1,0]
	v_pk_mul_f32 v[24:25], v[22:23], v[24:25] op_sel:[1,0]
	v_pk_fma_f32 v[10:11], v[40:41], v[0:1], v[10:11] op_sel_hi:[1,0,1] neg_lo:[1,0,0] neg_hi:[1,0,0]
	v_pk_mul_f32 v[12:13], v[28:29], v[12:13] op_sel_hi:[1,0]
	v_pk_fma_f32 v[22:23], v[40:41], v[22:23], v[24:25] op_sel_hi:[1,0,1]
	v_add_u32_e64 v0, s10, 0
	v_pk_mul_f32 v[28:29], v[10:11], v[18:19] op_sel:[1,1] op_sel_hi:[1,0] neg_lo:[0,1]
	ds_write2_b64 v0, v[10:11], v[22:23] offset1:255
	v_xor_b32_e32 v25, 0x80000000, v18
	v_pk_fma_f32 v[10:11], v[18:19], v[10:11], v[28:29] op_sel_hi:[1,0,1]
	v_mov_b32_e32 v24, v19
	v_pk_add_f32 v[8:9], v[8:9], v[10:11] neg_lo:[0,1] neg_hi:[0,1]
	v_pk_mul_f32 v[10:11], v[20:21], v[24:25] op_sel:[1,0]
	v_pk_fma_f32 v[12:13], v[40:41], v[38:39], v[12:13] op_sel_hi:[1,0,1] neg_lo:[1,0,0] neg_hi:[1,0,0]
	v_pk_fma_f32 v[10:11], v[18:19], v[20:21], v[10:11] op_sel_hi:[1,0,1] neg_lo:[1,0,0] neg_hi:[1,0,0]
	ds_write2st64_b64 v3, v[10:11], v[20:21] offset1:2
	v_xor_b32_e32 v10, 0x80000000, v13
	v_mov_b32_e32 v11, v12
	v_pk_mul_f32 v[10:11], v[26:27], v[10:11] op_sel:[1,0]
	v_mov_b32_e32 v0, 0xff8
	v_pk_fma_f32 v[10:11], v[12:13], v[26:27], v[10:11] op_sel_hi:[1,0,1]
	ds_write_b64 v3, v[12:13] offset:3064
	v_pk_add_f32 v[10:11], v[14:15], v[10:11] neg_lo:[0,1] neg_hi:[0,1]
	ds_write2_b64 v0, v[10:11], v[8:9] offset1:1
	v_xor_b32_e32 v9, 0x80000000, v26
	v_mov_b32_e32 v8, v27
	v_pk_mul_f32 v[8:9], v[22:23], v[8:9] op_sel:[1,0]
	s_nop 0
	v_pk_fma_f32 v[8:9], v[26:27], v[22:23], v[8:9] op_sel_hi:[1,0,1] neg_lo:[1,0,0] neg_hi:[1,0,0]
	ds_write2_b64 v7, v[8:9], v[16:17] offset1:1
.LBB223_28:
	s_or_b64 exec, exec, s[8:9]
	s_load_dwordx2 s[14:15], s[0:1], 0x48
	s_load_dwordx4 s[8:11], s[0:1], 0x38
	s_waitcnt lgkmcnt(0)
	s_barrier
	s_and_saveexec_b64 s[16:17], s[4:5]
	s_cbranch_execnz .LBB223_31
; %bb.29:
	s_or_b64 exec, exec, s[16:17]
	s_and_saveexec_b64 s[4:5], s[6:7]
	s_cbranch_execnz .LBB223_35
.LBB223_30:
	s_endpgm
.LBB223_31:
	s_cmp_eq_u32 s3, 0
	s_cbranch_scc1 .LBB223_39
; %bb.32:
	s_mul_i32 s18, s18, 15
	s_cbranch_execnz .LBB223_34
.LBB223_33:
	s_load_dwordx4 s[20:23], s[0:1], 0x28
	ds_read2st64_b64 v[6:9], v6 offset1:4
	v_ashrrev_i32_e32 v3, 31, v2
	v_lshlrev_b64 v[12:13], 3, v[2:3]
	v_add_u32_e32 v10, s19, v2
	s_waitcnt lgkmcnt(0)
	v_lshl_add_u64 v[2:3], s[20:21], 0, v[12:13]
	global_store_dwordx2 v[2:3], v[6:7], off
	ds_read2st64_b64 v[0:3], v1 offset1:4
	v_mov_b32_e32 v11, 0
	v_lshlrev_b64 v[6:7], 3, v[10:11]
	v_lshl_add_u64 v[10:11], s[20:21], 0, v[6:7]
	global_store_dwordx2 v[10:11], v[8:9], off
	v_lshl_add_u64 v[8:9], s[22:23], 0, v[12:13]
	s_waitcnt lgkmcnt(0)
	global_store_dwordx2 v[8:9], v[0:1], off
	v_lshl_add_u64 v[0:1], s[22:23], 0, v[6:7]
	s_mov_b32 s18, s19
	global_store_dwordx2 v[0:1], v[2:3], off
.LBB223_34:
	ds_read2st64_b64 v[0:3], v5 offset1:4
	v_ashrrev_i32_e32 v5, 31, v4
	v_add_u32_e32 v6, s18, v4
	v_mov_b32_e32 v7, 0
	v_lshl_add_u64 v[4:5], v[4:5], 3, s[12:13]
	s_waitcnt lgkmcnt(0)
	global_store_dwordx2 v[4:5], v[0:1], off
	v_lshl_add_u64 v[0:1], v[6:7], 3, s[12:13]
	global_store_dwordx2 v[0:1], v[2:3], off
	s_or_b64 exec, exec, s[16:17]
	s_and_saveexec_b64 s[4:5], s[6:7]
	s_cbranch_execz .LBB223_30
.LBB223_35:
	s_cmp_eq_u32 s3, 0
	s_cbranch_scc1 .LBB223_40
; %bb.36:
	s_load_dword s6, s[0:1], 0x50
	s_cbranch_execnz .LBB223_38
.LBB223_37:
	s_waitcnt lgkmcnt(0)
	s_load_dword s6, s[0:1], 0x50
	v_mov_b32_e32 v0, 0xff8
	s_mov_b32 s4, s3
	s_ashr_i32 s3, s2, 31
	ds_read2_b64 v[6:9], v0 offset1:1
	s_lshl_b64 s[12:13], s[2:3], 3
	v_mov_b32_e32 v4, 0
	s_mov_b32 s3, s4
	s_add_u32 s4, s10, s12
	ds_read_b64 v[2:3], v4 offset:8184
	s_addc_u32 s5, s11, s13
	s_waitcnt lgkmcnt(0)
	s_add_i32 s0, s6, s2
	s_mov_b32 s1, 0
	s_lshl_b64 s[0:1], s[0:1], 3
	global_store_dwordx2 v4, v[8:9], s[4:5]
	s_add_u32 s4, s10, s0
	ds_read_b64 v[0:1], v4
	s_addc_u32 s5, s11, s1
	global_store_dwordx2 v4, v[2:3], s[4:5]
	s_add_u32 s4, s14, s12
	s_addc_u32 s5, s15, s13
	s_add_u32 s0, s14, s0
	s_addc_u32 s1, s15, s1
	s_waitcnt lgkmcnt(0)
	global_store_dwordx2 v4, v[0:1], s[4:5]
	global_store_dwordx2 v4, v[6:7], s[0:1]
.LBB223_38:
	s_waitcnt lgkmcnt(0)
	s_mul_i32 s0, s6, s3
	s_lshl_b32 s0, s0, 1
	s_add_i32 s0, s0, s2
	s_mov_b32 s1, 0
	v_mov_b32_e32 v4, 0
	s_lshl_b64 s[2:3], s[0:1], 3
	ds_read_b64 v[0:1], v4 offset:8192
	ds_read_b64 v[2:3], v4 offset:12280
	s_add_u32 s2, s8, s2
	s_addc_u32 s3, s9, s3
	s_add_i32 s0, s0, s6
	s_lshl_b64 s[0:1], s[0:1], 3
	s_add_u32 s0, s8, s0
	s_addc_u32 s1, s9, s1
	s_waitcnt lgkmcnt(1)
	global_store_dwordx2 v4, v[0:1], s[2:3]
	s_waitcnt lgkmcnt(0)
	global_store_dwordx2 v4, v[2:3], s[0:1]
	s_endpgm
.LBB223_39:
                                        ; implicit-def: $sgpr18
	s_branch .LBB223_33
.LBB223_40:
                                        ; implicit-def: $sgpr6
	s_branch .LBB223_37
	.section	.rodata,"a",@progbits
	.p2align	6, 0x0
	.amdhsa_kernel _ZN9rocsparseL29gtsv_spike_block_level_kernelILj256ELj16E21rocsparse_complex_numIfEEEviiiPT1_PKS3_S6_S4_S4_S4_S4_S4_
		.amdhsa_group_segment_fixed_size 12288
		.amdhsa_private_segment_fixed_size 0
		.amdhsa_kernarg_size 336
		.amdhsa_user_sgpr_count 2
		.amdhsa_user_sgpr_dispatch_ptr 0
		.amdhsa_user_sgpr_queue_ptr 0
		.amdhsa_user_sgpr_kernarg_segment_ptr 1
		.amdhsa_user_sgpr_dispatch_id 0
		.amdhsa_user_sgpr_kernarg_preload_length 0
		.amdhsa_user_sgpr_kernarg_preload_offset 0
		.amdhsa_user_sgpr_private_segment_size 0
		.amdhsa_uses_dynamic_stack 0
		.amdhsa_enable_private_segment 0
		.amdhsa_system_sgpr_workgroup_id_x 1
		.amdhsa_system_sgpr_workgroup_id_y 1
		.amdhsa_system_sgpr_workgroup_id_z 0
		.amdhsa_system_sgpr_workgroup_info 0
		.amdhsa_system_vgpr_workitem_id 0
		.amdhsa_next_free_vgpr 50
		.amdhsa_next_free_sgpr 24
		.amdhsa_accum_offset 52
		.amdhsa_reserve_vcc 1
		.amdhsa_float_round_mode_32 0
		.amdhsa_float_round_mode_16_64 0
		.amdhsa_float_denorm_mode_32 3
		.amdhsa_float_denorm_mode_16_64 3
		.amdhsa_dx10_clamp 1
		.amdhsa_ieee_mode 1
		.amdhsa_fp16_overflow 0
		.amdhsa_tg_split 0
		.amdhsa_exception_fp_ieee_invalid_op 0
		.amdhsa_exception_fp_denorm_src 0
		.amdhsa_exception_fp_ieee_div_zero 0
		.amdhsa_exception_fp_ieee_overflow 0
		.amdhsa_exception_fp_ieee_underflow 0
		.amdhsa_exception_fp_ieee_inexact 0
		.amdhsa_exception_int_div_zero 0
	.end_amdhsa_kernel
	.section	.text._ZN9rocsparseL29gtsv_spike_block_level_kernelILj256ELj16E21rocsparse_complex_numIfEEEviiiPT1_PKS3_S6_S4_S4_S4_S4_S4_,"axG",@progbits,_ZN9rocsparseL29gtsv_spike_block_level_kernelILj256ELj16E21rocsparse_complex_numIfEEEviiiPT1_PKS3_S6_S4_S4_S4_S4_S4_,comdat
.Lfunc_end223:
	.size	_ZN9rocsparseL29gtsv_spike_block_level_kernelILj256ELj16E21rocsparse_complex_numIfEEEviiiPT1_PKS3_S6_S4_S4_S4_S4_S4_, .Lfunc_end223-_ZN9rocsparseL29gtsv_spike_block_level_kernelILj256ELj16E21rocsparse_complex_numIfEEEviiiPT1_PKS3_S6_S4_S4_S4_S4_S4_
                                        ; -- End function
	.set _ZN9rocsparseL29gtsv_spike_block_level_kernelILj256ELj16E21rocsparse_complex_numIfEEEviiiPT1_PKS3_S6_S4_S4_S4_S4_S4_.num_vgpr, 50
	.set _ZN9rocsparseL29gtsv_spike_block_level_kernelILj256ELj16E21rocsparse_complex_numIfEEEviiiPT1_PKS3_S6_S4_S4_S4_S4_S4_.num_agpr, 0
	.set _ZN9rocsparseL29gtsv_spike_block_level_kernelILj256ELj16E21rocsparse_complex_numIfEEEviiiPT1_PKS3_S6_S4_S4_S4_S4_S4_.numbered_sgpr, 24
	.set _ZN9rocsparseL29gtsv_spike_block_level_kernelILj256ELj16E21rocsparse_complex_numIfEEEviiiPT1_PKS3_S6_S4_S4_S4_S4_S4_.num_named_barrier, 0
	.set _ZN9rocsparseL29gtsv_spike_block_level_kernelILj256ELj16E21rocsparse_complex_numIfEEEviiiPT1_PKS3_S6_S4_S4_S4_S4_S4_.private_seg_size, 0
	.set _ZN9rocsparseL29gtsv_spike_block_level_kernelILj256ELj16E21rocsparse_complex_numIfEEEviiiPT1_PKS3_S6_S4_S4_S4_S4_S4_.uses_vcc, 1
	.set _ZN9rocsparseL29gtsv_spike_block_level_kernelILj256ELj16E21rocsparse_complex_numIfEEEviiiPT1_PKS3_S6_S4_S4_S4_S4_S4_.uses_flat_scratch, 0
	.set _ZN9rocsparseL29gtsv_spike_block_level_kernelILj256ELj16E21rocsparse_complex_numIfEEEviiiPT1_PKS3_S6_S4_S4_S4_S4_S4_.has_dyn_sized_stack, 0
	.set _ZN9rocsparseL29gtsv_spike_block_level_kernelILj256ELj16E21rocsparse_complex_numIfEEEviiiPT1_PKS3_S6_S4_S4_S4_S4_S4_.has_recursion, 0
	.set _ZN9rocsparseL29gtsv_spike_block_level_kernelILj256ELj16E21rocsparse_complex_numIfEEEviiiPT1_PKS3_S6_S4_S4_S4_S4_S4_.has_indirect_call, 0
	.section	.AMDGPU.csdata,"",@progbits
; Kernel info:
; codeLenInByte = 7624
; TotalNumSgprs: 30
; NumVgprs: 50
; NumAgprs: 0
; TotalNumVgprs: 50
; ScratchSize: 0
; MemoryBound: 0
; FloatMode: 240
; IeeeMode: 1
; LDSByteSize: 12288 bytes/workgroup (compile time only)
; SGPRBlocks: 3
; VGPRBlocks: 6
; NumSGPRsForWavesPerEU: 30
; NumVGPRsForWavesPerEU: 50
; AccumOffset: 52
; Occupancy: 8
; WaveLimiterHint : 0
; COMPUTE_PGM_RSRC2:SCRATCH_EN: 0
; COMPUTE_PGM_RSRC2:USER_SGPR: 2
; COMPUTE_PGM_RSRC2:TRAP_HANDLER: 0
; COMPUTE_PGM_RSRC2:TGID_X_EN: 1
; COMPUTE_PGM_RSRC2:TGID_Y_EN: 1
; COMPUTE_PGM_RSRC2:TGID_Z_EN: 0
; COMPUTE_PGM_RSRC2:TIDIG_COMP_CNT: 0
; COMPUTE_PGM_RSRC3_GFX90A:ACCUM_OFFSET: 12
; COMPUTE_PGM_RSRC3_GFX90A:TG_SPLIT: 0
	.section	.text._ZN9rocsparseL33gtsv_solve_spike_propagate_kernelILj256ELj16E21rocsparse_complex_numIfEEEviiiPT1_PKS3_S6_S6_,"axG",@progbits,_ZN9rocsparseL33gtsv_solve_spike_propagate_kernelILj256ELj16E21rocsparse_complex_numIfEEEviiiPT1_PKS3_S6_S6_,comdat
	.globl	_ZN9rocsparseL33gtsv_solve_spike_propagate_kernelILj256ELj16E21rocsparse_complex_numIfEEEviiiPT1_PKS3_S6_S6_ ; -- Begin function _ZN9rocsparseL33gtsv_solve_spike_propagate_kernelILj256ELj16E21rocsparse_complex_numIfEEEviiiPT1_PKS3_S6_S6_
	.p2align	8
	.type	_ZN9rocsparseL33gtsv_solve_spike_propagate_kernelILj256ELj16E21rocsparse_complex_numIfEEEviiiPT1_PKS3_S6_S6_,@function
_ZN9rocsparseL33gtsv_solve_spike_propagate_kernelILj256ELj16E21rocsparse_complex_numIfEEEviiiPT1_PKS3_S6_S6_: ; @_ZN9rocsparseL33gtsv_solve_spike_propagate_kernelILj256ELj16E21rocsparse_complex_numIfEEEviiiPT1_PKS3_S6_S6_
; %bb.0:
	s_load_dword s8, s[0:1], 0x0
	v_lshl_or_b32 v2, s2, 8, v0
	v_lshlrev_b32_e32 v1, 3, v0
	s_waitcnt lgkmcnt(0)
	s_lshr_b32 s14, s8, 4
	v_cmp_gt_i32_e32 vcc, s14, v2
	v_cmp_le_i32_e64 s[4:5], s14, v2
	s_and_saveexec_b64 s[6:7], s[4:5]
	s_xor_b64 s[6:7], exec, s[6:7]
; %bb.1:
	v_mov_b32_e32 v4, 0
	v_mov_b32_e32 v5, v4
	ds_write_b64 v1, v[4:5] offset:8208
; %bb.2:
	s_or_saveexec_b64 s[6:7], s[6:7]
	v_mov_b32_e32 v4, 0
	v_ashrrev_i32_e32 v3, 31, v2
	v_mov_b32_e32 v5, 0
	s_xor_b64 exec, exec, s[6:7]
	s_cbranch_execz .LBB224_4
; %bb.3:
	s_load_dwordx2 s[10:11], s[0:1], 0x18
	v_mad_u64_u32 v[4:5], s[12:13], s14, 15, v[2:3]
	v_mov_b32_e32 v5, 0
	s_waitcnt lgkmcnt(0)
	v_lshl_add_u64 v[6:7], v[2:3], 3, s[10:11]
	v_lshl_add_u64 v[8:9], v[4:5], 3, s[10:11]
	global_load_dwordx2 v[10:11], v[6:7], off
	global_load_dwordx2 v[4:5], v[8:9], off
	s_waitcnt vmcnt(1)
	ds_write_b64 v1, v[10:11] offset:8208
.LBB224_4:
	s_or_b64 exec, exec, s[6:7]
	s_load_dwordx2 s[6:7], s[0:1], 0x10
	s_waitcnt vmcnt(0)
	ds_write_b64 v1, v[4:5] offset:10256
	s_and_saveexec_b64 s[10:11], s[4:5]
	s_xor_b64 s[4:5], exec, s[10:11]
; %bb.5:
	s_mov_b32 s10, 0
	s_mov_b32 s11, s10
	v_mov_b64_e32 v[4:5], s[10:11]
	v_add_u32_e32 v3, 16, v1
	ds_write2st64_b64 v3, v[4:5], v[4:5] offset0:8 offset1:12
; %bb.6:
	s_or_saveexec_b64 s[4:5], s[4:5]
	v_mov_b32_e32 v4, 0
	s_mul_i32 s8, s8, s3
	v_mov_b32_e32 v6, 0
	v_mov_b32_e32 v7, 0
	s_xor_b64 exec, exec, s[4:5]
	s_cbranch_execz .LBB224_8
; %bb.7:
	s_load_dwordx2 s[10:11], s[0:1], 0x20
	v_mad_u64_u32 v[6:7], s[12:13], s14, 15, v[2:3]
	v_mov_b32_e32 v7, 0
	s_waitcnt lgkmcnt(0)
	v_lshl_add_u64 v[10:11], v[6:7], 3, s[10:11]
	v_add_u32_e32 v6, s8, v6
	v_lshl_add_u64 v[8:9], v[2:3], 3, s[10:11]
	v_lshl_add_u64 v[6:7], v[6:7], 3, s[6:7]
	global_load_dwordx2 v[12:13], v[8:9], off
	global_load_dwordx2 v[14:15], v[10:11], off
	v_add_u32_e32 v3, 16, v1
	global_load_dwordx2 v[6:7], v[6:7], off
	s_waitcnt vmcnt(1)
	ds_write2st64_b64 v3, v[12:13], v[14:15] offset0:8 offset1:12
.LBB224_8:
	s_or_b64 exec, exec, s[4:5]
	v_add_u32_e32 v2, s8, v2
	v_mov_b32_e32 v5, 0
	s_waitcnt vmcnt(0)
	ds_write_b64 v1, v[6:7] offset:8
	s_and_saveexec_b64 s[4:5], vcc
	s_cbranch_execz .LBB224_10
; %bb.9:
	v_ashrrev_i32_e32 v3, 31, v2
	s_waitcnt lgkmcnt(0)
	v_lshl_add_u64 v[4:5], v[2:3], 3, s[6:7]
	global_load_dwordx2 v[4:5], v[4:5], off
.LBB224_10:
	s_or_b64 exec, exec, s[4:5]
	s_mov_b32 s12, 0
	v_cmp_eq_u32_e64 s[4:5], 0, v0
	s_waitcnt vmcnt(0)
	ds_write_b64 v1, v[4:5] offset:2056
	s_waitcnt lgkmcnt(0)
	s_barrier
	s_and_saveexec_b64 s[8:9], s[4:5]
	s_cbranch_execz .LBB224_16
; %bb.11:
	s_load_dword s15, s[0:1], 0x30
	s_load_dwordx2 s[10:11], s[0:1], 0x28
	s_cmp_lt_i32 s2, 1
	s_mov_b32 s13, 0
	s_waitcnt lgkmcnt(0)
	s_mul_i32 s3, s3, s15
	s_cbranch_scc1 .LBB224_13
; %bb.12:
	s_lshl_b32 s0, s3, 1
	s_add_i32 s1, s2, s15
	s_add_i32 s0, s1, s0
	s_add_i32 s0, s0, -1
	s_mov_b32 s1, 0
	s_lshl_b64 s[0:1], s[0:1], 3
	s_add_u32 s0, s10, s0
	s_addc_u32 s1, s11, s1
	s_load_dwordx2 s[12:13], s[0:1], 0x0
.LBB224_13:
	s_add_i32 s0, s15, -1
	s_waitcnt lgkmcnt(0)
	v_mov_b32_e32 v4, s12
	v_mov_b32_e32 v5, s13
	;; [unrolled: 1-line block ×3, first 2 shown]
	s_mov_b32 s1, 0
	s_cmp_ge_u32 s2, s0
	s_mov_b32 s12, 0
	s_mov_b32 s13, 0
	ds_write_b64 v3, v[4:5]
	s_cbranch_scc1 .LBB224_15
; %bb.14:
	s_lshl_b32 s0, s3, 1
	s_add_i32 s0, s2, s0
	s_add_i32 s12, s0, 1
	s_lshl_b64 s[12:13], s[12:13], 3
	s_add_u32 s16, s10, s12
	s_addc_u32 s17, s11, s13
	s_load_dwordx2 s[12:13], s[16:17], 0x0
.LBB224_15:
	s_lshl_b32 s0, s3, 1
	s_add_i32 s0, s0, s2
	s_lshl_b64 s[2:3], s[0:1], 3
	s_add_u32 s2, s10, s2
	s_addc_u32 s3, s11, s3
	s_add_i32 s0, s0, s15
	s_lshl_b64 s[0:1], s[0:1], 3
	s_add_u32 s0, s10, s0
	s_addc_u32 s1, s11, s1
	s_load_dwordx2 s[10:11], s[0:1], 0x0
	s_load_dwordx2 s[16:17], s[2:3], 0x0
	s_waitcnt lgkmcnt(0)
	v_mov_b32_e32 v4, s12
	v_mov_b32_e32 v5, s13
	ds_write_b64 v3, v[4:5] offset:4104
	v_mov_b32_e32 v4, s10
	v_mov_b32_e32 v5, s11
	;; [unrolled: 1-line block ×4, first 2 shown]
	ds_write_b128 v3, v[4:7] offset:2048
.LBB224_16:
	s_or_b64 exec, exec, s[8:9]
	s_waitcnt lgkmcnt(0)
	s_barrier
	s_and_saveexec_b64 s[0:1], s[4:5]
	s_cbranch_execz .LBB224_18
; %bb.17:
	s_movk_i32 s2, 0x1410
	v_add_u32_e64 v3, s2, 0
	ds_read2_b64 v[4:7], v3 offset1:255
	v_add_u32_e64 v8, 8, 0
	s_movk_i32 s2, 0x2410
	v_mov_b32_e32 v3, 0
	ds_read2st64_b64 v[8:11], v8 offset0:6 offset1:8
	ds_read2st64_b64 v[12:15], v3 offset1:2
	v_add_u32_e64 v16, s2, 0
	ds_read2_b64 v[16:19], v16 offset1:255
	s_waitcnt lgkmcnt(3)
	v_xor_b32_e32 v20, 0x80000000, v7
	v_mov_b32_e32 v21, v6
	s_waitcnt lgkmcnt(2)
	v_pk_mul_f32 v[20:21], v[10:11], v[20:21] op_sel:[1,0]
	s_nop 0
	v_pk_fma_f32 v[6:7], v[6:7], v[10:11], v[20:21] op_sel_hi:[1,0,1]
	s_waitcnt lgkmcnt(1)
	v_pk_add_f32 v[6:7], v[14:15], v[6:7] neg_lo:[0,1] neg_hi:[0,1]
	s_waitcnt lgkmcnt(0)
	v_xor_b32_e32 v14, 0x80000000, v19
	v_mov_b32_e32 v15, v18
	v_pk_mul_f32 v[14:15], v[12:13], v[14:15] op_sel:[1,0]
	s_nop 0
	v_pk_fma_f32 v[14:15], v[18:19], v[12:13], v[14:15] op_sel_hi:[1,0,1]
	s_nop 0
	v_pk_add_f32 v[6:7], v[6:7], v[14:15] neg_lo:[0,1] neg_hi:[0,1]
	ds_write_b64 v3, v[6:7] offset:1024
	v_xor_b32_e32 v6, 0x80000000, v5
	v_mov_b32_e32 v7, v4
	v_pk_mul_f32 v[6:7], v[10:11], v[6:7] op_sel:[1,0]
	s_nop 0
	v_pk_fma_f32 v[4:5], v[4:5], v[10:11], v[6:7] op_sel_hi:[1,0,1]
	v_xor_b32_e32 v6, 0x80000000, v17
	v_mov_b32_e32 v7, v16
	v_pk_mul_f32 v[6:7], v[12:13], v[6:7] op_sel:[1,0]
	v_pk_add_f32 v[4:5], v[8:9], v[4:5] neg_lo:[0,1] neg_hi:[0,1]
	v_pk_fma_f32 v[6:7], v[16:17], v[12:13], v[6:7] op_sel_hi:[1,0,1]
	s_nop 0
	v_pk_add_f32 v[4:5], v[4:5], v[6:7] neg_lo:[0,1] neg_hi:[0,1]
	ds_write_b64 v3, v[4:5] offset:3080
.LBB224_18:
	s_or_b64 exec, exec, s[0:1]
	v_cmp_gt_u32_e64 s[0:1], 2, v0
	s_waitcnt lgkmcnt(0)
	s_barrier
	s_and_saveexec_b64 s[2:3], s[0:1]
	s_cbranch_execz .LBB224_20
; %bb.19:
	v_lshlrev_b32_e32 v3, 10, v0
	v_add_u32_e32 v4, 0x1210, v3
	ds_read2_b64 v[4:7], v4 offset1:255
	v_add_u32_e32 v12, 8, v3
	ds_read2st64_b64 v[8:11], v3 offset1:1
	ds_read2st64_b64 v[12:15], v12 offset0:5 offset1:6
	v_add_u32_e32 v16, 0x2210, v3
	ds_read2_b64 v[16:19], v16 offset1:255
	s_waitcnt lgkmcnt(3)
	v_xor_b32_e32 v20, 0x80000000, v7
	v_mov_b32_e32 v21, v6
	s_waitcnt lgkmcnt(1)
	v_pk_mul_f32 v[20:21], v[14:15], v[20:21] op_sel:[1,0]
	s_nop 0
	v_pk_fma_f32 v[6:7], v[6:7], v[14:15], v[20:21] op_sel_hi:[1,0,1]
	s_nop 0
	v_pk_add_f32 v[6:7], v[10:11], v[6:7] neg_lo:[0,1] neg_hi:[0,1]
	s_waitcnt lgkmcnt(0)
	v_xor_b32_e32 v10, 0x80000000, v19
	v_mov_b32_e32 v11, v18
	v_pk_mul_f32 v[10:11], v[8:9], v[10:11] op_sel:[1,0]
	s_nop 0
	v_pk_fma_f32 v[10:11], v[18:19], v[8:9], v[10:11] op_sel_hi:[1,0,1]
	s_nop 0
	v_pk_add_f32 v[6:7], v[6:7], v[10:11] neg_lo:[0,1] neg_hi:[0,1]
	ds_write_b64 v3, v[6:7] offset:512
	v_xor_b32_e32 v6, 0x80000000, v5
	v_mov_b32_e32 v7, v4
	v_pk_mul_f32 v[6:7], v[14:15], v[6:7] op_sel:[1,0]
	s_nop 0
	v_pk_fma_f32 v[4:5], v[4:5], v[14:15], v[6:7] op_sel_hi:[1,0,1]
	v_xor_b32_e32 v6, 0x80000000, v17
	v_mov_b32_e32 v7, v16
	v_pk_mul_f32 v[6:7], v[8:9], v[6:7] op_sel:[1,0]
	v_pk_add_f32 v[4:5], v[12:13], v[4:5] neg_lo:[0,1] neg_hi:[0,1]
	v_pk_fma_f32 v[6:7], v[16:17], v[8:9], v[6:7] op_sel_hi:[1,0,1]
	s_nop 0
	v_pk_add_f32 v[4:5], v[4:5], v[6:7] neg_lo:[0,1] neg_hi:[0,1]
	ds_write_b64 v3, v[4:5] offset:2568
.LBB224_20:
	s_or_b64 exec, exec, s[2:3]
	v_cmp_gt_u32_e64 s[0:1], 4, v0
	s_waitcnt lgkmcnt(0)
	s_barrier
	s_and_saveexec_b64 s[2:3], s[0:1]
	s_cbranch_execz .LBB224_22
; %bb.21:
	v_lshlrev_b32_e32 v3, 9, v0
	v_add_u32_e32 v4, 0x1110, v3
	ds_read2_b64 v[4:7], v4 offset1:255
	v_add_u32_e32 v12, 0x800, v3
	ds_read2_b64 v[8:11], v3 offset1:32
	ds_read2_b64 v[12:15], v12 offset0:33 offset1:65
	v_add_u32_e32 v16, 0x2110, v3
	ds_read2_b64 v[16:19], v16 offset1:255
	s_waitcnt lgkmcnt(3)
	v_xor_b32_e32 v20, 0x80000000, v7
	v_mov_b32_e32 v21, v6
	s_waitcnt lgkmcnt(1)
	v_pk_mul_f32 v[20:21], v[14:15], v[20:21] op_sel:[1,0]
	s_nop 0
	v_pk_fma_f32 v[6:7], v[6:7], v[14:15], v[20:21] op_sel_hi:[1,0,1]
	s_nop 0
	v_pk_add_f32 v[6:7], v[10:11], v[6:7] neg_lo:[0,1] neg_hi:[0,1]
	s_waitcnt lgkmcnt(0)
	v_xor_b32_e32 v10, 0x80000000, v19
	v_mov_b32_e32 v11, v18
	v_pk_mul_f32 v[10:11], v[8:9], v[10:11] op_sel:[1,0]
	s_nop 0
	v_pk_fma_f32 v[10:11], v[18:19], v[8:9], v[10:11] op_sel_hi:[1,0,1]
	s_nop 0
	v_pk_add_f32 v[6:7], v[6:7], v[10:11] neg_lo:[0,1] neg_hi:[0,1]
	ds_write_b64 v3, v[6:7] offset:256
	v_xor_b32_e32 v6, 0x80000000, v5
	v_mov_b32_e32 v7, v4
	v_pk_mul_f32 v[6:7], v[14:15], v[6:7] op_sel:[1,0]
	s_nop 0
	v_pk_fma_f32 v[4:5], v[4:5], v[14:15], v[6:7] op_sel_hi:[1,0,1]
	v_xor_b32_e32 v6, 0x80000000, v17
	v_mov_b32_e32 v7, v16
	v_pk_mul_f32 v[6:7], v[8:9], v[6:7] op_sel:[1,0]
	v_pk_add_f32 v[4:5], v[12:13], v[4:5] neg_lo:[0,1] neg_hi:[0,1]
	v_pk_fma_f32 v[6:7], v[16:17], v[8:9], v[6:7] op_sel_hi:[1,0,1]
	s_nop 0
	v_pk_add_f32 v[4:5], v[4:5], v[6:7] neg_lo:[0,1] neg_hi:[0,1]
	ds_write_b64 v3, v[4:5] offset:2312
.LBB224_22:
	s_or_b64 exec, exec, s[2:3]
	v_cmp_gt_u32_e64 s[0:1], 8, v0
	s_waitcnt lgkmcnt(0)
	s_barrier
	s_and_saveexec_b64 s[2:3], s[0:1]
	s_cbranch_execz .LBB224_24
; %bb.23:
	v_lshlrev_b32_e32 v3, 8, v0
	v_add_u32_e32 v4, 0x1090, v3
	ds_read2_b64 v[4:7], v4 offset1:255
	v_add_u32_e32 v12, 0x800, v3
	ds_read2_b64 v[8:11], v3 offset1:16
	ds_read2_b64 v[12:15], v12 offset0:17 offset1:33
	v_add_u32_e32 v16, 0x2090, v3
	ds_read2_b64 v[16:19], v16 offset1:255
	s_waitcnt lgkmcnt(3)
	v_xor_b32_e32 v20, 0x80000000, v7
	v_mov_b32_e32 v21, v6
	s_waitcnt lgkmcnt(1)
	v_pk_mul_f32 v[20:21], v[14:15], v[20:21] op_sel:[1,0]
	s_nop 0
	v_pk_fma_f32 v[6:7], v[6:7], v[14:15], v[20:21] op_sel_hi:[1,0,1]
	s_nop 0
	v_pk_add_f32 v[6:7], v[10:11], v[6:7] neg_lo:[0,1] neg_hi:[0,1]
	s_waitcnt lgkmcnt(0)
	v_xor_b32_e32 v10, 0x80000000, v19
	v_mov_b32_e32 v11, v18
	v_pk_mul_f32 v[10:11], v[8:9], v[10:11] op_sel:[1,0]
	s_nop 0
	v_pk_fma_f32 v[10:11], v[18:19], v[8:9], v[10:11] op_sel_hi:[1,0,1]
	s_nop 0
	v_pk_add_f32 v[6:7], v[6:7], v[10:11] neg_lo:[0,1] neg_hi:[0,1]
	ds_write_b64 v3, v[6:7] offset:128
	v_xor_b32_e32 v6, 0x80000000, v5
	v_mov_b32_e32 v7, v4
	v_pk_mul_f32 v[6:7], v[14:15], v[6:7] op_sel:[1,0]
	s_nop 0
	v_pk_fma_f32 v[4:5], v[4:5], v[14:15], v[6:7] op_sel_hi:[1,0,1]
	v_xor_b32_e32 v6, 0x80000000, v17
	v_mov_b32_e32 v7, v16
	v_pk_mul_f32 v[6:7], v[8:9], v[6:7] op_sel:[1,0]
	v_pk_add_f32 v[4:5], v[12:13], v[4:5] neg_lo:[0,1] neg_hi:[0,1]
	v_pk_fma_f32 v[6:7], v[16:17], v[8:9], v[6:7] op_sel_hi:[1,0,1]
	s_nop 0
	v_pk_add_f32 v[4:5], v[4:5], v[6:7] neg_lo:[0,1] neg_hi:[0,1]
	ds_write_b64 v3, v[4:5] offset:2184
.LBB224_24:
	;; [unrolled: 47-line block ×5, first 2 shown]
	s_or_b64 exec, exec, s[2:3]
	s_movk_i32 s0, 0x80
	v_cmp_gt_u32_e64 s[0:1], s0, v0
	s_waitcnt lgkmcnt(0)
	s_barrier
	s_and_saveexec_b64 s[2:3], s[0:1]
	s_cbranch_execz .LBB224_32
; %bb.31:
	v_lshlrev_b32_e32 v3, 4, v0
	v_add_u32_e32 v0, 0x1018, v3
	ds_read_b128 v[4:7], v3 offset:2064
	ds_read2_b64 v[8:11], v0 offset1:255
	ds_read_b128 v[12:15], v3
	v_add_u32_e32 v16, 0x2018, v3
	ds_read2_b64 v[16:19], v16 offset1:255
	s_waitcnt lgkmcnt(3)
	v_mov_b32_e32 v0, v7
	s_waitcnt lgkmcnt(2)
	v_xor_b32_e32 v20, 0x80000000, v11
	v_mov_b32_e32 v21, v10
	v_pk_mul_f32 v[20:21], v[0:1], v[20:21] op_sel_hi:[0,1]
	v_pk_fma_f32 v[10:11], v[10:11], v[6:7], v[20:21] op_sel_hi:[1,0,1]
	s_waitcnt lgkmcnt(1)
	v_pk_add_f32 v[10:11], v[14:15], v[10:11] neg_lo:[0,1] neg_hi:[0,1]
	s_waitcnt lgkmcnt(0)
	v_xor_b32_e32 v14, 0x80000000, v19
	v_mov_b32_e32 v15, v18
	v_pk_mul_f32 v[14:15], v[12:13], v[14:15] op_sel:[1,0]
	s_nop 0
	v_pk_fma_f32 v[14:15], v[18:19], v[12:13], v[14:15] op_sel_hi:[1,0,1]
	s_nop 0
	v_pk_add_f32 v[10:11], v[10:11], v[14:15] neg_lo:[0,1] neg_hi:[0,1]
	ds_write_b64 v3, v[10:11] offset:8
	v_xor_b32_e32 v10, 0x80000000, v9
	v_mov_b32_e32 v11, v8
	v_pk_mul_f32 v[10:11], v[0:1], v[10:11] op_sel_hi:[0,1]
	v_pk_fma_f32 v[6:7], v[8:9], v[6:7], v[10:11] op_sel_hi:[1,0,1]
	s_nop 0
	v_pk_add_f32 v[4:5], v[4:5], v[6:7] neg_lo:[0,1] neg_hi:[0,1]
	v_xor_b32_e32 v6, 0x80000000, v17
	v_mov_b32_e32 v7, v16
	v_pk_mul_f32 v[6:7], v[12:13], v[6:7] op_sel:[1,0]
	s_nop 0
	v_pk_fma_f32 v[6:7], v[16:17], v[12:13], v[6:7] op_sel_hi:[1,0,1]
	s_nop 0
	v_pk_add_f32 v[4:5], v[4:5], v[6:7] neg_lo:[0,1] neg_hi:[0,1]
	ds_write_b64 v3, v[4:5] offset:2064
.LBB224_32:
	s_or_b64 exec, exec, s[2:3]
	s_waitcnt lgkmcnt(0)
	s_barrier
	s_and_saveexec_b64 s[0:1], vcc
	s_cbranch_execz .LBB224_34
; %bb.33:
	v_add_u32_e32 v0, 8, v1
	ds_read2st64_b64 v[4:7], v0 offset1:4
	v_ashrrev_i32_e32 v3, 31, v2
	v_lshl_add_u64 v[0:1], v[2:3], 3, s[6:7]
	v_mad_u64_u32 v[2:3], s[0:1], s14, 15, v[2:3]
	v_mov_b32_e32 v3, 0
	s_waitcnt lgkmcnt(0)
	global_store_dwordx2 v[0:1], v[6:7], off
	v_lshl_add_u64 v[0:1], v[2:3], 3, s[6:7]
	global_store_dwordx2 v[0:1], v[4:5], off
.LBB224_34:
	s_endpgm
	.section	.rodata,"a",@progbits
	.p2align	6, 0x0
	.amdhsa_kernel _ZN9rocsparseL33gtsv_solve_spike_propagate_kernelILj256ELj16E21rocsparse_complex_numIfEEEviiiPT1_PKS3_S6_S6_
		.amdhsa_group_segment_fixed_size 12304
		.amdhsa_private_segment_fixed_size 0
		.amdhsa_kernarg_size 304
		.amdhsa_user_sgpr_count 2
		.amdhsa_user_sgpr_dispatch_ptr 0
		.amdhsa_user_sgpr_queue_ptr 0
		.amdhsa_user_sgpr_kernarg_segment_ptr 1
		.amdhsa_user_sgpr_dispatch_id 0
		.amdhsa_user_sgpr_kernarg_preload_length 0
		.amdhsa_user_sgpr_kernarg_preload_offset 0
		.amdhsa_user_sgpr_private_segment_size 0
		.amdhsa_uses_dynamic_stack 0
		.amdhsa_enable_private_segment 0
		.amdhsa_system_sgpr_workgroup_id_x 1
		.amdhsa_system_sgpr_workgroup_id_y 1
		.amdhsa_system_sgpr_workgroup_id_z 0
		.amdhsa_system_sgpr_workgroup_info 0
		.amdhsa_system_vgpr_workitem_id 0
		.amdhsa_next_free_vgpr 22
		.amdhsa_next_free_sgpr 18
		.amdhsa_accum_offset 24
		.amdhsa_reserve_vcc 1
		.amdhsa_float_round_mode_32 0
		.amdhsa_float_round_mode_16_64 0
		.amdhsa_float_denorm_mode_32 3
		.amdhsa_float_denorm_mode_16_64 3
		.amdhsa_dx10_clamp 1
		.amdhsa_ieee_mode 1
		.amdhsa_fp16_overflow 0
		.amdhsa_tg_split 0
		.amdhsa_exception_fp_ieee_invalid_op 0
		.amdhsa_exception_fp_denorm_src 0
		.amdhsa_exception_fp_ieee_div_zero 0
		.amdhsa_exception_fp_ieee_overflow 0
		.amdhsa_exception_fp_ieee_underflow 0
		.amdhsa_exception_fp_ieee_inexact 0
		.amdhsa_exception_int_div_zero 0
	.end_amdhsa_kernel
	.section	.text._ZN9rocsparseL33gtsv_solve_spike_propagate_kernelILj256ELj16E21rocsparse_complex_numIfEEEviiiPT1_PKS3_S6_S6_,"axG",@progbits,_ZN9rocsparseL33gtsv_solve_spike_propagate_kernelILj256ELj16E21rocsparse_complex_numIfEEEviiiPT1_PKS3_S6_S6_,comdat
.Lfunc_end224:
	.size	_ZN9rocsparseL33gtsv_solve_spike_propagate_kernelILj256ELj16E21rocsparse_complex_numIfEEEviiiPT1_PKS3_S6_S6_, .Lfunc_end224-_ZN9rocsparseL33gtsv_solve_spike_propagate_kernelILj256ELj16E21rocsparse_complex_numIfEEEviiiPT1_PKS3_S6_S6_
                                        ; -- End function
	.set _ZN9rocsparseL33gtsv_solve_spike_propagate_kernelILj256ELj16E21rocsparse_complex_numIfEEEviiiPT1_PKS3_S6_S6_.num_vgpr, 22
	.set _ZN9rocsparseL33gtsv_solve_spike_propagate_kernelILj256ELj16E21rocsparse_complex_numIfEEEviiiPT1_PKS3_S6_S6_.num_agpr, 0
	.set _ZN9rocsparseL33gtsv_solve_spike_propagate_kernelILj256ELj16E21rocsparse_complex_numIfEEEviiiPT1_PKS3_S6_S6_.numbered_sgpr, 18
	.set _ZN9rocsparseL33gtsv_solve_spike_propagate_kernelILj256ELj16E21rocsparse_complex_numIfEEEviiiPT1_PKS3_S6_S6_.num_named_barrier, 0
	.set _ZN9rocsparseL33gtsv_solve_spike_propagate_kernelILj256ELj16E21rocsparse_complex_numIfEEEviiiPT1_PKS3_S6_S6_.private_seg_size, 0
	.set _ZN9rocsparseL33gtsv_solve_spike_propagate_kernelILj256ELj16E21rocsparse_complex_numIfEEEviiiPT1_PKS3_S6_S6_.uses_vcc, 1
	.set _ZN9rocsparseL33gtsv_solve_spike_propagate_kernelILj256ELj16E21rocsparse_complex_numIfEEEviiiPT1_PKS3_S6_S6_.uses_flat_scratch, 0
	.set _ZN9rocsparseL33gtsv_solve_spike_propagate_kernelILj256ELj16E21rocsparse_complex_numIfEEEviiiPT1_PKS3_S6_S6_.has_dyn_sized_stack, 0
	.set _ZN9rocsparseL33gtsv_solve_spike_propagate_kernelILj256ELj16E21rocsparse_complex_numIfEEEviiiPT1_PKS3_S6_S6_.has_recursion, 0
	.set _ZN9rocsparseL33gtsv_solve_spike_propagate_kernelILj256ELj16E21rocsparse_complex_numIfEEEviiiPT1_PKS3_S6_S6_.has_indirect_call, 0
	.section	.AMDGPU.csdata,"",@progbits
; Kernel info:
; codeLenInByte = 3040
; TotalNumSgprs: 24
; NumVgprs: 22
; NumAgprs: 0
; TotalNumVgprs: 22
; ScratchSize: 0
; MemoryBound: 0
; FloatMode: 240
; IeeeMode: 1
; LDSByteSize: 12304 bytes/workgroup (compile time only)
; SGPRBlocks: 2
; VGPRBlocks: 2
; NumSGPRsForWavesPerEU: 24
; NumVGPRsForWavesPerEU: 22
; AccumOffset: 24
; Occupancy: 8
; WaveLimiterHint : 0
; COMPUTE_PGM_RSRC2:SCRATCH_EN: 0
; COMPUTE_PGM_RSRC2:USER_SGPR: 2
; COMPUTE_PGM_RSRC2:TRAP_HANDLER: 0
; COMPUTE_PGM_RSRC2:TGID_X_EN: 1
; COMPUTE_PGM_RSRC2:TGID_Y_EN: 1
; COMPUTE_PGM_RSRC2:TGID_Z_EN: 0
; COMPUTE_PGM_RSRC2:TIDIG_COMP_CNT: 0
; COMPUTE_PGM_RSRC3_GFX90A:ACCUM_OFFSET: 5
; COMPUTE_PGM_RSRC3_GFX90A:TG_SPLIT: 0
	.section	.text._ZN9rocsparseL39gtsv_spike_backward_substitution_kernelILj256ELj16E21rocsparse_complex_numIfEEEviiiPT1_PKS3_S6_,"axG",@progbits,_ZN9rocsparseL39gtsv_spike_backward_substitution_kernelILj256ELj16E21rocsparse_complex_numIfEEEviiiPT1_PKS3_S6_,comdat
	.globl	_ZN9rocsparseL39gtsv_spike_backward_substitution_kernelILj256ELj16E21rocsparse_complex_numIfEEEviiiPT1_PKS3_S6_ ; -- Begin function _ZN9rocsparseL39gtsv_spike_backward_substitution_kernelILj256ELj16E21rocsparse_complex_numIfEEEviiiPT1_PKS3_S6_
	.p2align	8
	.type	_ZN9rocsparseL39gtsv_spike_backward_substitution_kernelILj256ELj16E21rocsparse_complex_numIfEEEviiiPT1_PKS3_S6_,@function
_ZN9rocsparseL39gtsv_spike_backward_substitution_kernelILj256ELj16E21rocsparse_complex_numIfEEEviiiPT1_PKS3_S6_: ; @_ZN9rocsparseL39gtsv_spike_backward_substitution_kernelILj256ELj16E21rocsparse_complex_numIfEEEviiiPT1_PKS3_S6_
; %bb.0:
	s_load_dword s6, s[0:1], 0x0
	s_lshl_b32 s10, s2, 8
	v_or_b32_e32 v10, s10, v0
	s_waitcnt lgkmcnt(0)
	s_lshr_b32 s11, s6, 4
	v_cmp_gt_i32_e32 vcc, s11, v10
	s_and_saveexec_b64 s[4:5], vcc
	s_cbranch_execz .LBB225_7
; %bb.1:
	s_load_dwordx2 s[8:9], s[0:1], 0x10
	v_cmp_lt_i32_e32 vcc, 0, v10
	v_mov_b32_e32 v2, 0
	s_mul_i32 s2, s6, s3
	v_mov_b32_e32 v4, 0
	s_and_saveexec_b64 s[4:5], vcc
	s_cbranch_execz .LBB225_3
; %bb.2:
	s_mul_i32 s7, s11, 15
	s_mul_i32 s3, s6, s3
	s_add_i32 s7, s7, s3
	v_add3_u32 v2, v10, s7, -1
	v_mov_b32_e32 v3, 0
	s_waitcnt lgkmcnt(0)
	v_lshl_add_u64 v[2:3], v[2:3], 3, s[8:9]
	global_load_dwordx2 v[2:3], v[2:3], off
	s_waitcnt vmcnt(0)
	v_mov_b32_e32 v4, v3
.LBB225_3:
	s_or_b64 exec, exec, s[4:5]
	v_add_u32_e32 v1, 16, v10
	v_cmp_le_u32_e32 vcc, s6, v1
	s_and_saveexec_b64 s[4:5], vcc
	s_xor_b64 s[4:5], exec, s[4:5]
	s_or_saveexec_b64 s[4:5], s[4:5]
	v_mov_b32_e32 v6, 0
	v_mov_b32_e32 v12, s2
	;; [unrolled: 1-line block ×3, first 2 shown]
	s_xor_b64 exec, exec, s[4:5]
	s_cbranch_execz .LBB225_5
; %bb.4:
	s_ashr_i32 s3, s2, 31
	v_ashrrev_i32_e32 v11, 31, v10
	v_lshl_add_u64 v[6:7], v[10:11], 0, s[2:3]
	s_waitcnt lgkmcnt(0)
	v_lshl_add_u64 v[6:7], v[6:7], 3, s[8:9]
	global_load_dwordx2 v[6:7], v[6:7], off offset:8
	v_mov_b32_e32 v12, s2
	s_waitcnt vmcnt(0)
	v_mov_b32_e32 v8, v7
.LBB225_5:
	s_or_b64 exec, exec, s[4:5]
	s_load_dwordx4 s[4:7], s[0:1], 0x18
	s_lshl_b32 s0, s11, 1
	s_add_i32 s10, s10, s11
	v_mov_b32_e32 v7, v6
	v_mov_b32_e32 v3, v2
	;; [unrolled: 1-line block ×4, first 2 shown]
	v_add_u32_e32 v10, s0, v10
	v_add_u32_e32 v0, s10, v0
	s_mov_b32 s1, 14
.LBB225_6:                              ; =>This Inner Loop Header: Depth=1
	v_ashrrev_i32_e32 v1, 31, v0
	v_lshlrev_b64 v[16:17], 3, v[0:1]
	v_add_u32_e32 v14, v12, v0
	s_waitcnt lgkmcnt(0)
	v_lshl_add_u64 v[18:19], s[4:5], 0, v[16:17]
	v_ashrrev_i32_e32 v15, 31, v14
	v_lshl_add_u64 v[16:17], s[6:7], 0, v[16:17]
	global_load_dwordx2 v[20:21], v[18:19], off
	global_load_dwordx2 v[22:23], v[16:17], off
	v_lshl_add_u64 v[14:15], v[14:15], 3, s[8:9]
	global_load_dwordx2 v[16:17], v[14:15], off
	v_ashrrev_i32_e32 v11, 31, v10
	v_lshlrev_b64 v[24:25], 3, v[10:11]
	v_lshl_add_u64 v[26:27], s[4:5], 0, v[24:25]
	v_lshl_add_u64 v[24:25], s[6:7], 0, v[24:25]
	global_load_dwordx2 v[28:29], v[26:27], off
	global_load_dwordx2 v[30:31], v[24:25], off
	v_add_u32_e32 v18, v12, v10
	v_ashrrev_i32_e32 v19, 31, v18
	v_lshl_add_u64 v[18:19], v[18:19], 3, s[8:9]
	s_add_i32 s1, s1, -2
	v_add_u32_e32 v10, s0, v10
	v_add_u32_e32 v0, s0, v0
	s_cmp_lg_u32 s1, 0
	s_waitcnt vmcnt(4)
	v_xor_b32_e32 v24, 0x80000000, v21
	v_mov_b32_e32 v25, v20
	s_waitcnt vmcnt(3)
	v_xor_b32_e32 v26, 0x80000000, v23
	v_mov_b32_e32 v27, v22
	v_pk_mul_f32 v[24:25], v[4:5], v[24:25]
	v_pk_mul_f32 v[26:27], v[8:9], v[26:27]
	v_pk_fma_f32 v[20:21], v[20:21], v[2:3], v[24:25]
	v_pk_fma_f32 v[22:23], v[22:23], v[6:7], v[26:27]
	s_waitcnt vmcnt(2)
	v_pk_add_f32 v[16:17], v[16:17], v[20:21] neg_lo:[0,1] neg_hi:[0,1]
	s_waitcnt vmcnt(0)
	v_xor_b32_e32 v20, 0x80000000, v31
	v_pk_add_f32 v[16:17], v[16:17], v[22:23] neg_lo:[0,1] neg_hi:[0,1]
	global_store_dwordx2 v[14:15], v[16:17], off
	global_load_dwordx2 v[14:15], v[18:19], off
	v_xor_b32_e32 v16, 0x80000000, v29
	v_mov_b32_e32 v17, v28
	v_mov_b32_e32 v21, v30
	v_pk_mul_f32 v[16:17], v[4:5], v[16:17]
	v_pk_mul_f32 v[20:21], v[8:9], v[20:21]
	v_pk_fma_f32 v[16:17], v[28:29], v[2:3], v[16:17]
	v_pk_fma_f32 v[20:21], v[30:31], v[6:7], v[20:21]
	s_waitcnt vmcnt(0)
	v_pk_add_f32 v[14:15], v[14:15], v[16:17] neg_lo:[0,1] neg_hi:[0,1]
	s_nop 0
	v_pk_add_f32 v[14:15], v[14:15], v[20:21] neg_lo:[0,1] neg_hi:[0,1]
	global_store_dwordx2 v[18:19], v[14:15], off
	s_cbranch_scc1 .LBB225_6
.LBB225_7:
	s_endpgm
	.section	.rodata,"a",@progbits
	.p2align	6, 0x0
	.amdhsa_kernel _ZN9rocsparseL39gtsv_spike_backward_substitution_kernelILj256ELj16E21rocsparse_complex_numIfEEEviiiPT1_PKS3_S6_
		.amdhsa_group_segment_fixed_size 0
		.amdhsa_private_segment_fixed_size 0
		.amdhsa_kernarg_size 40
		.amdhsa_user_sgpr_count 2
		.amdhsa_user_sgpr_dispatch_ptr 0
		.amdhsa_user_sgpr_queue_ptr 0
		.amdhsa_user_sgpr_kernarg_segment_ptr 1
		.amdhsa_user_sgpr_dispatch_id 0
		.amdhsa_user_sgpr_kernarg_preload_length 0
		.amdhsa_user_sgpr_kernarg_preload_offset 0
		.amdhsa_user_sgpr_private_segment_size 0
		.amdhsa_uses_dynamic_stack 0
		.amdhsa_enable_private_segment 0
		.amdhsa_system_sgpr_workgroup_id_x 1
		.amdhsa_system_sgpr_workgroup_id_y 1
		.amdhsa_system_sgpr_workgroup_id_z 0
		.amdhsa_system_sgpr_workgroup_info 0
		.amdhsa_system_vgpr_workitem_id 0
		.amdhsa_next_free_vgpr 32
		.amdhsa_next_free_sgpr 12
		.amdhsa_accum_offset 32
		.amdhsa_reserve_vcc 1
		.amdhsa_float_round_mode_32 0
		.amdhsa_float_round_mode_16_64 0
		.amdhsa_float_denorm_mode_32 3
		.amdhsa_float_denorm_mode_16_64 3
		.amdhsa_dx10_clamp 1
		.amdhsa_ieee_mode 1
		.amdhsa_fp16_overflow 0
		.amdhsa_tg_split 0
		.amdhsa_exception_fp_ieee_invalid_op 0
		.amdhsa_exception_fp_denorm_src 0
		.amdhsa_exception_fp_ieee_div_zero 0
		.amdhsa_exception_fp_ieee_overflow 0
		.amdhsa_exception_fp_ieee_underflow 0
		.amdhsa_exception_fp_ieee_inexact 0
		.amdhsa_exception_int_div_zero 0
	.end_amdhsa_kernel
	.section	.text._ZN9rocsparseL39gtsv_spike_backward_substitution_kernelILj256ELj16E21rocsparse_complex_numIfEEEviiiPT1_PKS3_S6_,"axG",@progbits,_ZN9rocsparseL39gtsv_spike_backward_substitution_kernelILj256ELj16E21rocsparse_complex_numIfEEEviiiPT1_PKS3_S6_,comdat
.Lfunc_end225:
	.size	_ZN9rocsparseL39gtsv_spike_backward_substitution_kernelILj256ELj16E21rocsparse_complex_numIfEEEviiiPT1_PKS3_S6_, .Lfunc_end225-_ZN9rocsparseL39gtsv_spike_backward_substitution_kernelILj256ELj16E21rocsparse_complex_numIfEEEviiiPT1_PKS3_S6_
                                        ; -- End function
	.set _ZN9rocsparseL39gtsv_spike_backward_substitution_kernelILj256ELj16E21rocsparse_complex_numIfEEEviiiPT1_PKS3_S6_.num_vgpr, 32
	.set _ZN9rocsparseL39gtsv_spike_backward_substitution_kernelILj256ELj16E21rocsparse_complex_numIfEEEviiiPT1_PKS3_S6_.num_agpr, 0
	.set _ZN9rocsparseL39gtsv_spike_backward_substitution_kernelILj256ELj16E21rocsparse_complex_numIfEEEviiiPT1_PKS3_S6_.numbered_sgpr, 12
	.set _ZN9rocsparseL39gtsv_spike_backward_substitution_kernelILj256ELj16E21rocsparse_complex_numIfEEEviiiPT1_PKS3_S6_.num_named_barrier, 0
	.set _ZN9rocsparseL39gtsv_spike_backward_substitution_kernelILj256ELj16E21rocsparse_complex_numIfEEEviiiPT1_PKS3_S6_.private_seg_size, 0
	.set _ZN9rocsparseL39gtsv_spike_backward_substitution_kernelILj256ELj16E21rocsparse_complex_numIfEEEviiiPT1_PKS3_S6_.uses_vcc, 1
	.set _ZN9rocsparseL39gtsv_spike_backward_substitution_kernelILj256ELj16E21rocsparse_complex_numIfEEEviiiPT1_PKS3_S6_.uses_flat_scratch, 0
	.set _ZN9rocsparseL39gtsv_spike_backward_substitution_kernelILj256ELj16E21rocsparse_complex_numIfEEEviiiPT1_PKS3_S6_.has_dyn_sized_stack, 0
	.set _ZN9rocsparseL39gtsv_spike_backward_substitution_kernelILj256ELj16E21rocsparse_complex_numIfEEEviiiPT1_PKS3_S6_.has_recursion, 0
	.set _ZN9rocsparseL39gtsv_spike_backward_substitution_kernelILj256ELj16E21rocsparse_complex_numIfEEEviiiPT1_PKS3_S6_.has_indirect_call, 0
	.section	.AMDGPU.csdata,"",@progbits
; Kernel info:
; codeLenInByte = 608
; TotalNumSgprs: 18
; NumVgprs: 32
; NumAgprs: 0
; TotalNumVgprs: 32
; ScratchSize: 0
; MemoryBound: 0
; FloatMode: 240
; IeeeMode: 1
; LDSByteSize: 0 bytes/workgroup (compile time only)
; SGPRBlocks: 2
; VGPRBlocks: 3
; NumSGPRsForWavesPerEU: 18
; NumVGPRsForWavesPerEU: 32
; AccumOffset: 32
; Occupancy: 8
; WaveLimiterHint : 0
; COMPUTE_PGM_RSRC2:SCRATCH_EN: 0
; COMPUTE_PGM_RSRC2:USER_SGPR: 2
; COMPUTE_PGM_RSRC2:TRAP_HANDLER: 0
; COMPUTE_PGM_RSRC2:TGID_X_EN: 1
; COMPUTE_PGM_RSRC2:TGID_Y_EN: 1
; COMPUTE_PGM_RSRC2:TGID_Z_EN: 0
; COMPUTE_PGM_RSRC2:TIDIG_COMP_CNT: 0
; COMPUTE_PGM_RSRC3_GFX90A:ACCUM_OFFSET: 7
; COMPUTE_PGM_RSRC3_GFX90A:TG_SPLIT: 0
	.section	.text._ZN9rocsparseL32gtsv_transpose_back_array_kernelILj256ELj16E21rocsparse_complex_numIfEEEviiiPKT1_PS3_,"axG",@progbits,_ZN9rocsparseL32gtsv_transpose_back_array_kernelILj256ELj16E21rocsparse_complex_numIfEEEviiiPKT1_PS3_,comdat
	.globl	_ZN9rocsparseL32gtsv_transpose_back_array_kernelILj256ELj16E21rocsparse_complex_numIfEEEviiiPKT1_PS3_ ; -- Begin function _ZN9rocsparseL32gtsv_transpose_back_array_kernelILj256ELj16E21rocsparse_complex_numIfEEEviiiPKT1_PS3_
	.p2align	8
	.type	_ZN9rocsparseL32gtsv_transpose_back_array_kernelILj256ELj16E21rocsparse_complex_numIfEEEviiiPKT1_PS3_,@function
_ZN9rocsparseL32gtsv_transpose_back_array_kernelILj256ELj16E21rocsparse_complex_numIfEEEviiiPKT1_PS3_: ; @_ZN9rocsparseL32gtsv_transpose_back_array_kernelILj256ELj16E21rocsparse_complex_numIfEEEviiiPKT1_PS3_
; %bb.0:
	s_load_dwordx4 s[4:7], s[0:1], 0x0
	v_lshl_or_b32 v0, s2, 8, v0
	v_lshlrev_b32_e32 v2, 4, v0
	s_waitcnt lgkmcnt(0)
	v_cvt_f32_u32_e32 v1, s5
	s_sub_i32 s2, 0, s5
	v_rcp_iflag_f32_e32 v1, v1
	s_nop 0
	v_mul_f32_e32 v1, 0x4f7ffffe, v1
	v_cvt_u32_f32_e32 v1, v1
	v_mul_lo_u32 v3, s2, v1
	v_mul_hi_u32 v3, v1, v3
	v_add_u32_e32 v1, v1, v3
	v_mul_hi_u32 v1, v2, v1
	v_mul_lo_u32 v3, v1, s5
	v_sub_u32_e32 v3, v2, v3
	v_add_u32_e32 v4, 1, v1
	v_cmp_le_u32_e32 vcc, s5, v3
	s_nop 1
	v_cndmask_b32_e32 v1, v1, v4, vcc
	v_subrev_u32_e32 v4, s5, v3
	v_cndmask_b32_e32 v3, v3, v4, vcc
	v_add_u32_e32 v4, 1, v1
	v_cmp_le_u32_e32 vcc, s5, v3
	s_nop 1
	v_cndmask_b32_e32 v1, v1, v4, vcc
	v_mul_lo_u32 v3, v1, s5
	v_sub_u32_e32 v2, v2, v3
	v_add_u32_e32 v1, v1, v2
	v_cmp_gt_i32_e32 vcc, s4, v1
	s_and_saveexec_b64 s[8:9], vcc
	s_cbranch_execz .LBB226_2
; %bb.1:
	s_load_dwordx4 s[8:11], s[0:1], 0x10
	s_mul_i32 s0, s5, s3
	v_add_u32_e32 v2, s0, v0
	v_ashrrev_i32_e32 v3, 31, v2
	s_mul_i32 s0, s6, s3
	s_waitcnt lgkmcnt(0)
	v_lshl_add_u64 v[2:3], v[2:3], 3, s[8:9]
	global_load_dwordx2 v[2:3], v[2:3], off
	v_add_u32_e32 v0, s0, v1
	v_ashrrev_i32_e32 v1, 31, v0
	v_lshl_add_u64 v[0:1], v[0:1], 3, s[10:11]
	s_waitcnt vmcnt(0)
	global_store_dwordx2 v[0:1], v[2:3], off
.LBB226_2:
	s_endpgm
	.section	.rodata,"a",@progbits
	.p2align	6, 0x0
	.amdhsa_kernel _ZN9rocsparseL32gtsv_transpose_back_array_kernelILj256ELj16E21rocsparse_complex_numIfEEEviiiPKT1_PS3_
		.amdhsa_group_segment_fixed_size 0
		.amdhsa_private_segment_fixed_size 0
		.amdhsa_kernarg_size 32
		.amdhsa_user_sgpr_count 2
		.amdhsa_user_sgpr_dispatch_ptr 0
		.amdhsa_user_sgpr_queue_ptr 0
		.amdhsa_user_sgpr_kernarg_segment_ptr 1
		.amdhsa_user_sgpr_dispatch_id 0
		.amdhsa_user_sgpr_kernarg_preload_length 0
		.amdhsa_user_sgpr_kernarg_preload_offset 0
		.amdhsa_user_sgpr_private_segment_size 0
		.amdhsa_uses_dynamic_stack 0
		.amdhsa_enable_private_segment 0
		.amdhsa_system_sgpr_workgroup_id_x 1
		.amdhsa_system_sgpr_workgroup_id_y 1
		.amdhsa_system_sgpr_workgroup_id_z 0
		.amdhsa_system_sgpr_workgroup_info 0
		.amdhsa_system_vgpr_workitem_id 0
		.amdhsa_next_free_vgpr 5
		.amdhsa_next_free_sgpr 12
		.amdhsa_accum_offset 8
		.amdhsa_reserve_vcc 1
		.amdhsa_float_round_mode_32 0
		.amdhsa_float_round_mode_16_64 0
		.amdhsa_float_denorm_mode_32 3
		.amdhsa_float_denorm_mode_16_64 3
		.amdhsa_dx10_clamp 1
		.amdhsa_ieee_mode 1
		.amdhsa_fp16_overflow 0
		.amdhsa_tg_split 0
		.amdhsa_exception_fp_ieee_invalid_op 0
		.amdhsa_exception_fp_denorm_src 0
		.amdhsa_exception_fp_ieee_div_zero 0
		.amdhsa_exception_fp_ieee_overflow 0
		.amdhsa_exception_fp_ieee_underflow 0
		.amdhsa_exception_fp_ieee_inexact 0
		.amdhsa_exception_int_div_zero 0
	.end_amdhsa_kernel
	.section	.text._ZN9rocsparseL32gtsv_transpose_back_array_kernelILj256ELj16E21rocsparse_complex_numIfEEEviiiPKT1_PS3_,"axG",@progbits,_ZN9rocsparseL32gtsv_transpose_back_array_kernelILj256ELj16E21rocsparse_complex_numIfEEEviiiPKT1_PS3_,comdat
.Lfunc_end226:
	.size	_ZN9rocsparseL32gtsv_transpose_back_array_kernelILj256ELj16E21rocsparse_complex_numIfEEEviiiPKT1_PS3_, .Lfunc_end226-_ZN9rocsparseL32gtsv_transpose_back_array_kernelILj256ELj16E21rocsparse_complex_numIfEEEviiiPKT1_PS3_
                                        ; -- End function
	.set _ZN9rocsparseL32gtsv_transpose_back_array_kernelILj256ELj16E21rocsparse_complex_numIfEEEviiiPKT1_PS3_.num_vgpr, 5
	.set _ZN9rocsparseL32gtsv_transpose_back_array_kernelILj256ELj16E21rocsparse_complex_numIfEEEviiiPKT1_PS3_.num_agpr, 0
	.set _ZN9rocsparseL32gtsv_transpose_back_array_kernelILj256ELj16E21rocsparse_complex_numIfEEEviiiPKT1_PS3_.numbered_sgpr, 12
	.set _ZN9rocsparseL32gtsv_transpose_back_array_kernelILj256ELj16E21rocsparse_complex_numIfEEEviiiPKT1_PS3_.num_named_barrier, 0
	.set _ZN9rocsparseL32gtsv_transpose_back_array_kernelILj256ELj16E21rocsparse_complex_numIfEEEviiiPKT1_PS3_.private_seg_size, 0
	.set _ZN9rocsparseL32gtsv_transpose_back_array_kernelILj256ELj16E21rocsparse_complex_numIfEEEviiiPKT1_PS3_.uses_vcc, 1
	.set _ZN9rocsparseL32gtsv_transpose_back_array_kernelILj256ELj16E21rocsparse_complex_numIfEEEviiiPKT1_PS3_.uses_flat_scratch, 0
	.set _ZN9rocsparseL32gtsv_transpose_back_array_kernelILj256ELj16E21rocsparse_complex_numIfEEEviiiPKT1_PS3_.has_dyn_sized_stack, 0
	.set _ZN9rocsparseL32gtsv_transpose_back_array_kernelILj256ELj16E21rocsparse_complex_numIfEEEviiiPKT1_PS3_.has_recursion, 0
	.set _ZN9rocsparseL32gtsv_transpose_back_array_kernelILj256ELj16E21rocsparse_complex_numIfEEEviiiPKT1_PS3_.has_indirect_call, 0
	.section	.AMDGPU.csdata,"",@progbits
; Kernel info:
; codeLenInByte = 236
; TotalNumSgprs: 18
; NumVgprs: 5
; NumAgprs: 0
; TotalNumVgprs: 5
; ScratchSize: 0
; MemoryBound: 0
; FloatMode: 240
; IeeeMode: 1
; LDSByteSize: 0 bytes/workgroup (compile time only)
; SGPRBlocks: 2
; VGPRBlocks: 0
; NumSGPRsForWavesPerEU: 18
; NumVGPRsForWavesPerEU: 5
; AccumOffset: 8
; Occupancy: 8
; WaveLimiterHint : 0
; COMPUTE_PGM_RSRC2:SCRATCH_EN: 0
; COMPUTE_PGM_RSRC2:USER_SGPR: 2
; COMPUTE_PGM_RSRC2:TRAP_HANDLER: 0
; COMPUTE_PGM_RSRC2:TGID_X_EN: 1
; COMPUTE_PGM_RSRC2:TGID_Y_EN: 1
; COMPUTE_PGM_RSRC2:TGID_Z_EN: 0
; COMPUTE_PGM_RSRC2:TIDIG_COMP_CNT: 0
; COMPUTE_PGM_RSRC3_GFX90A:ACCUM_OFFSET: 1
; COMPUTE_PGM_RSRC3_GFX90A:TG_SPLIT: 0
	.section	.text._ZN9rocsparseL42gtsv_transpose_and_pad_array_shared_kernelILj256ELj32E21rocsparse_complex_numIfEEEviiiPKT1_PS3_S3_,"axG",@progbits,_ZN9rocsparseL42gtsv_transpose_and_pad_array_shared_kernelILj256ELj32E21rocsparse_complex_numIfEEEviiiPKT1_PS3_S3_,comdat
	.globl	_ZN9rocsparseL42gtsv_transpose_and_pad_array_shared_kernelILj256ELj32E21rocsparse_complex_numIfEEEviiiPKT1_PS3_S3_ ; -- Begin function _ZN9rocsparseL42gtsv_transpose_and_pad_array_shared_kernelILj256ELj32E21rocsparse_complex_numIfEEEviiiPKT1_PS3_S3_
	.p2align	8
	.type	_ZN9rocsparseL42gtsv_transpose_and_pad_array_shared_kernelILj256ELj32E21rocsparse_complex_numIfEEEviiiPKT1_PS3_S3_,@function
_ZN9rocsparseL42gtsv_transpose_and_pad_array_shared_kernelILj256ELj32E21rocsparse_complex_numIfEEEviiiPKT1_PS3_S3_: ; @_ZN9rocsparseL42gtsv_transpose_and_pad_array_shared_kernelILj256ELj32E21rocsparse_complex_numIfEEEviiiPKT1_PS3_S3_
; %bb.0:
	s_load_dwordx4 s[4:7], s[0:1], 0x0
	v_lshl_or_b32 v1, s2, 8, v0
                                        ; implicit-def: $sgpr10_sgpr11
	s_waitcnt lgkmcnt(0)
	v_cmp_le_i32_e32 vcc, s4, v1
	s_and_saveexec_b64 s[8:9], vcc
	s_xor_b64 s[8:9], exec, s[8:9]
; %bb.1:
	s_load_dwordx2 s[10:11], s[0:1], 0x20
                                        ; implicit-def: $vgpr1
; %bb.2:
	s_or_saveexec_b64 s[8:9], s[8:9]
	s_waitcnt lgkmcnt(0)
	v_mov_b64_e32 v[4:5], s[10:11]
	s_xor_b64 exec, exec, s[8:9]
	s_cbranch_execz .LBB227_4
; %bb.3:
	s_load_dwordx2 s[10:11], s[0:1], 0x10
	s_mul_i32 s4, s6, s3
	v_add_u32_e32 v2, s4, v1
	v_ashrrev_i32_e32 v3, 31, v2
	s_waitcnt lgkmcnt(0)
	v_lshl_add_u64 v[2:3], v[2:3], 3, s[10:11]
	global_load_dwordx2 v[4:5], v[2:3], off
.LBB227_4:
	s_or_b64 exec, exec, s[8:9]
	v_lshrrev_b32_e32 v2, 3, v0
	v_and_b32_e32 v3, 7, v0
	v_lshlrev_b32_e32 v0, 3, v0
	s_waitcnt vmcnt(0)
	ds_write_b64 v0, v[4:5]
	s_lshr_b32 s4, s5, 5
	v_lshl_or_b32 v0, s2, 3, v3
	v_mad_u64_u32 v[0:1], s[6:7], s4, v2, v[0:1]
	v_cmp_gt_i32_e32 vcc, s5, v0
	s_waitcnt lgkmcnt(0)
	s_barrier
	s_and_saveexec_b64 s[6:7], vcc
	s_cbranch_execz .LBB227_6
; %bb.5:
	v_lshlrev_b32_e32 v1, 3, v2
	s_load_dwordx2 s[0:1], s[0:1], 0x18
	v_lshl_or_b32 v1, v3, 8, v1
	ds_read_b64 v[2:3], v1
	s_mul_i32 s2, s5, s3
	v_add_u32_e32 v0, s2, v0
	v_ashrrev_i32_e32 v1, 31, v0
	s_waitcnt lgkmcnt(0)
	v_lshl_add_u64 v[0:1], v[0:1], 3, s[0:1]
	global_store_dwordx2 v[0:1], v[2:3], off
.LBB227_6:
	s_endpgm
	.section	.rodata,"a",@progbits
	.p2align	6, 0x0
	.amdhsa_kernel _ZN9rocsparseL42gtsv_transpose_and_pad_array_shared_kernelILj256ELj32E21rocsparse_complex_numIfEEEviiiPKT1_PS3_S3_
		.amdhsa_group_segment_fixed_size 2048
		.amdhsa_private_segment_fixed_size 0
		.amdhsa_kernarg_size 40
		.amdhsa_user_sgpr_count 2
		.amdhsa_user_sgpr_dispatch_ptr 0
		.amdhsa_user_sgpr_queue_ptr 0
		.amdhsa_user_sgpr_kernarg_segment_ptr 1
		.amdhsa_user_sgpr_dispatch_id 0
		.amdhsa_user_sgpr_kernarg_preload_length 0
		.amdhsa_user_sgpr_kernarg_preload_offset 0
		.amdhsa_user_sgpr_private_segment_size 0
		.amdhsa_uses_dynamic_stack 0
		.amdhsa_enable_private_segment 0
		.amdhsa_system_sgpr_workgroup_id_x 1
		.amdhsa_system_sgpr_workgroup_id_y 1
		.amdhsa_system_sgpr_workgroup_id_z 0
		.amdhsa_system_sgpr_workgroup_info 0
		.amdhsa_system_vgpr_workitem_id 0
		.amdhsa_next_free_vgpr 6
		.amdhsa_next_free_sgpr 12
		.amdhsa_accum_offset 8
		.amdhsa_reserve_vcc 1
		.amdhsa_float_round_mode_32 0
		.amdhsa_float_round_mode_16_64 0
		.amdhsa_float_denorm_mode_32 3
		.amdhsa_float_denorm_mode_16_64 3
		.amdhsa_dx10_clamp 1
		.amdhsa_ieee_mode 1
		.amdhsa_fp16_overflow 0
		.amdhsa_tg_split 0
		.amdhsa_exception_fp_ieee_invalid_op 0
		.amdhsa_exception_fp_denorm_src 0
		.amdhsa_exception_fp_ieee_div_zero 0
		.amdhsa_exception_fp_ieee_overflow 0
		.amdhsa_exception_fp_ieee_underflow 0
		.amdhsa_exception_fp_ieee_inexact 0
		.amdhsa_exception_int_div_zero 0
	.end_amdhsa_kernel
	.section	.text._ZN9rocsparseL42gtsv_transpose_and_pad_array_shared_kernelILj256ELj32E21rocsparse_complex_numIfEEEviiiPKT1_PS3_S3_,"axG",@progbits,_ZN9rocsparseL42gtsv_transpose_and_pad_array_shared_kernelILj256ELj32E21rocsparse_complex_numIfEEEviiiPKT1_PS3_S3_,comdat
.Lfunc_end227:
	.size	_ZN9rocsparseL42gtsv_transpose_and_pad_array_shared_kernelILj256ELj32E21rocsparse_complex_numIfEEEviiiPKT1_PS3_S3_, .Lfunc_end227-_ZN9rocsparseL42gtsv_transpose_and_pad_array_shared_kernelILj256ELj32E21rocsparse_complex_numIfEEEviiiPKT1_PS3_S3_
                                        ; -- End function
	.set _ZN9rocsparseL42gtsv_transpose_and_pad_array_shared_kernelILj256ELj32E21rocsparse_complex_numIfEEEviiiPKT1_PS3_S3_.num_vgpr, 6
	.set _ZN9rocsparseL42gtsv_transpose_and_pad_array_shared_kernelILj256ELj32E21rocsparse_complex_numIfEEEviiiPKT1_PS3_S3_.num_agpr, 0
	.set _ZN9rocsparseL42gtsv_transpose_and_pad_array_shared_kernelILj256ELj32E21rocsparse_complex_numIfEEEviiiPKT1_PS3_S3_.numbered_sgpr, 12
	.set _ZN9rocsparseL42gtsv_transpose_and_pad_array_shared_kernelILj256ELj32E21rocsparse_complex_numIfEEEviiiPKT1_PS3_S3_.num_named_barrier, 0
	.set _ZN9rocsparseL42gtsv_transpose_and_pad_array_shared_kernelILj256ELj32E21rocsparse_complex_numIfEEEviiiPKT1_PS3_S3_.private_seg_size, 0
	.set _ZN9rocsparseL42gtsv_transpose_and_pad_array_shared_kernelILj256ELj32E21rocsparse_complex_numIfEEEviiiPKT1_PS3_S3_.uses_vcc, 1
	.set _ZN9rocsparseL42gtsv_transpose_and_pad_array_shared_kernelILj256ELj32E21rocsparse_complex_numIfEEEviiiPKT1_PS3_S3_.uses_flat_scratch, 0
	.set _ZN9rocsparseL42gtsv_transpose_and_pad_array_shared_kernelILj256ELj32E21rocsparse_complex_numIfEEEviiiPKT1_PS3_S3_.has_dyn_sized_stack, 0
	.set _ZN9rocsparseL42gtsv_transpose_and_pad_array_shared_kernelILj256ELj32E21rocsparse_complex_numIfEEEviiiPKT1_PS3_S3_.has_recursion, 0
	.set _ZN9rocsparseL42gtsv_transpose_and_pad_array_shared_kernelILj256ELj32E21rocsparse_complex_numIfEEEviiiPKT1_PS3_S3_.has_indirect_call, 0
	.section	.AMDGPU.csdata,"",@progbits
; Kernel info:
; codeLenInByte = 232
; TotalNumSgprs: 18
; NumVgprs: 6
; NumAgprs: 0
; TotalNumVgprs: 6
; ScratchSize: 0
; MemoryBound: 0
; FloatMode: 240
; IeeeMode: 1
; LDSByteSize: 2048 bytes/workgroup (compile time only)
; SGPRBlocks: 2
; VGPRBlocks: 0
; NumSGPRsForWavesPerEU: 18
; NumVGPRsForWavesPerEU: 6
; AccumOffset: 8
; Occupancy: 8
; WaveLimiterHint : 0
; COMPUTE_PGM_RSRC2:SCRATCH_EN: 0
; COMPUTE_PGM_RSRC2:USER_SGPR: 2
; COMPUTE_PGM_RSRC2:TRAP_HANDLER: 0
; COMPUTE_PGM_RSRC2:TGID_X_EN: 1
; COMPUTE_PGM_RSRC2:TGID_Y_EN: 1
; COMPUTE_PGM_RSRC2:TGID_Z_EN: 0
; COMPUTE_PGM_RSRC2:TIDIG_COMP_CNT: 0
; COMPUTE_PGM_RSRC3_GFX90A:ACCUM_OFFSET: 1
; COMPUTE_PGM_RSRC3_GFX90A:TG_SPLIT: 0
	.section	.text._ZN9rocsparseL18gtsv_LBM_wv_kernelILj256ELj32E21rocsparse_complex_numIfEEEviiiPKT1_S5_S5_PS3_S6_S6_Pi,"axG",@progbits,_ZN9rocsparseL18gtsv_LBM_wv_kernelILj256ELj32E21rocsparse_complex_numIfEEEviiiPKT1_S5_S5_PS3_S6_S6_Pi,comdat
	.globl	_ZN9rocsparseL18gtsv_LBM_wv_kernelILj256ELj32E21rocsparse_complex_numIfEEEviiiPKT1_S5_S5_PS3_S6_S6_Pi ; -- Begin function _ZN9rocsparseL18gtsv_LBM_wv_kernelILj256ELj32E21rocsparse_complex_numIfEEEviiiPKT1_S5_S5_PS3_S6_S6_Pi
	.p2align	8
	.type	_ZN9rocsparseL18gtsv_LBM_wv_kernelILj256ELj32E21rocsparse_complex_numIfEEEviiiPKT1_S5_S5_PS3_S6_S6_Pi,@function
_ZN9rocsparseL18gtsv_LBM_wv_kernelILj256ELj32E21rocsparse_complex_numIfEEEviiiPKT1_S5_S5_PS3_S6_S6_Pi: ; @_ZN9rocsparseL18gtsv_LBM_wv_kernelILj256ELj32E21rocsparse_complex_numIfEEEviiiPKT1_S5_S5_PS3_S6_S6_Pi
; %bb.0:
	s_load_dword s29, s[0:1], 0x0
	v_lshl_or_b32 v0, s2, 8, v0
	s_waitcnt lgkmcnt(0)
	s_lshr_b32 s28, s29, 5
	v_cmp_gt_i32_e32 vcc, s28, v0
	s_and_saveexec_b64 s[2:3], vcc
	s_cbranch_execz .LBB228_72
; %bb.1:
	s_load_dwordx2 s[16:17], s[0:1], 0x10
	s_load_dwordx8 s[8:15], s[0:1], 0x20
	v_ashrrev_i32_e32 v1, 31, v0
	s_mul_i32 s30, s28, 31
	v_lshlrev_b64 v[2:3], 3, v[0:1]
	v_add_u32_e32 v6, s30, v0
	v_mov_b32_e32 v7, 0
	s_waitcnt lgkmcnt(0)
	v_lshl_add_u64 v[4:5], s[16:17], 0, v[2:3]
	v_lshlrev_b64 v[8:9], 3, v[6:7]
	global_load_dwordx2 v[4:5], v[4:5], off
	v_lshl_add_u64 v[10:11], s[8:9], 0, v[8:9]
	global_load_dwordx2 v[10:11], v[10:11], off
	s_load_dwordx2 s[6:7], s[0:1], 0x40
	v_lshl_add_u64 v[2:3], s[10:11], 0, v[2:3]
	s_cmp_lt_i32 s29, 1
	v_add_u32_e32 v46, s28, v0
	v_lshl_add_u64 v[8:9], s[12:13], 0, v[8:9]
	s_waitcnt vmcnt(1)
	global_store_dwordx2 v[2:3], v[4:5], off
	s_waitcnt vmcnt(1)
	global_store_dwordx2 v[8:9], v[10:11], off
	v_mov_b32_e32 v4, v7
	s_cbranch_scc1 .LBB228_65
; %bb.2:
	s_load_dwordx2 s[18:19], s[0:1], 0x18
	s_mov_b32 s22, 0x372fe950
	s_mul_i32 s31, s28, 30
	s_lshl_b32 s33, s28, 1
	v_mov_b32_e32 v50, 0
	s_waitcnt lgkmcnt(0)
	v_lshl_add_u64 v[4:5], v[0:1], 3, s[18:19]
	global_load_dwordx2 v[6:7], v[4:5], off
	v_add_u32_e32 v1, s28, v46
	s_mov_b64 s[20:21], 0
	s_mov_b32 s34, 0xf800000
	v_mov_b32_e32 v47, 0x260
	s_mov_b32 s23, 0x3fe3c6ef
	v_mov_b32_e32 v48, 2
	v_mov_b32_e32 v49, 1
	;; [unrolled: 1-line block ×3, first 2 shown]
	s_branch .LBB228_5
.LBB228_3:                              ;   in Loop: Header=BB228_5 Depth=1
	s_or_b64 exec, exec, s[4:5]
	v_xor_b32_e32 v8, 0x80000000, v25
	v_mov_b32_e32 v9, v24
	v_pk_mul_f32 v[8:9], v[16:17], v[8:9] op_sel_hi:[0,1]
	v_pk_fma_f32 v[6:7], v[24:25], v[6:7], v[8:9] op_sel_hi:[1,0,1]
	v_mov_b32_e32 v5, s28
	v_pk_add_f32 v[6:7], v[12:13], v[6:7] neg_lo:[0,1] neg_hi:[0,1]
.LBB228_4:                              ;   in Loop: Header=BB228_5 Depth=1
	s_or_b64 exec, exec, s[2:3]
	v_add_u32_e32 v4, v5, v4
	v_cmp_le_i32_e32 vcc, s29, v4
	s_or_b64 s[20:21], vcc, s[20:21]
	s_andn2_b64 exec, exec, s[20:21]
	s_cbranch_execz .LBB228_64
.LBB228_5:                              ; =>This Inner Loop Header: Depth=1
	v_add_u32_e32 v20, v4, v0
	v_ashrrev_i32_e32 v21, 31, v20
	v_lshl_add_u64 v[8:9], v[20:21], 3, s[8:9]
	global_load_dwordx2 v[14:15], v[8:9], off
	v_cmp_gt_u32_e64 s[0:1], s30, v4
	v_mov_b32_e32 v8, 0
	v_mov_b32_e32 v9, 0
	s_and_saveexec_b64 s[2:3], s[0:1]
	s_cbranch_execz .LBB228_7
; %bb.6:                                ;   in Loop: Header=BB228_5 Depth=1
	v_add_u32_e32 v8, v46, v4
	v_ashrrev_i32_e32 v9, 31, v8
	v_lshl_add_u64 v[8:9], v[8:9], 3, s[16:17]
	global_load_dwordx2 v[8:9], v[8:9], off
.LBB228_7:                              ;   in Loop: Header=BB228_5 Depth=1
	s_or_b64 exec, exec, s[2:3]
	v_mov_b32_e32 v11, 0
	v_mov_b32_e32 v12, 0
	;; [unrolled: 1-line block ×3, first 2 shown]
	s_and_saveexec_b64 s[2:3], s[0:1]
	s_cbranch_execz .LBB228_9
; %bb.8:                                ;   in Loop: Header=BB228_5 Depth=1
	v_add_u32_e32 v12, v46, v4
	v_ashrrev_i32_e32 v13, 31, v12
	v_lshl_add_u64 v[12:13], v[12:13], 3, s[18:19]
	global_load_dwordx2 v[12:13], v[12:13], off
.LBB228_9:                              ;   in Loop: Header=BB228_5 Depth=1
	s_or_b64 exec, exec, s[2:3]
	v_mov_b32_e32 v16, 0
	s_and_saveexec_b64 s[2:3], s[0:1]
	s_cbranch_execz .LBB228_11
; %bb.10:                               ;   in Loop: Header=BB228_5 Depth=1
	v_add_u32_e32 v10, v46, v4
	v_ashrrev_i32_e32 v11, 31, v10
	v_lshl_add_u64 v[10:11], v[10:11], 3, s[8:9]
	global_load_dwordx2 v[16:17], v[10:11], off
	s_waitcnt vmcnt(0)
	v_mov_b32_e32 v11, v16
	v_mov_b32_e32 v16, v17
.LBB228_11:                             ;   in Loop: Header=BB228_5 Depth=1
	s_or_b64 exec, exec, s[2:3]
	v_cmp_gt_u32_e64 s[2:3], s31, v4
	v_mov_b32_e32 v18, 0
	v_mov_b32_e32 v19, 0
	s_and_saveexec_b64 s[4:5], s[2:3]
	s_cbranch_execz .LBB228_13
; %bb.12:                               ;   in Loop: Header=BB228_5 Depth=1
	v_add_u32_e32 v18, v1, v4
	v_ashrrev_i32_e32 v19, 31, v18
	v_lshl_add_u64 v[18:19], v[18:19], 3, s[16:17]
	global_load_dwordx2 v[18:19], v[18:19], off
.LBB228_13:                             ;   in Loop: Header=BB228_5 Depth=1
	s_or_b64 exec, exec, s[4:5]
	s_waitcnt vmcnt(0)
	v_cmp_gt_f32_e32 vcc, 0, v8
                                        ; implicit-def: $vgpr5
	s_nop 1
	v_cndmask_b32_e64 v10, v8, -v8, vcc
	v_cmp_gt_f32_e32 vcc, 0, v9
	s_nop 1
	v_cndmask_b32_e64 v17, v9, -v9, vcc
	v_cmp_ngt_f32_e32 vcc, v10, v17
	s_and_saveexec_b64 s[4:5], vcc
	s_xor_b64 s[24:25], exec, s[4:5]
	s_cbranch_execz .LBB228_17
; %bb.14:                               ;   in Loop: Header=BB228_5 Depth=1
	v_mov_b32_e32 v5, 0
	v_cmp_neq_f32_e32 vcc, 0, v9
	s_and_saveexec_b64 s[26:27], vcc
	s_cbranch_execz .LBB228_16
; %bb.15:                               ;   in Loop: Header=BB228_5 Depth=1
	v_div_scale_f32 v5, s[4:5], v17, v17, v10
	v_rcp_f32_e32 v22, v5
	v_div_scale_f32 v23, vcc, v10, v17, v10
	v_fma_f32 v24, -v5, v22, 1.0
	v_fmac_f32_e32 v22, v24, v22
	v_mul_f32_e32 v24, v23, v22
	v_fma_f32 v25, -v5, v24, v23
	v_fmac_f32_e32 v24, v25, v22
	v_fma_f32 v5, -v5, v24, v23
	v_div_fmas_f32 v5, v5, v22, v24
	v_div_fixup_f32 v5, v5, v17, v10
	v_fma_f32 v5, v5, v5, 1.0
	v_mul_f32_e32 v10, 0x4f800000, v5
	v_cmp_gt_f32_e32 vcc, s34, v5
	s_nop 1
	v_cndmask_b32_e32 v5, v5, v10, vcc
	v_sqrt_f32_e32 v10, v5
	s_nop 0
	v_add_u32_e32 v22, -1, v10
	v_fma_f32 v23, -v22, v10, v5
	v_cmp_ge_f32_e64 s[4:5], 0, v23
	v_add_u32_e32 v23, 1, v10
	s_nop 0
	v_cndmask_b32_e64 v22, v10, v22, s[4:5]
	v_fma_f32 v10, -v23, v10, v5
	v_cmp_lt_f32_e64 s[4:5], 0, v10
	s_nop 1
	v_cndmask_b32_e64 v10, v22, v23, s[4:5]
	v_mul_f32_e32 v22, 0x37800000, v10
	v_cndmask_b32_e32 v10, v10, v22, vcc
	v_cmp_class_f32_e32 vcc, v5, v47
	s_nop 1
	v_cndmask_b32_e32 v5, v10, v5, vcc
	v_mul_f32_e32 v5, v17, v5
.LBB228_16:                             ;   in Loop: Header=BB228_5 Depth=1
	s_or_b64 exec, exec, s[26:27]
                                        ; implicit-def: $vgpr10
                                        ; implicit-def: $vgpr17
.LBB228_17:                             ;   in Loop: Header=BB228_5 Depth=1
	s_andn2_saveexec_b64 s[24:25], s[24:25]
	s_cbranch_execz .LBB228_19
; %bb.18:                               ;   in Loop: Header=BB228_5 Depth=1
	v_div_scale_f32 v5, s[4:5], v10, v10, v17
	v_rcp_f32_e32 v22, v5
	v_div_scale_f32 v23, vcc, v17, v10, v17
	v_fma_f32 v24, -v5, v22, 1.0
	v_fmac_f32_e32 v22, v24, v22
	v_mul_f32_e32 v24, v23, v22
	v_fma_f32 v25, -v5, v24, v23
	v_fmac_f32_e32 v24, v25, v22
	v_fma_f32 v5, -v5, v24, v23
	v_div_fmas_f32 v5, v5, v22, v24
	v_div_fixup_f32 v5, v5, v10, v17
	v_fma_f32 v5, v5, v5, 1.0
	v_mul_f32_e32 v17, 0x4f800000, v5
	v_cmp_gt_f32_e32 vcc, s34, v5
	s_nop 1
	v_cndmask_b32_e32 v5, v5, v17, vcc
	v_sqrt_f32_e32 v17, v5
	s_nop 0
	v_add_u32_e32 v22, -1, v17
	v_fma_f32 v23, -v22, v17, v5
	v_cmp_ge_f32_e64 s[4:5], 0, v23
	v_add_u32_e32 v23, 1, v17
	s_nop 0
	v_cndmask_b32_e64 v22, v17, v22, s[4:5]
	v_fma_f32 v17, -v23, v17, v5
	v_cmp_lt_f32_e64 s[4:5], 0, v17
	s_nop 1
	v_cndmask_b32_e64 v17, v22, v23, s[4:5]
	v_mul_f32_e32 v22, 0x37800000, v17
	v_cndmask_b32_e32 v17, v17, v22, vcc
	v_cmp_class_f32_e32 vcc, v5, v47
	s_nop 1
	v_cndmask_b32_e32 v5, v17, v5, vcc
	v_mul_f32_e32 v5, v10, v5
.LBB228_19:                             ;   in Loop: Header=BB228_5 Depth=1
	s_or_b64 exec, exec, s[24:25]
	v_cmp_gt_f32_e32 vcc, 0, v18
                                        ; implicit-def: $vgpr10
	s_nop 1
	v_cndmask_b32_e64 v17, v18, -v18, vcc
	v_cmp_gt_f32_e32 vcc, 0, v19
	s_nop 1
	v_cndmask_b32_e64 v22, v19, -v19, vcc
	v_cmp_ngt_f32_e32 vcc, v17, v22
	s_and_saveexec_b64 s[4:5], vcc
	s_xor_b64 s[24:25], exec, s[4:5]
	s_cbranch_execz .LBB228_23
; %bb.20:                               ;   in Loop: Header=BB228_5 Depth=1
	v_mov_b32_e32 v10, 0
	v_cmp_neq_f32_e32 vcc, 0, v19
	s_and_saveexec_b64 s[26:27], vcc
	s_cbranch_execz .LBB228_22
; %bb.21:                               ;   in Loop: Header=BB228_5 Depth=1
	v_div_scale_f32 v10, s[4:5], v22, v22, v17
	v_rcp_f32_e32 v23, v10
	v_div_scale_f32 v24, vcc, v17, v22, v17
	v_fma_f32 v25, -v10, v23, 1.0
	v_fmac_f32_e32 v23, v25, v23
	v_mul_f32_e32 v25, v24, v23
	v_fma_f32 v26, -v10, v25, v24
	v_fmac_f32_e32 v25, v26, v23
	v_fma_f32 v10, -v10, v25, v24
	v_div_fmas_f32 v10, v10, v23, v25
	v_div_fixup_f32 v10, v10, v22, v17
	v_fma_f32 v10, v10, v10, 1.0
	v_mul_f32_e32 v17, 0x4f800000, v10
	v_cmp_gt_f32_e32 vcc, s34, v10
	s_nop 1
	v_cndmask_b32_e32 v10, v10, v17, vcc
	v_sqrt_f32_e32 v17, v10
	s_nop 0
	v_add_u32_e32 v23, -1, v17
	v_fma_f32 v24, -v23, v17, v10
	v_cmp_ge_f32_e64 s[4:5], 0, v24
	v_add_u32_e32 v24, 1, v17
	s_nop 0
	v_cndmask_b32_e64 v23, v17, v23, s[4:5]
	v_fma_f32 v17, -v24, v17, v10
	v_cmp_lt_f32_e64 s[4:5], 0, v17
	s_nop 1
	v_cndmask_b32_e64 v17, v23, v24, s[4:5]
	v_mul_f32_e32 v23, 0x37800000, v17
	v_cndmask_b32_e32 v17, v17, v23, vcc
	v_cmp_class_f32_e32 vcc, v10, v47
	s_nop 1
	v_cndmask_b32_e32 v10, v17, v10, vcc
	v_mul_f32_e32 v10, v22, v10
.LBB228_22:                             ;   in Loop: Header=BB228_5 Depth=1
	s_or_b64 exec, exec, s[26:27]
                                        ; implicit-def: $vgpr17
                                        ; implicit-def: $vgpr22
.LBB228_23:                             ;   in Loop: Header=BB228_5 Depth=1
	s_andn2_saveexec_b64 s[24:25], s[24:25]
	s_cbranch_execz .LBB228_25
; %bb.24:                               ;   in Loop: Header=BB228_5 Depth=1
	v_div_scale_f32 v10, s[4:5], v17, v17, v22
	v_rcp_f32_e32 v23, v10
	v_div_scale_f32 v24, vcc, v22, v17, v22
	v_fma_f32 v25, -v10, v23, 1.0
	v_fmac_f32_e32 v23, v25, v23
	v_mul_f32_e32 v25, v24, v23
	v_fma_f32 v26, -v10, v25, v24
	v_fmac_f32_e32 v25, v26, v23
	v_fma_f32 v10, -v10, v25, v24
	v_div_fmas_f32 v10, v10, v23, v25
	v_div_fixup_f32 v10, v10, v17, v22
	v_fma_f32 v10, v10, v10, 1.0
	v_mul_f32_e32 v22, 0x4f800000, v10
	v_cmp_gt_f32_e32 vcc, s34, v10
	s_nop 1
	v_cndmask_b32_e32 v10, v10, v22, vcc
	v_sqrt_f32_e32 v22, v10
	s_nop 0
	v_add_u32_e32 v23, -1, v22
	v_fma_f32 v24, -v23, v22, v10
	v_cmp_ge_f32_e64 s[4:5], 0, v24
	v_add_u32_e32 v24, 1, v22
	s_nop 0
	v_cndmask_b32_e64 v23, v22, v23, s[4:5]
	v_fma_f32 v22, -v24, v22, v10
	v_cmp_lt_f32_e64 s[4:5], 0, v22
	s_nop 1
	v_cndmask_b32_e64 v22, v23, v24, s[4:5]
	v_mul_f32_e32 v23, 0x37800000, v22
	v_cndmask_b32_e32 v22, v22, v23, vcc
	v_cmp_class_f32_e32 vcc, v10, v47
	s_nop 1
	v_cndmask_b32_e32 v10, v22, v10, vcc
	v_mul_f32_e32 v10, v17, v10
.LBB228_25:                             ;   in Loop: Header=BB228_5 Depth=1
	s_or_b64 exec, exec, s[24:25]
	v_cmp_gt_f32_e32 vcc, 0, v12
                                        ; implicit-def: $vgpr17
	s_nop 1
	v_cndmask_b32_e64 v22, v12, -v12, vcc
	v_cmp_gt_f32_e32 vcc, 0, v13
	s_nop 1
	v_cndmask_b32_e64 v23, v13, -v13, vcc
	v_cmp_ngt_f32_e32 vcc, v22, v23
	s_and_saveexec_b64 s[4:5], vcc
	s_xor_b64 s[24:25], exec, s[4:5]
	s_cbranch_execz .LBB228_29
; %bb.26:                               ;   in Loop: Header=BB228_5 Depth=1
	v_mov_b32_e32 v17, 0
	v_cmp_neq_f32_e32 vcc, 0, v13
	s_and_saveexec_b64 s[26:27], vcc
	s_cbranch_execz .LBB228_28
; %bb.27:                               ;   in Loop: Header=BB228_5 Depth=1
	v_div_scale_f32 v17, s[4:5], v23, v23, v22
	v_rcp_f32_e32 v24, v17
	v_div_scale_f32 v25, vcc, v22, v23, v22
	v_fma_f32 v26, -v17, v24, 1.0
	v_fmac_f32_e32 v24, v26, v24
	v_mul_f32_e32 v26, v25, v24
	v_fma_f32 v27, -v17, v26, v25
	v_fmac_f32_e32 v26, v27, v24
	v_fma_f32 v17, -v17, v26, v25
	v_div_fmas_f32 v17, v17, v24, v26
	v_div_fixup_f32 v17, v17, v23, v22
	v_fma_f32 v17, v17, v17, 1.0
	v_mul_f32_e32 v22, 0x4f800000, v17
	v_cmp_gt_f32_e32 vcc, s34, v17
	s_nop 1
	v_cndmask_b32_e32 v17, v17, v22, vcc
	v_sqrt_f32_e32 v22, v17
	s_nop 0
	v_add_u32_e32 v24, -1, v22
	v_fma_f32 v25, -v24, v22, v17
	v_cmp_ge_f32_e64 s[4:5], 0, v25
	v_add_u32_e32 v25, 1, v22
	s_nop 0
	v_cndmask_b32_e64 v24, v22, v24, s[4:5]
	v_fma_f32 v22, -v25, v22, v17
	v_cmp_lt_f32_e64 s[4:5], 0, v22
	s_nop 1
	v_cndmask_b32_e64 v22, v24, v25, s[4:5]
	v_mul_f32_e32 v24, 0x37800000, v22
	v_cndmask_b32_e32 v22, v22, v24, vcc
	v_cmp_class_f32_e32 vcc, v17, v47
	s_nop 1
	v_cndmask_b32_e32 v17, v22, v17, vcc
	v_mul_f32_e32 v17, v23, v17
.LBB228_28:                             ;   in Loop: Header=BB228_5 Depth=1
	s_or_b64 exec, exec, s[26:27]
                                        ; implicit-def: $vgpr22
                                        ; implicit-def: $vgpr23
.LBB228_29:                             ;   in Loop: Header=BB228_5 Depth=1
	s_andn2_saveexec_b64 s[24:25], s[24:25]
	s_cbranch_execz .LBB228_31
; %bb.30:                               ;   in Loop: Header=BB228_5 Depth=1
	v_div_scale_f32 v17, s[4:5], v22, v22, v23
	v_rcp_f32_e32 v24, v17
	v_div_scale_f32 v25, vcc, v23, v22, v23
	v_fma_f32 v26, -v17, v24, 1.0
	v_fmac_f32_e32 v24, v26, v24
	v_mul_f32_e32 v26, v25, v24
	v_fma_f32 v27, -v17, v26, v25
	v_fmac_f32_e32 v26, v27, v24
	v_fma_f32 v17, -v17, v26, v25
	v_div_fmas_f32 v17, v17, v24, v26
	v_div_fixup_f32 v17, v17, v22, v23
	v_fma_f32 v17, v17, v17, 1.0
	v_mul_f32_e32 v23, 0x4f800000, v17
	v_cmp_gt_f32_e32 vcc, s34, v17
	s_nop 1
	v_cndmask_b32_e32 v17, v17, v23, vcc
	v_sqrt_f32_e32 v23, v17
	s_nop 0
	v_add_u32_e32 v24, -1, v23
	v_fma_f32 v25, -v24, v23, v17
	v_cmp_ge_f32_e64 s[4:5], 0, v25
	v_add_u32_e32 v25, 1, v23
	s_nop 0
	v_cndmask_b32_e64 v24, v23, v24, s[4:5]
	v_fma_f32 v23, -v25, v23, v17
	v_cmp_lt_f32_e64 s[4:5], 0, v23
	s_nop 1
	v_cndmask_b32_e64 v23, v24, v25, s[4:5]
	v_mul_f32_e32 v24, 0x37800000, v23
	v_cndmask_b32_e32 v23, v23, v24, vcc
	v_cmp_class_f32_e32 vcc, v17, v47
	s_nop 1
	v_cndmask_b32_e32 v17, v23, v17, vcc
	v_mul_f32_e32 v17, v22, v17
.LBB228_31:                             ;   in Loop: Header=BB228_5 Depth=1
	s_or_b64 exec, exec, s[24:25]
	v_cmp_gt_f32_e32 vcc, 0, v14
                                        ; implicit-def: $vgpr28
	s_nop 1
	v_cndmask_b32_e64 v22, v14, -v14, vcc
	v_cmp_gt_f32_e32 vcc, 0, v15
	s_nop 1
	v_cndmask_b32_e64 v23, v15, -v15, vcc
	v_cmp_ngt_f32_e32 vcc, v22, v23
	s_and_saveexec_b64 s[4:5], vcc
	s_xor_b64 s[24:25], exec, s[4:5]
	s_cbranch_execz .LBB228_35
; %bb.32:                               ;   in Loop: Header=BB228_5 Depth=1
	v_mov_b32_e32 v28, 0
	v_cmp_neq_f32_e32 vcc, 0, v15
	s_and_saveexec_b64 s[26:27], vcc
	s_cbranch_execz .LBB228_34
; %bb.33:                               ;   in Loop: Header=BB228_5 Depth=1
	v_div_scale_f32 v24, s[4:5], v23, v23, v22
	v_rcp_f32_e32 v25, v24
	v_div_scale_f32 v26, vcc, v22, v23, v22
	v_fma_f32 v27, -v24, v25, 1.0
	v_fmac_f32_e32 v25, v27, v25
	v_mul_f32_e32 v27, v26, v25
	v_fma_f32 v28, -v24, v27, v26
	v_fmac_f32_e32 v27, v28, v25
	v_fma_f32 v24, -v24, v27, v26
	v_div_fmas_f32 v24, v24, v25, v27
	v_div_fixup_f32 v22, v24, v23, v22
	v_fma_f32 v22, v22, v22, 1.0
	v_mul_f32_e32 v24, 0x4f800000, v22
	v_cmp_gt_f32_e32 vcc, s34, v22
	s_nop 1
	v_cndmask_b32_e32 v22, v22, v24, vcc
	v_sqrt_f32_e32 v24, v22
	s_nop 0
	v_add_u32_e32 v25, -1, v24
	v_fma_f32 v26, -v25, v24, v22
	v_cmp_ge_f32_e64 s[4:5], 0, v26
	v_add_u32_e32 v26, 1, v24
	s_nop 0
	v_cndmask_b32_e64 v25, v24, v25, s[4:5]
	v_fma_f32 v24, -v26, v24, v22
	v_cmp_lt_f32_e64 s[4:5], 0, v24
	s_nop 1
	v_cndmask_b32_e64 v24, v25, v26, s[4:5]
	v_mul_f32_e32 v25, 0x37800000, v24
	v_cndmask_b32_e32 v24, v24, v25, vcc
	v_cmp_class_f32_e32 vcc, v22, v47
	s_nop 1
	v_cndmask_b32_e32 v22, v24, v22, vcc
	v_mul_f32_e32 v28, v23, v22
.LBB228_34:                             ;   in Loop: Header=BB228_5 Depth=1
	s_or_b64 exec, exec, s[26:27]
                                        ; implicit-def: $vgpr22
                                        ; implicit-def: $vgpr23
.LBB228_35:                             ;   in Loop: Header=BB228_5 Depth=1
	s_andn2_saveexec_b64 s[24:25], s[24:25]
	s_cbranch_execz .LBB228_37
; %bb.36:                               ;   in Loop: Header=BB228_5 Depth=1
	v_div_scale_f32 v24, s[4:5], v22, v22, v23
	v_rcp_f32_e32 v25, v24
	v_div_scale_f32 v26, vcc, v23, v22, v23
	v_fma_f32 v27, -v24, v25, 1.0
	v_fmac_f32_e32 v25, v27, v25
	v_mul_f32_e32 v27, v26, v25
	v_fma_f32 v28, -v24, v27, v26
	v_fmac_f32_e32 v27, v28, v25
	v_fma_f32 v24, -v24, v27, v26
	v_div_fmas_f32 v24, v24, v25, v27
	v_div_fixup_f32 v23, v24, v22, v23
	v_fma_f32 v23, v23, v23, 1.0
	v_mul_f32_e32 v24, 0x4f800000, v23
	v_cmp_gt_f32_e32 vcc, s34, v23
	s_nop 1
	v_cndmask_b32_e32 v23, v23, v24, vcc
	v_sqrt_f32_e32 v24, v23
	s_nop 0
	v_add_u32_e32 v25, -1, v24
	v_fma_f32 v26, -v25, v24, v23
	v_cmp_ge_f32_e64 s[4:5], 0, v26
	v_add_u32_e32 v26, 1, v24
	s_nop 0
	v_cndmask_b32_e64 v25, v24, v25, s[4:5]
	v_fma_f32 v24, -v26, v24, v23
	v_cmp_lt_f32_e64 s[4:5], 0, v24
	s_nop 1
	v_cndmask_b32_e64 v24, v25, v26, s[4:5]
	v_mul_f32_e32 v25, 0x37800000, v24
	v_cndmask_b32_e32 v24, v24, v25, vcc
	v_cmp_class_f32_e32 vcc, v23, v47
	s_nop 1
	v_cndmask_b32_e32 v23, v24, v23, vcc
	v_mul_f32_e32 v28, v22, v23
.LBB228_37:                             ;   in Loop: Header=BB228_5 Depth=1
	s_or_b64 exec, exec, s[24:25]
	v_cmp_gt_f32_e32 vcc, 0, v11
                                        ; implicit-def: $vgpr29
	s_nop 1
	v_cndmask_b32_e64 v22, v11, -v11, vcc
	v_cmp_gt_f32_e32 vcc, 0, v16
	s_nop 1
	v_cndmask_b32_e64 v23, v16, -v16, vcc
	v_cmp_ngt_f32_e32 vcc, v22, v23
	s_and_saveexec_b64 s[4:5], vcc
	s_xor_b64 s[24:25], exec, s[4:5]
	s_cbranch_execz .LBB228_41
; %bb.38:                               ;   in Loop: Header=BB228_5 Depth=1
	v_mov_b32_e32 v29, 0
	v_cmp_neq_f32_e32 vcc, 0, v16
	s_and_saveexec_b64 s[26:27], vcc
	s_cbranch_execz .LBB228_40
; %bb.39:                               ;   in Loop: Header=BB228_5 Depth=1
	v_div_scale_f32 v24, s[4:5], v23, v23, v22
	v_rcp_f32_e32 v25, v24
	v_div_scale_f32 v26, vcc, v22, v23, v22
	v_fma_f32 v27, -v24, v25, 1.0
	v_fmac_f32_e32 v25, v27, v25
	v_mul_f32_e32 v27, v26, v25
	v_fma_f32 v29, -v24, v27, v26
	v_fmac_f32_e32 v27, v29, v25
	v_fma_f32 v24, -v24, v27, v26
	v_div_fmas_f32 v24, v24, v25, v27
	v_div_fixup_f32 v22, v24, v23, v22
	v_fma_f32 v22, v22, v22, 1.0
	v_mul_f32_e32 v24, 0x4f800000, v22
	v_cmp_gt_f32_e32 vcc, s34, v22
	s_nop 1
	v_cndmask_b32_e32 v22, v22, v24, vcc
	v_sqrt_f32_e32 v24, v22
	s_nop 0
	v_add_u32_e32 v25, -1, v24
	v_fma_f32 v26, -v25, v24, v22
	v_cmp_ge_f32_e64 s[4:5], 0, v26
	v_add_u32_e32 v26, 1, v24
	s_nop 0
	v_cndmask_b32_e64 v25, v24, v25, s[4:5]
	v_fma_f32 v24, -v26, v24, v22
	v_cmp_lt_f32_e64 s[4:5], 0, v24
	s_nop 1
	v_cndmask_b32_e64 v24, v25, v26, s[4:5]
	v_mul_f32_e32 v25, 0x37800000, v24
	v_cndmask_b32_e32 v24, v24, v25, vcc
	v_cmp_class_f32_e32 vcc, v22, v47
	s_nop 1
	v_cndmask_b32_e32 v22, v24, v22, vcc
	v_mul_f32_e32 v29, v23, v22
.LBB228_40:                             ;   in Loop: Header=BB228_5 Depth=1
	s_or_b64 exec, exec, s[26:27]
                                        ; implicit-def: $vgpr22
                                        ; implicit-def: $vgpr23
.LBB228_41:                             ;   in Loop: Header=BB228_5 Depth=1
	s_andn2_saveexec_b64 s[24:25], s[24:25]
	s_cbranch_execz .LBB228_43
; %bb.42:                               ;   in Loop: Header=BB228_5 Depth=1
	v_div_scale_f32 v24, s[4:5], v22, v22, v23
	v_rcp_f32_e32 v25, v24
	v_div_scale_f32 v26, vcc, v23, v22, v23
	v_fma_f32 v27, -v24, v25, 1.0
	v_fmac_f32_e32 v25, v27, v25
	v_mul_f32_e32 v27, v26, v25
	v_fma_f32 v29, -v24, v27, v26
	v_fmac_f32_e32 v27, v29, v25
	v_fma_f32 v24, -v24, v27, v26
	v_div_fmas_f32 v24, v24, v25, v27
	v_div_fixup_f32 v23, v24, v22, v23
	v_fma_f32 v23, v23, v23, 1.0
	v_mul_f32_e32 v24, 0x4f800000, v23
	v_cmp_gt_f32_e32 vcc, s34, v23
	s_nop 1
	v_cndmask_b32_e32 v23, v23, v24, vcc
	v_sqrt_f32_e32 v24, v23
	s_nop 0
	v_add_u32_e32 v25, -1, v24
	v_fma_f32 v26, -v25, v24, v23
	v_cmp_ge_f32_e64 s[4:5], 0, v26
	v_add_u32_e32 v26, 1, v24
	s_nop 0
	v_cndmask_b32_e64 v25, v24, v25, s[4:5]
	v_fma_f32 v24, -v26, v24, v23
	v_cmp_lt_f32_e64 s[4:5], 0, v24
	s_nop 1
	v_cndmask_b32_e64 v24, v25, v26, s[4:5]
	v_mul_f32_e32 v25, 0x37800000, v24
	v_cndmask_b32_e32 v24, v24, v25, vcc
	v_cmp_class_f32_e32 vcc, v23, v47
	s_nop 1
	v_cndmask_b32_e32 v23, v24, v23, vcc
	v_mul_f32_e32 v29, v22, v23
.LBB228_43:                             ;   in Loop: Header=BB228_5 Depth=1
	s_or_b64 exec, exec, s[24:25]
	v_cmp_gt_f32_e32 vcc, 0, v6
                                        ; implicit-def: $vgpr30
	s_nop 1
	v_cndmask_b32_e64 v22, v6, -v6, vcc
	v_cmp_gt_f32_e32 vcc, 0, v7
	s_nop 1
	v_cndmask_b32_e64 v23, v7, -v7, vcc
	v_cmp_ngt_f32_e32 vcc, v22, v23
	s_and_saveexec_b64 s[4:5], vcc
	s_xor_b64 s[24:25], exec, s[4:5]
	s_cbranch_execz .LBB228_47
; %bb.44:                               ;   in Loop: Header=BB228_5 Depth=1
	v_mov_b32_e32 v30, 0
	v_cmp_neq_f32_e32 vcc, 0, v7
	s_and_saveexec_b64 s[26:27], vcc
	s_cbranch_execz .LBB228_46
; %bb.45:                               ;   in Loop: Header=BB228_5 Depth=1
	v_div_scale_f32 v24, s[4:5], v23, v23, v22
	v_rcp_f32_e32 v25, v24
	v_div_scale_f32 v26, vcc, v22, v23, v22
	v_fma_f32 v27, -v24, v25, 1.0
	v_fmac_f32_e32 v25, v27, v25
	v_mul_f32_e32 v27, v26, v25
	v_fma_f32 v30, -v24, v27, v26
	v_fmac_f32_e32 v27, v30, v25
	v_fma_f32 v24, -v24, v27, v26
	v_div_fmas_f32 v24, v24, v25, v27
	v_div_fixup_f32 v22, v24, v23, v22
	v_fma_f32 v22, v22, v22, 1.0
	v_mul_f32_e32 v24, 0x4f800000, v22
	v_cmp_gt_f32_e32 vcc, s34, v22
	s_nop 1
	v_cndmask_b32_e32 v22, v22, v24, vcc
	v_sqrt_f32_e32 v24, v22
	s_nop 0
	v_add_u32_e32 v25, -1, v24
	v_fma_f32 v26, -v25, v24, v22
	v_cmp_ge_f32_e64 s[4:5], 0, v26
	v_add_u32_e32 v26, 1, v24
	s_nop 0
	v_cndmask_b32_e64 v25, v24, v25, s[4:5]
	v_fma_f32 v24, -v26, v24, v22
	v_cmp_lt_f32_e64 s[4:5], 0, v24
	s_nop 1
	v_cndmask_b32_e64 v24, v25, v26, s[4:5]
	v_mul_f32_e32 v25, 0x37800000, v24
	v_cndmask_b32_e32 v24, v24, v25, vcc
	v_cmp_class_f32_e32 vcc, v22, v47
	s_nop 1
	v_cndmask_b32_e32 v22, v24, v22, vcc
	v_mul_f32_e32 v30, v23, v22
.LBB228_46:                             ;   in Loop: Header=BB228_5 Depth=1
	s_or_b64 exec, exec, s[26:27]
                                        ; implicit-def: $vgpr22
                                        ; implicit-def: $vgpr23
.LBB228_47:                             ;   in Loop: Header=BB228_5 Depth=1
	s_andn2_saveexec_b64 s[24:25], s[24:25]
	s_cbranch_execz .LBB228_49
; %bb.48:                               ;   in Loop: Header=BB228_5 Depth=1
	v_div_scale_f32 v24, s[4:5], v22, v22, v23
	v_rcp_f32_e32 v25, v24
	v_div_scale_f32 v26, vcc, v23, v22, v23
	v_fma_f32 v27, -v24, v25, 1.0
	v_fmac_f32_e32 v25, v27, v25
	v_mul_f32_e32 v27, v26, v25
	v_fma_f32 v30, -v24, v27, v26
	v_fmac_f32_e32 v27, v30, v25
	v_fma_f32 v24, -v24, v27, v26
	v_div_fmas_f32 v24, v24, v25, v27
	v_div_fixup_f32 v23, v24, v22, v23
	v_fma_f32 v23, v23, v23, 1.0
	v_mul_f32_e32 v24, 0x4f800000, v23
	v_cmp_gt_f32_e32 vcc, s34, v23
	s_nop 1
	v_cndmask_b32_e32 v23, v23, v24, vcc
	v_sqrt_f32_e32 v24, v23
	s_nop 0
	v_add_u32_e32 v25, -1, v24
	v_fma_f32 v26, -v25, v24, v23
	v_cmp_ge_f32_e64 s[4:5], 0, v26
	v_add_u32_e32 v26, 1, v24
	s_nop 0
	v_cndmask_b32_e64 v25, v24, v25, s[4:5]
	v_fma_f32 v24, -v26, v24, v23
	v_cmp_lt_f32_e64 s[4:5], 0, v24
	s_nop 1
	v_cndmask_b32_e64 v24, v25, v26, s[4:5]
	v_mul_f32_e32 v25, 0x37800000, v24
	v_cndmask_b32_e32 v24, v24, v25, vcc
	v_cmp_class_f32_e32 vcc, v23, v47
	s_nop 1
	v_cndmask_b32_e32 v23, v24, v23, vcc
	v_mul_f32_e32 v30, v22, v23
.LBB228_49:                             ;   in Loop: Header=BB228_5 Depth=1
	s_or_b64 exec, exec, s[24:25]
	v_pk_add_f32 v[22:23], v[8:9], 0 neg_lo:[1,1] neg_hi:[1,1]
                                        ; implicit-def: $vgpr33
	s_nop 0
	v_pk_mov_b32 v[26:27], v[22:23], v[8:9] op_sel:[1,0]
	s_nop 0
	v_pk_mul_f32 v[24:25], v[14:15], v[26:27] op_sel:[1,0]
	s_nop 0
	v_pk_fma_f32 v[24:25], v[8:9], v[14:15], v[24:25] op_sel_hi:[1,0,1]
	s_nop 0
	v_cmp_gt_f32_e32 vcc, 0, v24
	s_nop 1
	v_cndmask_b32_e64 v31, v24, -v24, vcc
	v_cmp_gt_f32_e32 vcc, 0, v25
	s_nop 1
	v_cndmask_b32_e64 v32, v25, -v25, vcc
	v_cmp_ngt_f32_e32 vcc, v31, v32
	s_and_saveexec_b64 s[4:5], vcc
	s_xor_b64 s[24:25], exec, s[4:5]
	s_cbranch_execz .LBB228_53
; %bb.50:                               ;   in Loop: Header=BB228_5 Depth=1
	v_mov_b32_e32 v33, 0
	v_cmp_neq_f32_e32 vcc, 0, v25
	s_and_saveexec_b64 s[26:27], vcc
	s_cbranch_execz .LBB228_52
; %bb.51:                               ;   in Loop: Header=BB228_5 Depth=1
	v_div_scale_f32 v33, s[4:5], v32, v32, v31
	v_rcp_f32_e32 v34, v33
	v_div_scale_f32 v35, vcc, v31, v32, v31
	v_fma_f32 v36, -v33, v34, 1.0
	v_fmac_f32_e32 v34, v36, v34
	v_mul_f32_e32 v36, v35, v34
	v_fma_f32 v37, -v33, v36, v35
	v_fmac_f32_e32 v36, v37, v34
	v_fma_f32 v33, -v33, v36, v35
	v_div_fmas_f32 v33, v33, v34, v36
	v_div_fixup_f32 v31, v33, v32, v31
	v_fma_f32 v31, v31, v31, 1.0
	v_mul_f32_e32 v33, 0x4f800000, v31
	v_cmp_gt_f32_e32 vcc, s34, v31
	s_nop 1
	v_cndmask_b32_e32 v31, v31, v33, vcc
	v_sqrt_f32_e32 v33, v31
	s_nop 0
	v_add_u32_e32 v34, -1, v33
	v_fma_f32 v35, -v34, v33, v31
	v_cmp_ge_f32_e64 s[4:5], 0, v35
	v_add_u32_e32 v35, 1, v33
	s_nop 0
	v_cndmask_b32_e64 v34, v33, v34, s[4:5]
	v_fma_f32 v33, -v35, v33, v31
	v_cmp_lt_f32_e64 s[4:5], 0, v33
	s_nop 1
	v_cndmask_b32_e64 v33, v34, v35, s[4:5]
	v_mul_f32_e32 v34, 0x37800000, v33
	v_cndmask_b32_e32 v33, v33, v34, vcc
	v_cmp_class_f32_e32 vcc, v31, v47
	s_nop 1
	v_cndmask_b32_e32 v31, v33, v31, vcc
	v_mul_f32_e32 v33, v32, v31
.LBB228_52:                             ;   in Loop: Header=BB228_5 Depth=1
	s_or_b64 exec, exec, s[26:27]
                                        ; implicit-def: $vgpr31
                                        ; implicit-def: $vgpr32
.LBB228_53:                             ;   in Loop: Header=BB228_5 Depth=1
	s_andn2_saveexec_b64 s[24:25], s[24:25]
	s_cbranch_execz .LBB228_55
; %bb.54:                               ;   in Loop: Header=BB228_5 Depth=1
	v_div_scale_f32 v33, s[4:5], v31, v31, v32
	v_rcp_f32_e32 v34, v33
	v_div_scale_f32 v35, vcc, v32, v31, v32
	v_fma_f32 v36, -v33, v34, 1.0
	v_fmac_f32_e32 v34, v36, v34
	v_mul_f32_e32 v36, v35, v34
	v_fma_f32 v37, -v33, v36, v35
	v_fmac_f32_e32 v36, v37, v34
	v_fma_f32 v33, -v33, v36, v35
	v_div_fmas_f32 v33, v33, v34, v36
	v_div_fixup_f32 v32, v33, v31, v32
	v_fma_f32 v32, v32, v32, 1.0
	v_mul_f32_e32 v33, 0x4f800000, v32
	v_cmp_gt_f32_e32 vcc, s34, v32
	s_nop 1
	v_cndmask_b32_e32 v32, v32, v33, vcc
	v_sqrt_f32_e32 v33, v32
	s_nop 0
	v_add_u32_e32 v34, -1, v33
	v_fma_f32 v35, -v34, v33, v32
	v_cmp_ge_f32_e64 s[4:5], 0, v35
	v_add_u32_e32 v35, 1, v33
	s_nop 0
	v_cndmask_b32_e64 v34, v33, v34, s[4:5]
	v_fma_f32 v33, -v35, v33, v32
	v_cmp_lt_f32_e64 s[4:5], 0, v33
	s_nop 1
	v_cndmask_b32_e64 v33, v34, v35, s[4:5]
	v_mul_f32_e32 v34, 0x37800000, v33
	v_cndmask_b32_e32 v33, v33, v34, vcc
	v_cmp_class_f32_e32 vcc, v32, v47
	s_nop 1
	v_cndmask_b32_e32 v32, v33, v32, vcc
	v_mul_f32_e32 v33, v31, v32
.LBB228_55:                             ;   in Loop: Header=BB228_5 Depth=1
	s_or_b64 exec, exec, s[24:25]
	v_cmp_lt_f32_e32 vcc, v5, v10
	v_cvt_f64_f32_e32 v[30:31], v30
	v_cmp_ne_u32_e64 s[4:5], s30, v4
	v_cndmask_b32_e32 v5, v5, v10, vcc
	v_cmp_lt_f32_e32 vcc, v17, v5
	s_nop 1
	v_cndmask_b32_e32 v5, v17, v5, vcc
	v_cmp_lt_f32_e32 vcc, v28, v5
	s_nop 1
	;; [unrolled: 3-line block ×3, first 2 shown]
	v_cndmask_b32_e32 v5, v29, v5, vcc
	v_cvt_f64_f32_e32 v[28:29], v5
	v_mul_f64 v[28:29], v[28:29], v[30:31]
	v_cvt_f64_f32_e32 v[30:31], v33
	v_mul_f64 v[30:31], v[30:31], s[22:23]
	v_cmp_nge_f64_e32 vcc, v[28:29], v[30:31]
	s_and_b64 s[4:5], s[4:5], vcc
	s_and_saveexec_b64 s[24:25], s[4:5]
	s_xor_b64 s[4:5], exec, s[24:25]
	s_cbranch_execz .LBB228_61
; %bb.56:                               ;   in Loop: Header=BB228_5 Depth=1
	v_add_u32_e32 v30, v46, v4
	v_ashrrev_i32_e32 v31, 31, v30
	v_ashrrev_i32_e32 v5, 31, v4
	v_lshlrev_b64 v[34:35], 3, v[20:21]
	v_lshlrev_b64 v[26:27], 3, v[30:31]
	v_lshl_add_u64 v[52:53], v[4:5], 3, v[2:3]
	v_lshl_add_u64 v[54:55], s[12:13], 0, v[34:35]
	;; [unrolled: 1-line block ×3, first 2 shown]
	global_load_dwordx2 v[44:45], v[52:53], off
	global_load_dwordx2 v[56:57], v[42:43], off
	;; [unrolled: 1-line block ×3, first 2 shown]
	v_lshl_add_u64 v[32:33], s[12:13], 0, v[26:27]
	global_load_dwordx2 v[40:41], v[32:33], off
	v_xor_b32_e32 v28, 0x80000000, v7
	v_mov_b32_e32 v29, v6
	v_lshl_add_u64 v[62:63], v[20:21], 2, s[6:7]
	v_pk_mul_f32 v[20:21], v[12:13], v[28:29] op_sel:[1,0]
	v_pk_add_f32 v[60:61], v[14:15], 0 neg_lo:[1,1] neg_hi:[1,1]
	v_pk_fma_f32 v[20:21], v[6:7], v[12:13], v[20:21] op_sel_hi:[1,0,1]
	v_mov_b32_e32 v36, v11
	v_pk_add_f32 v[20:21], v[20:21], v[24:25] neg_lo:[0,1] neg_hi:[0,1]
	v_mov_b32_e32 v37, v16
	v_mul_f32_e32 v5, v21, v21
	v_fmac_f32_e32 v5, v20, v20
	v_fma_f32 v24, 0, v21, v20
	v_fma_f32 v21, v20, 0, -v21
	v_div_scale_f32 v20, s[24:25], v5, v5, 1.0
	v_rcp_f32_e32 v25, v20
	v_div_scale_f32 v51, vcc, 1.0, v5, 1.0
	v_pk_mov_b32 v[64:65], v[60:61], v[14:15] op_sel:[1,0]
	v_fma_f32 v66, -v20, v25, 1.0
	v_fmac_f32_e32 v25, v66, v25
	v_mul_f32_e32 v66, v51, v25
	v_fma_f32 v67, -v20, v66, v51
	v_fmac_f32_e32 v66, v67, v25
	v_fma_f32 v20, -v20, v66, v51
	v_pk_mov_b32 v[60:61], v[14:15], v[60:61] op_sel:[1,0]
	v_div_fmas_f32 v20, v20, v25, v66
	v_pk_mul_f32 v[60:61], v[36:37], v[60:61] op_sel:[1,0]
	v_div_fixup_f32 v5, v20, v5, 1.0
	v_pk_fma_f32 v[36:37], v[14:15], v[36:37], v[60:61] op_sel_hi:[1,0,1] neg_lo:[1,0,0] neg_hi:[1,0,0]
	v_mul_f32_e32 v20, v24, v5
	v_mul_f32_e32 v24, v21, v5
	v_xor_b32_e32 v60, 0x80000000, v37
	v_mov_b32_e32 v61, v36
	v_mov_b32_e32 v25, v24
	v_xor_b32_e32 v58, 0x80000000, v13
	v_mov_b32_e32 v59, v12
	v_mov_b32_e32 v21, v20
	v_pk_mul_f32 v[60:61], v[24:25], v[60:61] op_sel_hi:[0,1]
	v_lshl_add_u64 v[34:35], s[14:15], 0, v[34:35]
	v_pk_fma_f32 v[36:37], v[36:37], v[20:21], v[60:61] op_sel_hi:[1,0,1]
	global_store_dwordx2 v[34:35], v[36:37], off
	v_mov_b32_e32 v26, v6
	v_mov_b32_e32 v27, v6
	;; [unrolled: 1-line block ×4, first 2 shown]
	s_waitcnt vmcnt(4)
	v_pk_mul_f32 v[60:61], v[44:45], v[58:59] op_sel:[1,0]
	s_waitcnt vmcnt(3)
	v_pk_mul_f32 v[66:67], v[56:57], v[64:65] op_sel:[1,0]
	;; [unrolled: 2-line block ×3, first 2 shown]
	v_mov_b32_e32 v36, v45
	v_mov_b32_e32 v37, v45
	;; [unrolled: 1-line block ×4, first 2 shown]
	v_pk_fma_f32 v[60:61], v[12:13], v[44:45], v[60:61] op_sel_hi:[1,0,1]
	v_pk_fma_f32 v[58:59], v[12:13], v[38:39], v[58:59] op_sel_hi:[1,0,1]
	v_mov_b32_e32 v44, v57
	v_mov_b32_e32 v45, v57
	v_mov_b32_e32 v12, v56
	v_mov_b32_e32 v13, v56
	s_waitcnt vmcnt(1)
	v_pk_mul_f32 v[64:65], v[40:41], v[64:65] op_sel:[1,0]
	v_pk_fma_f32 v[56:57], v[14:15], v[56:57], v[66:67] op_sel_hi:[1,0,1]
	v_pk_fma_f32 v[14:15], v[14:15], v[40:41], v[64:65] op_sel_hi:[1,0,1]
	v_pk_add_f32 v[56:57], v[60:61], v[56:57] neg_lo:[0,1] neg_hi:[0,1]
	v_pk_add_f32 v[14:15], v[58:59], v[14:15] neg_lo:[0,1] neg_hi:[0,1]
	v_xor_b32_e32 v58, 0x80000000, v57
	v_mov_b32_e32 v59, v56
	v_xor_b32_e32 v60, 0x80000000, v15
	v_mov_b32_e32 v61, v14
	v_pk_mul_f32 v[58:59], v[24:25], v[58:59] op_sel_hi:[0,1]
	v_pk_mul_f32 v[60:61], v[24:25], v[60:61] op_sel_hi:[0,1]
	v_pk_fma_f32 v[56:57], v[56:57], v[20:21], v[58:59] op_sel_hi:[1,0,1]
	v_pk_fma_f32 v[14:15], v[14:15], v[20:21], v[60:61] op_sel_hi:[1,0,1]
	global_store_dwordx2 v[52:53], v[56:57], off
	global_store_dwordx2 v[54:55], v[14:15], off
	global_store_dword v[62:63], v48, off
	s_and_saveexec_b64 s[24:25], s[0:1]
	s_cbranch_execz .LBB228_58
; %bb.57:                               ;   in Loop: Header=BB228_5 Depth=1
	v_mov_b32_e32 v14, v39
	v_mov_b32_e32 v15, v39
	v_pk_mov_b32 v[54:55], v[8:9], v[22:23] op_sel:[1,0]
	v_mov_b32_e32 v39, v38
	v_mov_b32_e32 v52, v41
	;; [unrolled: 1-line block ×3, first 2 shown]
	v_pk_mul_f32 v[14:15], v[54:55], v[14:15]
	v_mov_b32_e32 v41, v40
	v_pk_fma_f32 v[14:15], v[8:9], v[38:39], v[14:15] neg_lo:[1,0,0] neg_hi:[1,0,0]
	v_pk_mul_f32 v[38:39], v[52:53], v[28:29]
	v_pk_mul_f32 v[56:57], v[54:55], v[36:37]
	v_pk_fma_f32 v[38:39], v[6:7], v[40:41], v[38:39]
	v_pk_mul_f32 v[58:59], v[44:45], v[28:29]
	v_pk_add_f32 v[14:15], v[14:15], v[38:39]
	v_pk_fma_f32 v[56:57], v[8:9], v[34:35], v[56:57] neg_lo:[1,0,0] neg_hi:[1,0,0]
	v_xor_b32_e32 v38, 0x80000000, v15
	v_mov_b32_e32 v39, v14
	v_pk_mul_f32 v[38:39], v[24:25], v[38:39]
	v_pk_fma_f32 v[58:59], v[6:7], v[12:13], v[58:59]
	v_pk_fma_f32 v[14:15], v[14:15], v[20:21], v[38:39]
	global_store_dwordx2 v[32:33], v[14:15], off
	v_pk_mul_f32 v[32:33], v[16:17], v[28:29]
	v_pk_add_f32 v[56:57], v[56:57], v[58:59]
	v_pk_fma_f32 v[32:33], v[6:7], v[10:11], v[32:33]
	v_xor_b32_e32 v58, 0x80000000, v57
	v_xor_b32_e32 v38, 0x80000000, v33
	v_mov_b32_e32 v39, v32
	v_mov_b32_e32 v59, v56
	v_pk_mul_f32 v[38:39], v[24:25], v[38:39]
	v_pk_mul_f32 v[58:59], v[24:25], v[58:59]
	v_lshl_add_u64 v[14:15], v[30:31], 3, s[14:15]
	v_pk_fma_f32 v[32:33], v[32:33], v[20:21], v[38:39]
	v_pk_fma_f32 v[56:57], v[56:57], v[20:21], v[58:59]
	global_store_dwordx2 v[14:15], v[32:33], off
	v_lshl_add_u64 v[14:15], v[30:31], 2, s[6:7]
	global_store_dwordx2 v[42:43], v[56:57], off
	global_store_dword v[14:15], v48, off
.LBB228_58:                             ;   in Loop: Header=BB228_5 Depth=1
	s_or_b64 exec, exec, s[24:25]
	v_mov_b32_e32 v51, v50
	v_mov_b64_e32 v[14:15], v[50:51]
	s_and_saveexec_b64 s[24:25], s[2:3]
	s_cbranch_execz .LBB228_60
; %bb.59:                               ;   in Loop: Header=BB228_5 Depth=1
	v_add_u32_e32 v14, v1, v4
	v_ashrrev_i32_e32 v15, 31, v14
	v_lshlrev_b64 v[14:15], 3, v[14:15]
	v_lshl_add_u64 v[30:31], s[10:11], 0, v[14:15]
	v_lshl_add_u64 v[14:15], s[18:19], 0, v[14:15]
	global_load_dwordx2 v[32:33], v[30:31], off
	v_mov_b32_e32 v38, v19
	global_load_dwordx2 v[14:15], v[14:15], off
	v_pk_mov_b32 v[22:23], v[8:9], v[22:23] op_sel:[1,0]
	v_xor_b32_e32 v40, 0x80000000, v19
	v_mov_b32_e32 v41, v18
	v_pk_mul_f32 v[22:23], v[38:39], v[22:23] op_sel_hi:[0,1]
	v_pk_mul_f32 v[28:29], v[38:39], v[28:29] op_sel_hi:[0,1]
	v_pk_mul_f32 v[38:39], v[6:7], v[40:41] op_sel:[1,0]
	v_pk_fma_f32 v[8:9], v[8:9], v[18:19], v[22:23] op_sel_hi:[1,0,1] neg_lo:[1,0,0] neg_hi:[1,0,0]
	v_pk_fma_f32 v[6:7], v[6:7], v[18:19], v[28:29] op_sel_hi:[1,0,1]
	v_pk_fma_f32 v[18:19], v[18:19], v[26:27], v[38:39]
	v_xor_b32_e32 v22, 0x80000000, v9
	v_mov_b32_e32 v23, v8
	v_xor_b32_e32 v26, 0x80000000, v7
	v_mov_b32_e32 v27, v6
	;; [unrolled: 2-line block ×3, first 2 shown]
	v_pk_mul_f32 v[22:23], v[24:25], v[22:23]
	v_pk_mul_f32 v[26:27], v[24:25], v[26:27]
	;; [unrolled: 1-line block ×3, first 2 shown]
	v_pk_fma_f32 v[8:9], v[8:9], v[20:21], v[22:23]
	v_pk_fma_f32 v[6:7], v[6:7], v[20:21], v[26:27]
	;; [unrolled: 1-line block ×3, first 2 shown]
	v_pk_add_f32 v[16:17], v[8:9], 0 neg_lo:[1,1] neg_hi:[1,1]
	v_xor_b32_e32 v18, 0x80000000, v7
	v_mov_b32_e32 v19, v6
	v_pk_mov_b32 v[16:17], v[8:9], v[16:17] op_sel:[1,0]
	v_xor_b32_e32 v22, 0x80000000, v11
	v_mov_b32_e32 v23, v10
	v_pk_mul_f32 v[18:19], v[44:45], v[18:19]
	v_pk_mul_f32 v[16:17], v[16:17], v[36:37]
	;; [unrolled: 1-line block ×3, first 2 shown]
	v_pk_fma_f32 v[6:7], v[6:7], v[12:13], v[18:19]
	v_pk_fma_f32 v[8:9], v[8:9], v[34:35], v[16:17] neg_lo:[1,0,0] neg_hi:[1,0,0]
	v_pk_fma_f32 v[10:11], v[10:11], v[20:21], v[22:23]
	v_pk_add_f32 v[6:7], v[8:9], v[6:7] neg_lo:[0,1] neg_hi:[0,1]
	s_waitcnt vmcnt(0)
	v_pk_add_f32 v[14:15], v[14:15], v[10:11] neg_lo:[0,1] neg_hi:[0,1]
	v_pk_add_f32 v[6:7], v[6:7], v[32:33]
	global_store_dwordx2 v[30:31], v[6:7], off
.LBB228_60:                             ;   in Loop: Header=BB228_5 Depth=1
	s_or_b64 exec, exec, s[24:25]
	v_mov_b64_e32 v[6:7], v[14:15]
                                        ; implicit-def: $vgpr24_vgpr25
                                        ; implicit-def: $vgpr12_vgpr13
                                        ; implicit-def: $vgpr20_vgpr21
                                        ; implicit-def: $vgpr14_vgpr15
                                        ; implicit-def: $vgpr26_vgpr27
                                        ; implicit-def: $vgpr8_vgpr9
.LBB228_61:                             ;   in Loop: Header=BB228_5 Depth=1
	s_or_saveexec_b64 s[2:3], s[4:5]
	v_mov_b32_e32 v5, s33
	s_xor_b64 exec, exec, s[2:3]
	s_cbranch_execz .LBB228_4
; %bb.62:                               ;   in Loop: Header=BB228_5 Depth=1
	v_ashrrev_i32_e32 v5, 31, v4
	v_lshlrev_b64 v[16:17], 3, v[20:21]
	v_lshl_add_u64 v[18:19], v[4:5], 3, v[2:3]
	v_lshl_add_u64 v[22:23], s[12:13], 0, v[16:17]
	global_load_dwordx2 v[10:11], v[18:19], off
	global_load_dwordx2 v[28:29], v[22:23], off
	v_mul_f32_e32 v5, v7, v7
	v_fmac_f32_e32 v5, v6, v6
	v_fma_f32 v34, 0, v7, v6
	v_fma_f32 v7, v6, 0, -v7
	v_div_scale_f32 v6, s[4:5], v5, v5, 1.0
	v_lshl_add_u64 v[32:33], s[14:15], 0, v[16:17]
	v_rcp_f32_e32 v16, v6
	v_div_scale_f32 v17, vcc, 1.0, v5, 1.0
	v_pk_add_f32 v[30:31], v[14:15], 0 neg_lo:[1,1] neg_hi:[1,1]
	v_fma_f32 v35, -v6, v16, 1.0
	v_fmac_f32_e32 v16, v35, v16
	v_mul_f32_e32 v35, v17, v16
	v_fma_f32 v36, -v6, v35, v17
	v_fmac_f32_e32 v35, v36, v16
	v_fma_f32 v6, -v6, v35, v17
	v_div_fmas_f32 v6, v6, v16, v35
	v_div_fixup_f32 v5, v6, v5, 1.0
	v_pk_mov_b32 v[30:31], v[30:31], v[14:15] op_sel:[1,0]
	v_mul_f32_e32 v16, v7, v5
	v_mul_f32_e32 v6, v34, v5
	v_pk_mul_f32 v[30:31], v[16:17], v[30:31] op_sel_hi:[0,1]
	v_pk_fma_f32 v[14:15], v[14:15], v[6:7], v[30:31] op_sel_hi:[1,0,1]
	global_store_dwordx2 v[32:33], v[14:15], off
	v_lshl_add_u64 v[20:21], v[20:21], 2, s[6:7]
	s_waitcnt vmcnt(2)
	v_xor_b32_e32 v30, 0x80000000, v11
	v_mov_b32_e32 v31, v10
	s_waitcnt vmcnt(1)
	v_pk_mul_f32 v[32:33], v[16:17], v[28:29] op_sel:[0,1] op_sel_hi:[0,0] neg_lo:[0,1]
	v_mov_b32_e32 v14, v10
	v_mov_b32_e32 v15, v10
	v_pk_mul_f32 v[30:31], v[16:17], v[30:31] op_sel_hi:[0,1]
	v_pk_fma_f32 v[28:29], v[28:29], v[6:7], v[32:33] op_sel_hi:[1,0,1]
	v_pk_fma_f32 v[30:31], v[10:11], v[6:7], v[30:31] op_sel_hi:[1,0,1]
	global_store_dwordx2 v[22:23], v[28:29], off
	global_store_dwordx2 v[18:19], v[30:31], off
	global_store_dword v[20:21], v49, off
	s_and_saveexec_b64 s[4:5], s[0:1]
	s_cbranch_execz .LBB228_3
; %bb.63:                               ;   in Loop: Header=BB228_5 Depth=1
	v_add_u32_e32 v18, v46, v4
	v_ashrrev_i32_e32 v19, 31, v18
	v_lshl_add_u64 v[18:19], v[18:19], 3, s[10:11]
	global_load_dwordx2 v[20:21], v[18:19], off
	v_mov_b32_e32 v17, v16
	v_mov_b32_e32 v7, v6
	v_pk_mul_f32 v[22:23], v[16:17], v[26:27]
	s_nop 0
	v_pk_fma_f32 v[8:9], v[8:9], v[6:7], v[22:23]
	s_nop 0
	v_pk_add_f32 v[22:23], v[8:9], 0 neg_lo:[1,1] neg_hi:[1,1]
	s_nop 0
	v_pk_mov_b32 v[22:23], v[8:9], v[22:23] op_sel:[1,0]
	s_nop 0
	v_pk_mul_f32 v[10:11], v[22:23], v[10:11] op_sel:[0,1]
	s_nop 0
	v_pk_fma_f32 v[8:9], v[8:9], v[14:15], v[10:11] neg_lo:[1,0,0] neg_hi:[1,0,0]
	s_waitcnt vmcnt(0)
	v_pk_add_f32 v[8:9], v[8:9], v[20:21]
	global_store_dwordx2 v[18:19], v[8:9], off
	s_branch .LBB228_3
.LBB228_64:
	s_or_b64 exec, exec, s[20:21]
.LBB228_65:
	v_subrev_u32_e32 v1, s28, v4
	v_add_u32_e32 v4, v1, v0
	v_ashrrev_i32_e32 v5, 31, v4
	s_waitcnt lgkmcnt(0)
	v_lshl_add_u64 v[4:5], v[4:5], 2, s[6:7]
	buffer_wbl2 sc1
	s_waitcnt vmcnt(0)
	buffer_inv sc1
	global_load_dword v4, v[4:5], off
	s_waitcnt vmcnt(0)
	v_mul_lo_u32 v4, v4, s28
	v_sub_u32_e32 v4, v1, v4
	v_cmp_lt_i32_e32 vcc, -1, v4
	s_and_b64 exec, exec, vcc
	s_cbranch_execz .LBB228_72
; %bb.66:
	v_subrev_u32_e32 v1, s28, v0
	s_lshl_b32 s4, s28, 1
	s_mov_b64 s[0:1], 0
	s_branch .LBB228_68
.LBB228_67:                             ;   in Loop: Header=BB228_68 Depth=1
	s_or_b64 exec, exec, s[2:3]
	v_lshl_add_u64 v[6:7], v[6:7], 3, s[12:13]
	global_load_dwordx2 v[8:9], v[6:7], off
	v_sub_u32_e32 v4, v4, v5
	v_cmp_gt_i32_e32 vcc, 0, v4
	s_or_b64 s[0:1], vcc, s[0:1]
	s_waitcnt vmcnt(0)
	v_pk_add_f32 v[8:9], v[8:9], v[10:11]
	global_store_dwordx2 v[6:7], v[8:9], off
	s_andn2_b64 exec, exec, s[0:1]
	s_cbranch_execz .LBB228_72
.LBB228_68:                             ; =>This Inner Loop Header: Depth=1
	v_add_u32_e32 v6, v4, v0
	v_ashrrev_i32_e32 v7, 31, v6
	v_lshl_add_u64 v[8:9], v[6:7], 2, s[6:7]
	global_load_dword v5, v[8:9], off
	v_lshl_add_u64 v[8:9], v[6:7], 3, s[14:15]
	global_load_dwordx2 v[8:9], v[8:9], off
                                        ; implicit-def: $vgpr10_vgpr11
	s_waitcnt vmcnt(1)
	v_cmp_ne_u32_e32 vcc, 1, v5
	s_and_saveexec_b64 s[2:3], vcc
	s_xor_b64 s[2:3], exec, s[2:3]
	s_cbranch_execz .LBB228_70
; %bb.69:                               ;   in Loop: Header=BB228_68 Depth=1
	v_add_u32_e32 v10, v46, v4
	v_ashrrev_i32_e32 v11, 31, v10
	v_lshlrev_b64 v[10:11], 3, v[10:11]
	v_lshl_add_u64 v[12:13], s[10:11], 0, v[10:11]
	global_load_dwordx2 v[14:15], v[12:13], off
	v_ashrrev_i32_e32 v5, 31, v4
	v_lshl_add_u64 v[10:11], s[12:13], 0, v[10:11]
	global_load_dwordx2 v[16:17], v[10:11], off
	v_lshl_add_u64 v[18:19], v[4:5], 3, v[2:3]
	global_load_dwordx2 v[20:21], v[18:19], off
	v_lshl_add_u64 v[6:7], v[6:7], 3, s[12:13]
	global_load_dwordx2 v[22:23], v[6:7], off
	v_add_u32_e32 v24, v1, v4
	s_waitcnt vmcnt(4)
	v_pk_add_f32 v[26:27], v[8:9], 0 neg_lo:[1,1] neg_hi:[1,1]
	v_ashrrev_i32_e32 v25, 31, v24
	v_pk_mov_b32 v[26:27], v[8:9], v[26:27] op_sel:[1,0]
	v_lshlrev_b64 v[28:29], 3, v[24:25]
	v_lshl_add_u64 v[30:31], s[14:15], 0, v[28:29]
	global_load_dwordx2 v[30:31], v[30:31], off
	s_waitcnt vmcnt(4)
	v_pk_mul_f32 v[32:33], v[26:27], v[14:15] op_sel:[0,1]
	s_nop 0
	v_pk_fma_f32 v[14:15], v[8:9], v[14:15], v[32:33] op_sel_hi:[1,0,1] neg_lo:[1,0,0] neg_hi:[1,0,0]
	s_waitcnt vmcnt(3)
	v_pk_mul_f32 v[26:27], v[26:27], v[16:17] op_sel:[0,1]
	s_nop 0
	v_pk_fma_f32 v[8:9], v[8:9], v[16:17], v[26:27] op_sel_hi:[1,0,1] neg_lo:[1,0,0] neg_hi:[1,0,0]
	s_waitcnt vmcnt(2)
	v_pk_add_f32 v[14:15], v[20:21], v[14:15]
	s_waitcnt vmcnt(1)
	v_pk_add_f32 v[8:9], v[22:23], v[8:9]
	global_store_dwordx2 v[18:19], v[14:15], off
	global_store_dwordx2 v[6:7], v[8:9], off
	global_load_dwordx2 v[6:7], v[12:13], off
	s_nop 0
	global_load_dwordx2 v[8:9], v[10:11], off
	v_lshl_add_u64 v[12:13], s[10:11], 0, v[28:29]
	global_load_dwordx2 v[14:15], v[12:13], off
	s_waitcnt vmcnt(5)
	v_pk_add_f32 v[10:11], v[30:31], 0 neg_lo:[1,1] neg_hi:[1,1]
	s_nop 0
	v_pk_mov_b32 v[10:11], v[30:31], v[10:11] op_sel:[1,0]
	s_waitcnt vmcnt(2)
	v_pk_mul_f32 v[16:17], v[10:11], v[6:7] op_sel:[0,1]
	s_nop 0
	v_pk_fma_f32 v[6:7], v[30:31], v[6:7], v[16:17] op_sel_hi:[1,0,1] neg_lo:[1,0,0] neg_hi:[1,0,0]
	s_waitcnt vmcnt(1)
	v_pk_mul_f32 v[10:11], v[8:9], v[10:11] op_sel:[1,0]
	s_waitcnt vmcnt(0)
	v_pk_add_f32 v[6:7], v[14:15], v[6:7]
	v_pk_fma_f32 v[10:11], v[30:31], v[8:9], v[10:11] op_sel_hi:[1,0,1] neg_lo:[1,0,0] neg_hi:[1,0,0]
	global_store_dwordx2 v[12:13], v[6:7], off
	v_mov_b64_e32 v[6:7], v[24:25]
                                        ; implicit-def: $vgpr8_vgpr9
.LBB228_70:                             ;   in Loop: Header=BB228_68 Depth=1
	s_or_saveexec_b64 s[2:3], s[2:3]
	v_mov_b32_e32 v5, s4
	s_xor_b64 exec, exec, s[2:3]
	s_cbranch_execz .LBB228_67
; %bb.71:                               ;   in Loop: Header=BB228_68 Depth=1
	v_add_u32_e32 v10, v46, v4
	v_ashrrev_i32_e32 v11, 31, v10
	v_lshlrev_b64 v[10:11], 3, v[10:11]
	v_lshl_add_u64 v[12:13], s[10:11], 0, v[10:11]
	global_load_dwordx2 v[12:13], v[12:13], off
	v_lshl_add_u64 v[10:11], s[12:13], 0, v[10:11]
	v_ashrrev_i32_e32 v5, 31, v4
	global_load_dwordx2 v[10:11], v[10:11], off
	v_lshl_add_u64 v[14:15], v[4:5], 3, v[2:3]
	global_load_dwordx2 v[16:17], v[14:15], off
	s_waitcnt vmcnt(3)
	v_pk_add_f32 v[18:19], v[8:9], 0 neg_lo:[1,1] neg_hi:[1,1]
	v_mov_b32_e32 v5, s28
	v_pk_mov_b32 v[18:19], v[8:9], v[18:19] op_sel:[1,0]
	s_waitcnt vmcnt(2)
	v_pk_mul_f32 v[20:21], v[18:19], v[12:13] op_sel:[0,1]
	s_nop 0
	v_pk_fma_f32 v[12:13], v[8:9], v[12:13], v[20:21] op_sel_hi:[1,0,1] neg_lo:[1,0,0] neg_hi:[1,0,0]
	s_waitcnt vmcnt(1)
	v_pk_mul_f32 v[18:19], v[18:19], v[10:11] op_sel:[0,1]
	s_nop 0
	v_pk_fma_f32 v[10:11], v[8:9], v[10:11], v[18:19] op_sel_hi:[1,0,1] neg_lo:[1,0,0] neg_hi:[1,0,0]
	s_waitcnt vmcnt(0)
	v_pk_add_f32 v[8:9], v[16:17], v[12:13]
	global_store_dwordx2 v[14:15], v[8:9], off
	s_branch .LBB228_67
.LBB228_72:
	s_endpgm
	.section	.rodata,"a",@progbits
	.p2align	6, 0x0
	.amdhsa_kernel _ZN9rocsparseL18gtsv_LBM_wv_kernelILj256ELj32E21rocsparse_complex_numIfEEEviiiPKT1_S5_S5_PS3_S6_S6_Pi
		.amdhsa_group_segment_fixed_size 0
		.amdhsa_private_segment_fixed_size 0
		.amdhsa_kernarg_size 72
		.amdhsa_user_sgpr_count 2
		.amdhsa_user_sgpr_dispatch_ptr 0
		.amdhsa_user_sgpr_queue_ptr 0
		.amdhsa_user_sgpr_kernarg_segment_ptr 1
		.amdhsa_user_sgpr_dispatch_id 0
		.amdhsa_user_sgpr_kernarg_preload_length 0
		.amdhsa_user_sgpr_kernarg_preload_offset 0
		.amdhsa_user_sgpr_private_segment_size 0
		.amdhsa_uses_dynamic_stack 0
		.amdhsa_enable_private_segment 0
		.amdhsa_system_sgpr_workgroup_id_x 1
		.amdhsa_system_sgpr_workgroup_id_y 0
		.amdhsa_system_sgpr_workgroup_id_z 0
		.amdhsa_system_sgpr_workgroup_info 0
		.amdhsa_system_vgpr_workitem_id 0
		.amdhsa_next_free_vgpr 68
		.amdhsa_next_free_sgpr 35
		.amdhsa_accum_offset 68
		.amdhsa_reserve_vcc 1
		.amdhsa_float_round_mode_32 0
		.amdhsa_float_round_mode_16_64 0
		.amdhsa_float_denorm_mode_32 3
		.amdhsa_float_denorm_mode_16_64 3
		.amdhsa_dx10_clamp 1
		.amdhsa_ieee_mode 1
		.amdhsa_fp16_overflow 0
		.amdhsa_tg_split 0
		.amdhsa_exception_fp_ieee_invalid_op 0
		.amdhsa_exception_fp_denorm_src 0
		.amdhsa_exception_fp_ieee_div_zero 0
		.amdhsa_exception_fp_ieee_overflow 0
		.amdhsa_exception_fp_ieee_underflow 0
		.amdhsa_exception_fp_ieee_inexact 0
		.amdhsa_exception_int_div_zero 0
	.end_amdhsa_kernel
	.section	.text._ZN9rocsparseL18gtsv_LBM_wv_kernelILj256ELj32E21rocsparse_complex_numIfEEEviiiPKT1_S5_S5_PS3_S6_S6_Pi,"axG",@progbits,_ZN9rocsparseL18gtsv_LBM_wv_kernelILj256ELj32E21rocsparse_complex_numIfEEEviiiPKT1_S5_S5_PS3_S6_S6_Pi,comdat
.Lfunc_end228:
	.size	_ZN9rocsparseL18gtsv_LBM_wv_kernelILj256ELj32E21rocsparse_complex_numIfEEEviiiPKT1_S5_S5_PS3_S6_S6_Pi, .Lfunc_end228-_ZN9rocsparseL18gtsv_LBM_wv_kernelILj256ELj32E21rocsparse_complex_numIfEEEviiiPKT1_S5_S5_PS3_S6_S6_Pi
                                        ; -- End function
	.set _ZN9rocsparseL18gtsv_LBM_wv_kernelILj256ELj32E21rocsparse_complex_numIfEEEviiiPKT1_S5_S5_PS3_S6_S6_Pi.num_vgpr, 68
	.set _ZN9rocsparseL18gtsv_LBM_wv_kernelILj256ELj32E21rocsparse_complex_numIfEEEviiiPKT1_S5_S5_PS3_S6_S6_Pi.num_agpr, 0
	.set _ZN9rocsparseL18gtsv_LBM_wv_kernelILj256ELj32E21rocsparse_complex_numIfEEEviiiPKT1_S5_S5_PS3_S6_S6_Pi.numbered_sgpr, 35
	.set _ZN9rocsparseL18gtsv_LBM_wv_kernelILj256ELj32E21rocsparse_complex_numIfEEEviiiPKT1_S5_S5_PS3_S6_S6_Pi.num_named_barrier, 0
	.set _ZN9rocsparseL18gtsv_LBM_wv_kernelILj256ELj32E21rocsparse_complex_numIfEEEviiiPKT1_S5_S5_PS3_S6_S6_Pi.private_seg_size, 0
	.set _ZN9rocsparseL18gtsv_LBM_wv_kernelILj256ELj32E21rocsparse_complex_numIfEEEviiiPKT1_S5_S5_PS3_S6_S6_Pi.uses_vcc, 1
	.set _ZN9rocsparseL18gtsv_LBM_wv_kernelILj256ELj32E21rocsparse_complex_numIfEEEviiiPKT1_S5_S5_PS3_S6_S6_Pi.uses_flat_scratch, 0
	.set _ZN9rocsparseL18gtsv_LBM_wv_kernelILj256ELj32E21rocsparse_complex_numIfEEEviiiPKT1_S5_S5_PS3_S6_S6_Pi.has_dyn_sized_stack, 0
	.set _ZN9rocsparseL18gtsv_LBM_wv_kernelILj256ELj32E21rocsparse_complex_numIfEEEviiiPKT1_S5_S5_PS3_S6_S6_Pi.has_recursion, 0
	.set _ZN9rocsparseL18gtsv_LBM_wv_kernelILj256ELj32E21rocsparse_complex_numIfEEEviiiPKT1_S5_S5_PS3_S6_S6_Pi.has_indirect_call, 0
	.section	.AMDGPU.csdata,"",@progbits
; Kernel info:
; codeLenInByte = 6480
; TotalNumSgprs: 41
; NumVgprs: 68
; NumAgprs: 0
; TotalNumVgprs: 68
; ScratchSize: 0
; MemoryBound: 0
; FloatMode: 240
; IeeeMode: 1
; LDSByteSize: 0 bytes/workgroup (compile time only)
; SGPRBlocks: 5
; VGPRBlocks: 8
; NumSGPRsForWavesPerEU: 41
; NumVGPRsForWavesPerEU: 68
; AccumOffset: 68
; Occupancy: 7
; WaveLimiterHint : 0
; COMPUTE_PGM_RSRC2:SCRATCH_EN: 0
; COMPUTE_PGM_RSRC2:USER_SGPR: 2
; COMPUTE_PGM_RSRC2:TRAP_HANDLER: 0
; COMPUTE_PGM_RSRC2:TGID_X_EN: 1
; COMPUTE_PGM_RSRC2:TGID_Y_EN: 0
; COMPUTE_PGM_RSRC2:TGID_Z_EN: 0
; COMPUTE_PGM_RSRC2:TIDIG_COMP_CNT: 0
; COMPUTE_PGM_RSRC3_GFX90A:ACCUM_OFFSET: 16
; COMPUTE_PGM_RSRC3_GFX90A:TG_SPLIT: 0
	.section	.text._ZN9rocsparseL19gtsv_LBM_rhs_kernelILj256ELj32ELj8E21rocsparse_complex_numIfEEEviiiPKT2_S5_S5_PS3_S5_PKi,"axG",@progbits,_ZN9rocsparseL19gtsv_LBM_rhs_kernelILj256ELj32ELj8E21rocsparse_complex_numIfEEEviiiPKT2_S5_S5_PS3_S5_PKi,comdat
	.globl	_ZN9rocsparseL19gtsv_LBM_rhs_kernelILj256ELj32ELj8E21rocsparse_complex_numIfEEEviiiPKT2_S5_S5_PS3_S5_PKi ; -- Begin function _ZN9rocsparseL19gtsv_LBM_rhs_kernelILj256ELj32ELj8E21rocsparse_complex_numIfEEEviiiPKT2_S5_S5_PS3_S5_PKi
	.p2align	8
	.type	_ZN9rocsparseL19gtsv_LBM_rhs_kernelILj256ELj32ELj8E21rocsparse_complex_numIfEEEviiiPKT2_S5_S5_PS3_S5_PKi,@function
_ZN9rocsparseL19gtsv_LBM_rhs_kernelILj256ELj32ELj8E21rocsparse_complex_numIfEEEviiiPKT2_S5_S5_PS3_S5_PKi: ; @_ZN9rocsparseL19gtsv_LBM_rhs_kernelILj256ELj32ELj8E21rocsparse_complex_numIfEEEviiiPKT2_S5_S5_PS3_S5_PKi
; %bb.0:
	s_load_dword s23, s[0:1], 0x0
	v_lshl_or_b32 v0, s2, 8, v0
	s_waitcnt lgkmcnt(0)
	s_lshr_b32 s22, s23, 5
	v_cmp_gt_i32_e32 vcc, s22, v0
	s_and_saveexec_b64 s[4:5], vcc
	s_cbranch_execz .LBB229_29
; %bb.1:
	s_load_dwordx4 s[8:11], s[0:1], 0x28
	s_load_dwordx2 s[6:7], s[0:1], 0x38
	s_cmp_lt_i32 s23, 1
	v_add_u32_e32 v92, s22, v0
	s_mul_i32 s24, s3, s23
	s_cbranch_scc1 .LBB229_21
; %bb.2:
	s_load_dwordx4 s[12:15], s[0:1], 0x10
	s_load_dwordx2 s[16:17], s[0:1], 0x20
	v_ashrrev_i32_e32 v1, 31, v0
	s_lshl_b32 s28, s24, 3
	s_add_i32 s29, s28, s23
	s_waitcnt lgkmcnt(0)
	v_lshl_add_u64 v[2:3], v[0:1], 3, s[14:15]
	global_load_dwordx2 v[4:5], v[2:3], off
	s_add_i32 s30, s29, s23
	s_add_i32 s31, s30, s23
	s_add_i32 s33, s31, s23
	s_add_i32 s34, s33, s23
	s_add_i32 s35, s34, s23
	s_mul_i32 s25, s22, 31
	s_mul_i32 s26, s22, 30
	s_lshl_b32 s27, s22, 1
	v_add_u32_e32 v1, s22, v92
	s_add_i32 s36, s35, s23
	v_mov_b32_e32 v3, 0
	s_mov_b64 s[18:19], 0
	v_mov_b32_e32 v93, 0
	s_branch .LBB229_5
.LBB229_3:                              ;   in Loop: Header=BB229_5 Depth=1
	s_or_b64 exec, exec, s[4:5]
	v_mov_b32_e32 v19, v6
	v_pk_mul_f32 v[10:11], v[12:13], v[18:19] op_sel:[1,0]
	s_nop 0
	v_pk_fma_f32 v[6:7], v[6:7], v[12:13], v[10:11] op_sel_hi:[1,0,1]
	s_nop 0
	v_xor_b32_e32 v10, 0x80000000, v7
	v_mov_b32_e32 v11, v6
	v_pk_mul_f32 v[8:9], v[8:9], v[10:11] op_sel_hi:[0,1]
	v_pk_fma_f32 v[4:5], v[6:7], v[4:5], v[8:9] op_sel_hi:[1,0,1]
	v_mov_b32_e32 v8, s22
	v_pk_add_f32 v[4:5], v[14:15], v[4:5] neg_lo:[0,1] neg_hi:[0,1]
.LBB229_4:                              ;   in Loop: Header=BB229_5 Depth=1
	s_or_b64 exec, exec, s[2:3]
	v_add_u32_e32 v93, v8, v93
	v_cmp_le_i32_e32 vcc, s23, v93
	s_or_b64 s[18:19], vcc, s[18:19]
	s_andn2_b64 exec, exec, s[18:19]
	s_cbranch_execz .LBB229_20
.LBB229_5:                              ; =>This Inner Loop Header: Depth=1
	v_add_u32_e32 v16, v93, v0
	v_ashrrev_i32_e32 v17, 31, v16
	v_lshl_add_u64 v[6:7], v[16:17], 3, s[16:17]
	global_load_dwordx2 v[12:13], v[6:7], off
	v_cmp_gt_u32_e64 s[0:1], s25, v93
	v_mov_b32_e32 v6, 0
	v_mov_b32_e32 v7, 0
	s_and_saveexec_b64 s[2:3], s[0:1]
	s_cbranch_execz .LBB229_7
; %bb.6:                                ;   in Loop: Header=BB229_5 Depth=1
	v_add_u32_e32 v6, v92, v93
	v_ashrrev_i32_e32 v7, 31, v6
	v_lshl_add_u64 v[6:7], v[6:7], 3, s[12:13]
	global_load_dwordx2 v[6:7], v[6:7], off
.LBB229_7:                              ;   in Loop: Header=BB229_5 Depth=1
	s_or_b64 exec, exec, s[2:3]
	v_mov_b32_e32 v8, 0
	v_mov_b32_e32 v14, 0
	;; [unrolled: 1-line block ×3, first 2 shown]
	s_and_saveexec_b64 s[2:3], s[0:1]
	s_cbranch_execz .LBB229_9
; %bb.8:                                ;   in Loop: Header=BB229_5 Depth=1
	v_add_u32_e32 v10, v92, v93
	v_ashrrev_i32_e32 v11, 31, v10
	v_lshl_add_u64 v[10:11], v[10:11], 3, s[14:15]
	global_load_dwordx2 v[14:15], v[10:11], off
.LBB229_9:                              ;   in Loop: Header=BB229_5 Depth=1
	s_or_b64 exec, exec, s[2:3]
	v_mov_b32_e32 v9, 0
	s_and_saveexec_b64 s[2:3], s[0:1]
	s_cbranch_execz .LBB229_11
; %bb.10:                               ;   in Loop: Header=BB229_5 Depth=1
	v_add_u32_e32 v8, v92, v93
	v_ashrrev_i32_e32 v9, 31, v8
	v_lshl_add_u64 v[8:9], v[8:9], 3, s[16:17]
	global_load_dwordx2 v[8:9], v[8:9], off
.LBB229_11:                             ;   in Loop: Header=BB229_5 Depth=1
	s_or_b64 exec, exec, s[2:3]
	v_cmp_gt_u32_e64 s[2:3], s26, v93
	v_mov_b32_e32 v10, 0
	v_mov_b32_e32 v11, 0
	s_and_saveexec_b64 s[4:5], s[2:3]
	s_cbranch_execz .LBB229_13
; %bb.12:                               ;   in Loop: Header=BB229_5 Depth=1
	v_add_u32_e32 v10, v1, v93
	v_ashrrev_i32_e32 v11, 31, v10
	v_lshl_add_u64 v[10:11], v[10:11], 3, s[12:13]
	global_load_dwordx2 v[10:11], v[10:11], off
.LBB229_13:                             ;   in Loop: Header=BB229_5 Depth=1
	s_or_b64 exec, exec, s[4:5]
	v_lshl_add_u64 v[18:19], v[16:17], 2, s[6:7]
	global_load_dword v17, v[18:19], off
	v_cmp_ne_u32_e32 vcc, s25, v93
	v_add_u32_e32 v2, s28, v16
	v_add_u32_e32 v38, s29, v16
	;; [unrolled: 1-line block ×8, first 2 shown]
	s_waitcnt vmcnt(1)
	v_xor_b32_e32 v18, 0x80000000, v7
	s_waitcnt vmcnt(0)
	v_cmp_ne_u32_e64 s[4:5], 1, v17
	s_and_b64 s[4:5], vcc, s[4:5]
	s_and_saveexec_b64 s[20:21], s[4:5]
	s_xor_b64 s[4:5], exec, s[20:21]
	s_cbranch_execz .LBB229_17
; %bb.14:                               ;   in Loop: Header=BB229_5 Depth=1
	v_add_u32_e32 v46, v92, v93
	v_lshl_add_u64 v[30:31], v[2:3], 3, s[8:9]
	v_add_u32_e32 v2, s28, v46
	v_mov_b32_e32 v39, v3
	v_mov_b32_e32 v35, v3
	v_lshl_add_u64 v[22:23], v[2:3], 3, s[8:9]
	v_lshl_add_u64 v[38:39], v[38:39], 3, s[8:9]
	v_lshl_add_u64 v[34:35], v[34:35], 3, s[8:9]
	global_load_dwordx2 v[36:37], v[30:31], off
	global_load_dwordx2 v[42:43], v[38:39], off
	global_load_dwordx2 v[52:53], v[34:35], off
	global_load_dwordx2 v[40:41], v[22:23], off
	v_add_u32_e32 v2, s29, v46
	v_lshl_add_u64 v[90:91], v[2:3], 3, s[8:9]
	v_xor_b32_e32 v16, 0x80000000, v5
	v_mov_b32_e32 v33, v3
	v_mov_b32_e32 v17, v4
	v_mov_b32_e32 v19, v6
	global_load_dwordx2 v[44:45], v[90:91], off
	v_mov_b32_e32 v21, v3
	v_lshl_add_u64 v[48:49], v[32:33], 3, s[8:9]
	v_pk_mul_f32 v[32:33], v[14:15], v[16:17] op_sel:[1,0]
	v_pk_mul_f32 v[18:19], v[12:13], v[18:19] op_sel:[1,0]
	v_add_u32_e32 v2, s30, v46
	v_lshl_add_u64 v[96:97], v[2:3], 3, s[8:9]
	v_lshl_add_u64 v[98:99], v[20:21], 3, s[8:9]
	v_pk_fma_f32 v[20:21], v[4:5], v[14:15], v[32:33] op_sel_hi:[1,0,1]
	v_pk_fma_f32 v[18:19], v[6:7], v[12:13], v[18:19] op_sel_hi:[1,0,1]
	global_load_dwordx2 v[54:55], v[96:97], off
	v_pk_add_f32 v[18:19], v[20:21], v[18:19] neg_lo:[0,1] neg_hi:[0,1]
	v_add_u32_e32 v2, s31, v46
	v_mul_f32_e32 v20, v19, v19
	v_mov_b32_e32 v29, v3
	v_mov_b32_e32 v27, v3
	;; [unrolled: 1-line block ×3, first 2 shown]
	v_lshl_add_u64 v[102:103], v[2:3], 3, s[8:9]
	v_fmac_f32_e32 v20, v18, v18
	v_lshl_add_u64 v[28:29], v[28:29], 3, s[8:9]
	v_lshl_add_u64 v[26:27], v[26:27], 3, s[8:9]
	;; [unrolled: 1-line block ×3, first 2 shown]
	global_load_dwordx2 v[56:57], v[48:49], off
	global_load_dwordx2 v[58:59], v[28:29], off
	;; [unrolled: 1-line block ×5, first 2 shown]
	v_fma_f32 v21, 0, v19, v18
	v_fma_f32 v19, v18, 0, -v19
	v_add_u32_e32 v2, s33, v46
	v_div_scale_f32 v18, s[20:21], v20, v20, 1.0
	v_lshl_add_u64 v[104:105], v[2:3], 3, s[8:9]
	v_rcp_f32_e32 v33, v18
	global_load_dwordx2 v[80:81], v[104:105], off
	v_add_u32_e32 v2, s34, v46
	v_lshl_add_u64 v[106:107], v[2:3], 3, s[8:9]
	v_add_u32_e32 v2, s35, v46
	v_lshl_add_u64 v[108:109], v[2:3], 3, s[8:9]
	v_fma_f32 v2, -v18, v33, 1.0
	v_div_scale_f32 v32, vcc, 1.0, v20, 1.0
	global_load_dwordx2 v[110:111], v[106:107], off
	global_load_dwordx2 v[114:115], v[98:99], off
	v_fmac_f32_e32 v33, v2, v33
	v_mul_f32_e32 v2, v32, v33
	v_fma_f32 v47, -v18, v2, v32
	v_fmac_f32_e32 v2, v47, v33
	global_load_dwordx2 v[112:113], v[108:109], off
	v_fma_f32 v18, -v18, v2, v32
	v_div_fmas_f32 v2, v18, v33, v2
	v_div_fixup_f32 v2, v2, v20, 1.0
	v_mul_f32_e32 v18, v21, v2
	v_mul_f32_e32 v20, v19, v2
	v_add_u32_e32 v2, s36, v46
	v_lshl_add_u64 v[116:117], v[2:3], 3, s[8:9]
	global_load_dwordx2 v[118:119], v[116:117], off
	v_xor_b32_e32 v88, 0x80000000, v15
	v_mov_b32_e32 v89, v14
	v_xor_b32_e32 v94, 0x80000000, v13
	v_mov_b32_e32 v95, v12
	v_mov_b32_e32 v2, v3
	s_waitcnt vmcnt(15)
	v_mul_f32_e32 v78, v20, v36
	v_mul_f32_e64 v72, v20, -v37
	v_fmac_f32_e32 v78, v37, v18
	s_waitcnt vmcnt(12)
	v_mul_f32_e32 v86, v20, v40
	v_mul_f32_e64 v82, v20, -v41
	v_fmac_f32_e32 v86, v41, v18
	v_fmac_f32_e32 v72, v36, v18
	v_pk_mul_f32 v[32:33], v[78:79], v[88:89] op_sel_hi:[0,1]
	v_fmac_f32_e32 v82, v40, v18
	v_pk_mul_f32 v[36:37], v[86:87], v[94:95] op_sel_hi:[0,1]
	v_pk_fma_f32 v[32:33], v[14:15], v[72:73], v[32:33] op_sel_hi:[1,0,1]
	v_pk_fma_f32 v[36:37], v[12:13], v[82:83], v[36:37] op_sel_hi:[1,0,1]
	v_mul_f32_e32 v46, v20, v42
	s_waitcnt vmcnt(11)
	v_mul_f32_e32 v60, v20, v44
	v_pk_add_f32 v[32:33], v[32:33], v[36:37] neg_lo:[0,1] neg_hi:[0,1]
	v_mul_f32_e64 v36, v20, -v43
	v_fmac_f32_e32 v46, v43, v18
	v_mul_f32_e64 v50, v20, -v45
	v_fmac_f32_e32 v60, v45, v18
	global_store_dwordx2 v[30:31], v[32:33], off
	v_fmac_f32_e32 v36, v42, v18
	v_fmac_f32_e32 v50, v44, v18
	v_pk_mul_f32 v[30:31], v[46:47], v[88:89] op_sel_hi:[0,1]
	v_pk_mul_f32 v[32:33], v[60:61], v[94:95] op_sel_hi:[0,1]
	v_pk_fma_f32 v[30:31], v[14:15], v[36:37], v[30:31] op_sel_hi:[1,0,1]
	v_pk_fma_f32 v[32:33], v[12:13], v[50:51], v[32:33] op_sel_hi:[1,0,1]
	v_mul_f32_e32 v74, v20, v52
	s_waitcnt vmcnt(11)
	v_mul_f32_e32 v84, v20, v54
	v_pk_add_f32 v[30:31], v[30:31], v[32:33] neg_lo:[0,1] neg_hi:[0,1]
	v_mul_f32_e64 v64, v20, -v53
	v_fmac_f32_e32 v74, v53, v18
	v_mul_f32_e64 v76, v20, -v55
	v_fmac_f32_e32 v84, v55, v18
	global_store_dwordx2 v[38:39], v[30:31], off
	v_fmac_f32_e32 v64, v52, v18
	v_fmac_f32_e32 v76, v54, v18
	v_pk_mul_f32 v[30:31], v[74:75], v[88:89] op_sel_hi:[0,1]
	v_pk_mul_f32 v[32:33], v[84:85], v[94:95] op_sel_hi:[0,1]
	v_pk_fma_f32 v[30:31], v[14:15], v[64:65], v[30:31] op_sel_hi:[1,0,1]
	v_pk_fma_f32 v[32:33], v[12:13], v[76:77], v[32:33] op_sel_hi:[1,0,1]
	s_waitcnt vmcnt(11)
	v_mul_f32_e32 v42, v20, v56
	s_waitcnt vmcnt(7)
	v_mul_f32_e32 v52, v20, v66
	v_pk_add_f32 v[30:31], v[30:31], v[32:33] neg_lo:[0,1] neg_hi:[0,1]
	v_mul_f32_e64 v32, v20, -v57
	v_fmac_f32_e32 v42, v57, v18
	v_mul_f32_e64 v44, v20, -v67
	v_fmac_f32_e32 v52, v67, v18
	global_store_dwordx2 v[34:35], v[30:31], off
	v_fmac_f32_e32 v32, v56, v18
	v_fmac_f32_e32 v44, v66, v18
	v_pk_mul_f32 v[30:31], v[42:43], v[88:89] op_sel_hi:[0,1]
	v_pk_mul_f32 v[34:35], v[52:53], v[94:95] op_sel_hi:[0,1]
	s_waitcnt vmcnt(7)
	v_mul_f32_e64 v70, v20, -v81
	v_pk_fma_f32 v[30:31], v[14:15], v[32:33], v[30:31] op_sel_hi:[1,0,1]
	v_pk_fma_f32 v[34:35], v[12:13], v[44:45], v[34:35] op_sel_hi:[1,0,1]
	v_mul_f32_e32 v68, v20, v58
	v_fmac_f32_e32 v70, v80, v18
	v_mul_f32_e32 v80, v20, v80
	v_pk_add_f32 v[30:31], v[30:31], v[34:35] neg_lo:[0,1] neg_hi:[0,1]
	v_mul_f32_e64 v56, v20, -v59
	v_fmac_f32_e32 v68, v59, v18
	v_fmac_f32_e32 v80, v81, v18
	global_store_dwordx2 v[48:49], v[30:31], off
	v_fmac_f32_e32 v56, v58, v18
	v_pk_mul_f32 v[30:31], v[68:69], v[88:89] op_sel_hi:[0,1]
	v_pk_mul_f32 v[34:35], v[80:81], v[94:95] op_sel_hi:[0,1]
	v_pk_fma_f32 v[30:31], v[14:15], v[56:57], v[30:31] op_sel_hi:[1,0,1]
	v_pk_fma_f32 v[34:35], v[12:13], v[70:71], v[34:35] op_sel_hi:[1,0,1]
	v_mul_f32_e64 v54, v20, -v63
	v_mul_f32_e32 v58, v20, v62
	s_waitcnt vmcnt(7)
	v_mul_f32_e32 v66, v20, v110
	v_pk_add_f32 v[30:31], v[30:31], v[34:35] neg_lo:[0,1] neg_hi:[0,1]
	v_fmac_f32_e32 v54, v62, v18
	v_fmac_f32_e32 v58, v63, v18
	v_mul_f32_e64 v62, v20, -v111
	v_fmac_f32_e32 v66, v111, v18
	global_store_dwordx2 v[28:29], v[30:31], off
	v_fmac_f32_e32 v62, v110, v18
	v_pk_mul_f32 v[28:29], v[58:59], v[88:89] op_sel_hi:[0,1]
	v_pk_mul_f32 v[30:31], v[66:67], v[94:95] op_sel_hi:[0,1]
	v_pk_fma_f32 v[28:29], v[14:15], v[54:55], v[28:29] op_sel_hi:[1,0,1]
	v_pk_fma_f32 v[30:31], v[12:13], v[62:63], v[30:31] op_sel_hi:[1,0,1]
	v_mul_f32_e32 v38, v20, v100
	s_waitcnt vmcnt(6)
	v_mul_f32_e32 v48, v20, v112
	v_pk_add_f32 v[28:29], v[28:29], v[30:31] neg_lo:[0,1] neg_hi:[0,1]
	v_mul_f32_e64 v34, v20, -v101
	v_fmac_f32_e32 v38, v101, v18
	v_mul_f32_e64 v40, v20, -v113
	v_fmac_f32_e32 v48, v113, v18
	global_store_dwordx2 v[26:27], v[28:29], off
	v_fmac_f32_e32 v34, v100, v18
	v_fmac_f32_e32 v40, v112, v18
	v_pk_mul_f32 v[26:27], v[38:39], v[88:89] op_sel_hi:[0,1]
	v_pk_mul_f32 v[28:29], v[48:49], v[94:95] op_sel_hi:[0,1]
	v_pk_fma_f32 v[26:27], v[14:15], v[34:35], v[26:27] op_sel_hi:[1,0,1]
	v_pk_fma_f32 v[28:29], v[12:13], v[40:41], v[28:29] op_sel_hi:[1,0,1]
	s_waitcnt vmcnt(6)
	v_mul_f32_e32 v30, v20, v118
	v_pk_add_f32 v[26:27], v[26:27], v[28:29] neg_lo:[0,1] neg_hi:[0,1]
	global_store_dwordx2 v[24:25], v[26:27], off
	v_mul_f32_e32 v26, v20, v114
	v_mul_f32_e64 v24, v20, -v115
	v_fmac_f32_e32 v26, v115, v18
	v_fmac_f32_e32 v24, v114, v18
	v_mul_f32_e64 v28, v20, -v119
	v_fmac_f32_e32 v30, v119, v18
	v_pk_mul_f32 v[88:89], v[26:27], v[88:89] op_sel_hi:[0,1]
	v_fmac_f32_e32 v28, v118, v18
	v_pk_fma_f32 v[14:15], v[14:15], v[24:25], v[88:89] op_sel_hi:[1,0,1]
	v_pk_mul_f32 v[88:89], v[30:31], v[94:95] op_sel_hi:[0,1]
	v_pk_fma_f32 v[12:13], v[12:13], v[28:29], v[88:89] op_sel_hi:[1,0,1]
	v_pk_mul_f32 v[88:89], v[86:87], v[16:17] op_sel_hi:[0,1]
	v_pk_add_f32 v[12:13], v[14:15], v[12:13] neg_lo:[0,1] neg_hi:[0,1]
	global_store_dwordx2 v[98:99], v[12:13], off
	v_pk_add_f32 v[12:13], v[6:7], 0 neg_lo:[1,1] neg_hi:[1,1]
	v_pk_fma_f32 v[88:89], v[4:5], v[82:83], v[88:89] op_sel_hi:[1,0,1]
	v_pk_mov_b32 v[14:15], v[6:7], v[12:13] op_sel:[1,0]
	s_nop 0
	v_pk_mul_f32 v[12:13], v[14:15], v[78:79] op_sel_hi:[1,0]
	s_nop 0
	v_pk_fma_f32 v[12:13], v[6:7], v[72:73], v[12:13] op_sel_hi:[1,0,1] neg_lo:[1,0,0] neg_hi:[1,0,0]
	s_nop 0
	v_pk_add_f32 v[12:13], v[12:13], v[88:89]
	global_store_dwordx2 v[22:23], v[12:13], off
	v_pk_mul_f32 v[12:13], v[14:15], v[46:47] op_sel_hi:[1,0]
	v_pk_mul_f32 v[22:23], v[60:61], v[16:17] op_sel_hi:[0,1]
	v_pk_fma_f32 v[12:13], v[6:7], v[36:37], v[12:13] op_sel_hi:[1,0,1] neg_lo:[1,0,0] neg_hi:[1,0,0]
	v_pk_fma_f32 v[22:23], v[4:5], v[50:51], v[22:23] op_sel_hi:[1,0,1]
	s_nop 0
	v_pk_add_f32 v[12:13], v[12:13], v[22:23]
	global_store_dwordx2 v[90:91], v[12:13], off
	v_pk_mul_f32 v[12:13], v[14:15], v[74:75] op_sel_hi:[1,0]
	v_pk_mul_f32 v[22:23], v[84:85], v[16:17] op_sel_hi:[0,1]
	v_pk_fma_f32 v[12:13], v[6:7], v[64:65], v[12:13] op_sel_hi:[1,0,1] neg_lo:[1,0,0] neg_hi:[1,0,0]
	v_pk_fma_f32 v[22:23], v[4:5], v[76:77], v[22:23] op_sel_hi:[1,0,1]
	;; [unrolled: 7-line block ×7, first 2 shown]
	s_nop 0
	v_pk_add_f32 v[12:13], v[12:13], v[22:23]
	global_store_dwordx2 v[116:117], v[12:13], off
	v_mov_b32_e32 v12, v4
	v_mov_b32_e32 v13, v4
	v_mov_b64_e32 v[22:23], v[2:3]
	s_and_saveexec_b64 s[20:21], s[2:3]
	s_cbranch_execz .LBB229_16
; %bb.15:                               ;   in Loop: Header=BB229_5 Depth=1
	v_add_u32_e32 v22, v1, v93
	v_add_u32_e32 v2, s28, v22
	v_lshl_add_u64 v[88:89], v[2:3], 3, s[8:9]
	global_load_dwordx2 v[90:91], v[88:89], off
	v_mov_b32_e32 v2, v11
	v_pk_mul_f32 v[14:15], v[2:3], v[14:15] op_sel_hi:[0,1]
	v_pk_mul_f32 v[16:17], v[2:3], v[16:17] op_sel_hi:[0,1]
	v_pk_fma_f32 v[6:7], v[6:7], v[10:11], v[14:15] op_sel_hi:[1,0,1] neg_lo:[1,0,0] neg_hi:[1,0,0]
	v_pk_fma_f32 v[14:15], v[4:5], v[10:11], v[16:17] op_sel_hi:[1,0,1]
	v_mov_b32_e32 v87, v86
	v_xor_b32_e32 v16, 0x80000000, v15
	v_mov_b32_e32 v17, v14
	v_mov_b32_e32 v83, v82
	v_pk_mul_f32 v[86:87], v[86:87], v[16:17]
	v_mov_b32_e32 v79, v78
	v_pk_fma_f32 v[82:83], v[14:15], v[82:83], v[86:87]
	v_pk_add_f32 v[86:87], v[6:7], 0 neg_lo:[1,1] neg_hi:[1,1]
	v_mov_b32_e32 v73, v72
	v_pk_mov_b32 v[86:87], v[6:7], v[86:87] op_sel:[1,0]
	v_add_u32_e32 v2, s29, v22
	v_pk_mul_f32 v[78:79], v[86:87], v[78:79]
	v_mov_b32_e32 v47, v46
	v_pk_fma_f32 v[72:73], v[6:7], v[72:73], v[78:79] neg_lo:[1,0,0] neg_hi:[1,0,0]
	v_lshl_add_u64 v[78:79], v[2:3], 3, s[8:9]
	v_pk_add_f32 v[72:73], v[72:73], v[82:83] neg_lo:[0,1] neg_hi:[0,1]
	v_add_u32_e32 v2, s30, v22
	global_load_dwordx2 v[82:83], v[78:79], off
	v_mov_b32_e32 v61, v60
	v_mov_b32_e32 v37, v36
	;; [unrolled: 1-line block ×3, first 2 shown]
	v_pk_mul_f32 v[60:61], v[60:61], v[16:17]
	v_pk_mul_f32 v[46:47], v[86:87], v[46:47]
	v_mov_b32_e32 v75, v74
	v_mov_b32_e32 v85, v84
	v_pk_fma_f32 v[50:51], v[14:15], v[50:51], v[60:61]
	v_pk_fma_f32 v[36:37], v[6:7], v[36:37], v[46:47] neg_lo:[1,0,0] neg_hi:[1,0,0]
	v_mov_b32_e32 v65, v64
	v_mov_b32_e32 v77, v76
	v_pk_mul_f32 v[84:85], v[84:85], v[16:17]
	v_pk_mul_f32 v[60:61], v[86:87], v[74:75]
	v_pk_add_f32 v[36:37], v[36:37], v[50:51] neg_lo:[0,1] neg_hi:[0,1]
	v_pk_fma_f32 v[74:75], v[14:15], v[76:77], v[84:85]
	v_pk_fma_f32 v[46:47], v[6:7], v[64:65], v[60:61] neg_lo:[1,0,0] neg_hi:[1,0,0]
	v_mov_b32_e32 v43, v42
	v_pk_add_f32 v[46:47], v[46:47], v[74:75] neg_lo:[0,1] neg_hi:[0,1]
	v_mov_b32_e32 v53, v52
	v_mov_b32_e32 v33, v32
	;; [unrolled: 1-line block ×5, first 2 shown]
	v_pk_mul_f32 v[50:51], v[52:53], v[16:17]
	v_pk_mul_f32 v[42:43], v[86:87], v[42:43]
	v_mov_b32_e32 v57, v56
	v_mov_b32_e32 v71, v70
	v_pk_mul_f32 v[52:53], v[80:81], v[16:17]
	v_pk_fma_f32 v[44:45], v[14:15], v[44:45], v[50:51]
	v_pk_mul_f32 v[50:51], v[86:87], v[68:69]
	v_pk_fma_f32 v[32:33], v[6:7], v[32:33], v[42:43] neg_lo:[1,0,0] neg_hi:[1,0,0]
	v_pk_fma_f32 v[52:53], v[14:15], v[70:71], v[52:53]
	v_pk_fma_f32 v[42:43], v[6:7], v[56:57], v[50:51] neg_lo:[1,0,0] neg_hi:[1,0,0]
	v_pk_add_f32 v[32:33], v[32:33], v[44:45] neg_lo:[0,1] neg_hi:[0,1]
	v_pk_add_f32 v[42:43], v[42:43], v[52:53] neg_lo:[0,1] neg_hi:[0,1]
	v_mov_b32_e32 v59, v58
	v_mov_b32_e32 v67, v66
	v_mov_b32_e32 v55, v54
	v_mov_b32_e32 v63, v62
	v_mov_b32_e32 v39, v38
	v_mov_b32_e32 v49, v48
	v_mov_b32_e32 v35, v34
	v_mov_b32_e32 v41, v40
	v_pk_mul_f32 v[38:39], v[86:87], v[38:39]
	v_ashrrev_i32_e32 v23, 31, v22
	v_pk_fma_f32 v[34:35], v[6:7], v[34:35], v[38:39] neg_lo:[1,0,0] neg_hi:[1,0,0]
	v_mov_b32_e32 v27, v26
	v_mov_b32_e32 v31, v30
	v_mov_b32_e32 v25, v24
	v_mov_b32_e32 v29, v28
	s_waitcnt vmcnt(1)
	v_pk_add_f32 v[72:73], v[72:73], v[90:91]
	v_lshl_add_u64 v[90:91], v[2:3], 3, s[8:9]
	global_store_dwordx2 v[88:89], v[72:73], off
	global_load_dwordx2 v[72:73], v[90:91], off
	v_add_u32_e32 v2, s31, v22
	v_lshl_add_u64 v[88:89], v[2:3], 3, s[8:9]
	v_add_u32_e32 v2, s33, v22
	v_lshl_add_u64 v[76:77], v[2:3], 3, s[8:9]
	;; [unrolled: 2-line block ×3, first 2 shown]
	v_add_u32_e32 v2, s35, v22
	s_waitcnt vmcnt(2)
	v_pk_add_f32 v[36:37], v[36:37], v[82:83]
	global_store_dwordx2 v[78:79], v[36:37], off
	global_load_dwordx2 v[36:37], v[88:89], off
	s_waitcnt vmcnt(2)
	v_pk_add_f32 v[46:47], v[46:47], v[72:73]
	global_store_dwordx2 v[90:91], v[46:47], off
	global_load_dwordx2 v[46:47], v[76:77], off
	s_waitcnt vmcnt(2)
	v_pk_add_f32 v[32:33], v[32:33], v[36:37]
	global_store_dwordx2 v[88:89], v[32:33], off
	v_pk_mul_f32 v[36:37], v[66:67], v[16:17]
	s_waitcnt vmcnt(1)
	v_pk_add_f32 v[32:33], v[42:43], v[46:47]
	global_store_dwordx2 v[76:77], v[32:33], off
	global_load_dwordx2 v[32:33], v[50:51], off
	v_pk_mul_f32 v[42:43], v[86:87], v[58:59]
	v_pk_fma_f32 v[36:37], v[14:15], v[62:63], v[36:37]
	v_pk_fma_f32 v[42:43], v[6:7], v[54:55], v[42:43] neg_lo:[1,0,0] neg_hi:[1,0,0]
	s_nop 0
	v_pk_add_f32 v[36:37], v[42:43], v[36:37] neg_lo:[0,1] neg_hi:[0,1]
	v_lshl_add_u64 v[42:43], v[2:3], 3, s[8:9]
	v_add_u32_e32 v2, s36, v22
	v_lshl_add_u64 v[22:23], v[22:23], 3, s[14:15]
	global_load_dwordx2 v[22:23], v[22:23], off
	s_waitcnt vmcnt(1)
	v_pk_add_f32 v[32:33], v[36:37], v[32:33]
	global_store_dwordx2 v[50:51], v[32:33], off
	global_load_dwordx2 v[32:33], v[42:43], off
	v_pk_mul_f32 v[36:37], v[48:49], v[16:17]
	s_nop 0
	v_pk_fma_f32 v[36:37], v[14:15], v[40:41], v[36:37]
	s_nop 0
	v_pk_add_f32 v[34:35], v[34:35], v[36:37] neg_lo:[0,1] neg_hi:[0,1]
	v_lshl_add_u64 v[36:37], v[2:3], 3, s[8:9]
	v_mov_b32_e32 v2, v9
	s_waitcnt vmcnt(0)
	v_pk_add_f32 v[32:33], v[34:35], v[32:33]
	global_store_dwordx2 v[42:43], v[32:33], off
	global_load_dwordx2 v[32:33], v[36:37], off
	v_xor_b32_e32 v34, 0x80000000, v11
	v_mov_b32_e32 v35, v10
	v_pk_mul_f32 v[4:5], v[4:5], v[34:35] op_sel:[1,0]
	s_nop 0
	v_pk_fma_f32 v[4:5], v[10:11], v[12:13], v[4:5]
	v_pk_mul_f32 v[12:13], v[30:31], v[16:17]
	v_xor_b32_e32 v10, 0x80000000, v5
	v_mov_b32_e32 v11, v4
	v_pk_mul_f32 v[10:11], v[2:3], v[10:11] op_sel_hi:[0,1]
	v_pk_fma_f32 v[4:5], v[4:5], v[8:9], v[10:11] op_sel_hi:[1,0,1]
	v_pk_mul_f32 v[16:17], v[86:87], v[26:27]
	v_xor_b32_e32 v8, 0x80000000, v5
	v_mov_b32_e32 v9, v4
	v_pk_fma_f32 v[12:13], v[14:15], v[28:29], v[12:13]
	v_pk_fma_f32 v[6:7], v[6:7], v[24:25], v[16:17] neg_lo:[1,0,0] neg_hi:[1,0,0]
	v_pk_mul_f32 v[8:9], v[20:21], v[8:9] op_sel_hi:[0,1]
	v_pk_add_f32 v[6:7], v[6:7], v[12:13] neg_lo:[0,1] neg_hi:[0,1]
	v_pk_fma_f32 v[4:5], v[4:5], v[18:19], v[8:9] op_sel_hi:[1,0,1]
	s_waitcnt vmcnt(0)
	v_pk_add_f32 v[6:7], v[6:7], v[32:33]
	v_pk_add_f32 v[22:23], v[22:23], v[4:5] neg_lo:[0,1] neg_hi:[0,1]
	global_store_dwordx2 v[36:37], v[6:7], off
.LBB229_16:                             ;   in Loop: Header=BB229_5 Depth=1
	s_or_b64 exec, exec, s[20:21]
	v_mov_b64_e32 v[4:5], v[22:23]
                                        ; implicit-def: $vgpr12_vgpr13
                                        ; implicit-def: $vgpr6
                                        ; implicit-def: $vgpr14_vgpr15
                                        ; implicit-def: $vgpr38
                                        ; implicit-def: $vgpr34
                                        ; implicit-def: $vgpr32
                                        ; implicit-def: $vgpr28
                                        ; implicit-def: $vgpr26
                                        ; implicit-def: $vgpr24
                                        ; implicit-def: $vgpr20
                                        ; implicit-def: $vgpr18
.LBB229_17:                             ;   in Loop: Header=BB229_5 Depth=1
	s_or_saveexec_b64 s[2:3], s[4:5]
	v_mov_b32_e32 v8, s27
	s_xor_b64 exec, exec, s[2:3]
	s_cbranch_execz .LBB229_4
; %bb.18:                               ;   in Loop: Header=BB229_5 Depth=1
	v_mov_b32_e32 v29, v3
	v_lshl_add_u64 v[10:11], v[2:3], 3, s[8:9]
	v_mov_b32_e32 v39, v3
	v_mov_b32_e32 v35, v3
	;; [unrolled: 1-line block ×3, first 2 shown]
	v_lshl_add_u64 v[42:43], v[28:29], 3, s[8:9]
	v_mov_b32_e32 v27, v3
	v_mov_b32_e32 v25, v3
	;; [unrolled: 1-line block ×3, first 2 shown]
	v_lshl_add_u64 v[36:37], v[38:39], 3, s[8:9]
	v_lshl_add_u64 v[34:35], v[34:35], 3, s[8:9]
	;; [unrolled: 1-line block ×3, first 2 shown]
	global_load_dwordx2 v[16:17], v[10:11], off
	global_load_dwordx2 v[22:23], v[36:37], off
	;; [unrolled: 1-line block ×4, first 2 shown]
	v_lshl_add_u64 v[44:45], v[26:27], 3, s[8:9]
	v_lshl_add_u64 v[46:47], v[24:25], 3, s[8:9]
	;; [unrolled: 1-line block ×3, first 2 shown]
	global_load_dwordx2 v[20:21], v[42:43], off
	global_load_dwordx2 v[50:51], v[44:45], off
	;; [unrolled: 1-line block ×4, first 2 shown]
	v_mul_f32_e32 v2, v5, v5
	v_fmac_f32_e32 v2, v4, v4
	v_div_scale_f32 v9, s[4:5], v2, v2, 1.0
	v_rcp_f32_e32 v19, v9
	v_fma_f32 v8, 0, v5, v4
	v_fma_f32 v5, v4, 0, -v5
	v_div_scale_f32 v4, vcc, 1.0, v2, 1.0
	v_fma_f32 v24, -v9, v19, 1.0
	v_fmac_f32_e32 v19, v24, v19
	v_mul_f32_e32 v24, v4, v19
	v_fma_f32 v25, -v9, v24, v4
	v_fmac_f32_e32 v24, v25, v19
	v_fma_f32 v4, -v9, v24, v4
	v_div_fmas_f32 v4, v4, v19, v24
	v_div_fixup_f32 v2, v4, v2, 1.0
	v_mul_f32_e32 v4, v8, v2
	v_mul_f32_e32 v8, v5, v2
	s_waitcnt vmcnt(7)
	v_pk_mul_f32 v[24:25], v[8:9], v[16:17] op_sel:[0,1] op_sel_hi:[0,0] neg_lo:[0,1]
	v_pk_fma_f32 v[26:27], v[16:17], v[4:5], v[24:25] op_sel_hi:[1,0,1]
	s_waitcnt vmcnt(6)
	v_pk_mul_f32 v[16:17], v[8:9], v[22:23] op_sel:[0,1] op_sel_hi:[0,0] neg_lo:[0,1]
	s_waitcnt vmcnt(5)
	v_pk_mul_f32 v[24:25], v[8:9], v[38:39] op_sel:[0,1] op_sel_hi:[0,0] neg_lo:[0,1]
	;; [unrolled: 2-line block ×7, first 2 shown]
	global_store_dwordx2 v[10:11], v[26:27], off
	v_pk_fma_f32 v[30:31], v[22:23], v[4:5], v[16:17] op_sel_hi:[1,0,1]
	v_pk_fma_f32 v[28:29], v[38:39], v[4:5], v[24:25] op_sel_hi:[1,0,1]
	;; [unrolled: 1-line block ×7, first 2 shown]
	global_store_dwordx2 v[36:37], v[30:31], off
	global_store_dwordx2 v[34:35], v[28:29], off
	global_store_dwordx2 v[32:33], v[24:25], off
	global_store_dwordx2 v[42:43], v[22:23], off
	global_store_dwordx2 v[44:45], v[20:21], off
	global_store_dwordx2 v[46:47], v[16:17], off
	global_store_dwordx2 v[48:49], v[10:11], off
	s_and_saveexec_b64 s[4:5], s[0:1]
	s_cbranch_execz .LBB229_3
; %bb.19:                               ;   in Loop: Header=BB229_5 Depth=1
	v_add_u32_e32 v5, v92, v93
	v_add_u32_e32 v2, s28, v5
	v_lshl_add_u64 v[32:33], v[2:3], 3, s[8:9]
	global_load_dwordx2 v[34:35], v[32:33], off
	v_add_u32_e32 v2, s29, v5
	v_xor_b32_e32 v36, 0x80000000, v6
	v_mov_b32_e32 v37, v18
	v_lshl_add_u64 v[40:41], v[2:3], 3, s[8:9]
	v_mov_b32_e32 v38, v7
	v_mov_b32_e32 v39, v36
	global_load_dwordx2 v[42:43], v[40:41], off
	v_add_u32_e32 v2, s30, v5
	v_lshl_add_u64 v[44:45], v[2:3], 3, s[8:9]
	v_add_u32_e32 v2, s31, v5
	s_waitcnt vmcnt(1)
	v_pk_fma_f32 v[34:35], v[36:37], v[26:27], v[34:35] op_sel_hi:[1,0,1]
	s_nop 0
	v_pk_fma_f32 v[26:27], v[38:39], v[26:27], v[34:35] op_sel:[0,1,0]
	global_store_dwordx2 v[32:33], v[26:27], off
	global_load_dwordx2 v[26:27], v[44:45], off
	v_lshl_add_u64 v[32:33], v[2:3], 3, s[8:9]
	v_add_u32_e32 v2, s33, v5
	v_lshl_add_u64 v[34:35], v[2:3], 3, s[8:9]
	s_waitcnt vmcnt(2)
	v_pk_fma_f32 v[42:43], v[36:37], v[30:31], v[42:43] op_sel_hi:[1,0,1]
	v_add_u32_e32 v2, s34, v5
	v_pk_fma_f32 v[30:31], v[38:39], v[30:31], v[42:43] op_sel:[0,1,0]
	global_store_dwordx2 v[40:41], v[30:31], off
	global_load_dwordx2 v[30:31], v[32:33], off
	s_waitcnt vmcnt(2)
	v_pk_fma_f32 v[26:27], v[36:37], v[28:29], v[26:27] op_sel_hi:[1,0,1]
	s_nop 0
	v_pk_fma_f32 v[26:27], v[38:39], v[28:29], v[26:27] op_sel:[0,1,0]
	global_store_dwordx2 v[44:45], v[26:27], off
	global_load_dwordx2 v[26:27], v[34:35], off
	v_lshl_add_u64 v[28:29], v[2:3], 3, s[8:9]
	v_add_u32_e32 v2, s35, v5
	s_waitcnt vmcnt(2)
	v_pk_fma_f32 v[30:31], v[36:37], v[24:25], v[30:31] op_sel_hi:[1,0,1]
	s_nop 0
	v_pk_fma_f32 v[24:25], v[38:39], v[24:25], v[30:31] op_sel:[0,1,0]
	global_store_dwordx2 v[32:33], v[24:25], off
	s_waitcnt vmcnt(1)
	v_pk_fma_f32 v[24:25], v[36:37], v[22:23], v[26:27] op_sel_hi:[1,0,1]
	s_nop 0
	v_pk_fma_f32 v[22:23], v[38:39], v[22:23], v[24:25] op_sel:[0,1,0]
	global_store_dwordx2 v[34:35], v[22:23], off
	global_load_dwordx2 v[22:23], v[28:29], off
	v_lshl_add_u64 v[24:25], v[2:3], 3, s[8:9]
	v_add_u32_e32 v2, s36, v5
	s_waitcnt vmcnt(0)
	v_pk_fma_f32 v[22:23], v[36:37], v[20:21], v[22:23] op_sel_hi:[1,0,1]
	s_nop 0
	v_pk_fma_f32 v[20:21], v[38:39], v[20:21], v[22:23] op_sel:[0,1,0]
	global_store_dwordx2 v[28:29], v[20:21], off
	global_load_dwordx2 v[20:21], v[24:25], off
	s_waitcnt vmcnt(0)
	v_pk_fma_f32 v[20:21], v[36:37], v[16:17], v[20:21] op_sel_hi:[1,0,1]
	s_nop 0
	v_pk_fma_f32 v[16:17], v[38:39], v[16:17], v[20:21] op_sel:[0,1,0]
	global_store_dwordx2 v[24:25], v[16:17], off
	v_lshl_add_u64 v[16:17], v[2:3], 3, s[8:9]
	global_load_dwordx2 v[20:21], v[16:17], off
	s_waitcnt vmcnt(0)
	v_pk_fma_f32 v[20:21], v[36:37], v[10:11], v[20:21] op_sel_hi:[1,0,1]
	s_nop 0
	v_pk_fma_f32 v[10:11], v[38:39], v[10:11], v[20:21] op_sel:[0,1,0]
	global_store_dwordx2 v[16:17], v[10:11], off
	s_branch .LBB229_3
.LBB229_20:
	s_or_b64 exec, exec, s[18:19]
	s_branch .LBB229_22
.LBB229_21:
	v_mov_b32_e32 v93, 0
.LBB229_22:
	v_subrev_u32_e32 v1, s22, v93
	v_add_u32_e32 v2, v1, v0
	v_ashrrev_i32_e32 v3, 31, v2
	s_waitcnt lgkmcnt(0)
	v_lshl_add_u64 v[2:3], v[2:3], 2, s[6:7]
	buffer_wbl2 sc1
	s_waitcnt vmcnt(0)
	buffer_inv sc1
	global_load_dword v2, v[2:3], off
	s_waitcnt vmcnt(0)
	v_mul_lo_u32 v2, v2, s22
	v_sub_u32_e32 v1, v1, v2
	v_cmp_lt_i32_e32 vcc, -1, v1
	s_and_b64 exec, exec, vcc
	s_cbranch_execz .LBB229_29
; %bb.23:
	s_lshl_b32 s4, s24, 3
	s_add_i32 s5, s4, s23
	s_add_i32 s12, s5, s23
	;; [unrolled: 1-line block ×7, first 2 shown]
	s_lshl_b32 s18, s22, 1
	s_mov_b64 s[0:1], 0
	v_mov_b32_e32 v3, 0
	s_branch .LBB229_25
.LBB229_24:                             ;   in Loop: Header=BB229_25 Depth=1
	s_or_b64 exec, exec, s[2:3]
	v_sub_u32_e32 v1, v1, v2
	v_cmp_gt_i32_e32 vcc, 0, v1
	s_or_b64 s[0:1], vcc, s[0:1]
	s_andn2_b64 exec, exec, s[0:1]
	s_cbranch_execz .LBB229_29
.LBB229_25:                             ; =>This Inner Loop Header: Depth=1
	v_add_u32_e32 v4, v1, v0
	v_ashrrev_i32_e32 v5, 31, v4
	s_waitcnt vmcnt(0)
	v_lshl_add_u64 v[6:7], v[4:5], 2, s[6:7]
	global_load_dword v2, v[6:7], off
	v_lshl_add_u64 v[6:7], v[4:5], 3, s[10:11]
	global_load_dwordx2 v[6:7], v[6:7], off
	s_waitcnt vmcnt(1)
	v_cmp_ne_u32_e32 vcc, 1, v2
	s_and_saveexec_b64 s[2:3], vcc
	s_xor_b64 s[2:3], exec, s[2:3]
	s_cbranch_execz .LBB229_27
; %bb.26:                               ;   in Loop: Header=BB229_25 Depth=1
	v_add_u32_e32 v5, v92, v1
	v_add_u32_e32 v2, s4, v5
	v_lshl_add_u64 v[8:9], v[2:3], 3, s[8:9]
	v_add_u32_e32 v2, s5, v5
	v_lshl_add_u64 v[10:11], v[2:3], 3, s[8:9]
	;; [unrolled: 2-line block ×9, first 2 shown]
	global_load_dwordx2 v[8:9], v[8:9], off
	s_waitcnt vmcnt(1)
	v_pk_add_f32 v[28:29], v[6:7], 0 neg_lo:[1,1] neg_hi:[1,1]
	global_load_dwordx2 v[26:27], v[24:25], off
	v_xor_b32_e32 v31, 0x80000000, v7
	v_mov_b32_e32 v30, v28
	v_pk_mov_b32 v[6:7], v[6:7], v[28:29] op_sel:[1,0]
	global_load_dwordx2 v[28:29], v[10:11], off
	global_load_dwordx2 v[32:33], v[12:13], off
	;; [unrolled: 1-line block ×7, first 2 shown]
	v_add_u32_e32 v2, s5, v4
	v_lshl_add_u64 v[10:11], v[2:3], 3, s[8:9]
	v_add_u32_e32 v2, s12, v4
	v_lshl_add_u64 v[14:15], v[2:3], 3, s[8:9]
	v_add_u32_e32 v2, s13, v4
	s_waitcnt vmcnt(7)
	v_pk_fma_f32 v[12:13], v[30:31], v[8:9], v[26:27] op_sel_hi:[1,0,1]
	s_nop 0
	v_pk_fma_f32 v[12:13], v[6:7], v[8:9], v[12:13] op_sel:[0,1,0]
	global_store_dwordx2 v[24:25], v[12:13], off
	global_load_dwordx2 v[12:13], v[10:11], off
	s_waitcnt vmcnt(0)
	v_pk_fma_f32 v[12:13], v[30:31], v[28:29], v[12:13] op_sel_hi:[1,0,1]
	s_nop 0
	v_pk_fma_f32 v[12:13], v[6:7], v[28:29], v[12:13] op_sel:[0,1,0]
	global_store_dwordx2 v[10:11], v[12:13], off
	global_load_dwordx2 v[10:11], v[14:15], off
	v_lshl_add_u64 v[12:13], v[2:3], 3, s[8:9]
	v_add_u32_e32 v2, s14, v4
	s_waitcnt vmcnt(0)
	v_pk_fma_f32 v[10:11], v[30:31], v[32:33], v[10:11] op_sel_hi:[1,0,1]
	s_nop 0
	v_pk_fma_f32 v[10:11], v[6:7], v[32:33], v[10:11] op_sel:[0,1,0]
	global_store_dwordx2 v[14:15], v[10:11], off
	global_load_dwordx2 v[10:11], v[12:13], off
	v_lshl_add_u64 v[14:15], v[2:3], 3, s[8:9]
	v_add_u32_e32 v2, s15, v4
	;; [unrolled: 8-line block ×4, first 2 shown]
	v_lshl_add_u64 v[4:5], v[2:3], 3, s[8:9]
	v_subrev_u32_e32 v2, s22, v1
	s_waitcnt vmcnt(0)
	v_pk_fma_f32 v[10:11], v[30:31], v[38:39], v[10:11] op_sel_hi:[1,0,1]
	s_nop 0
	v_pk_fma_f32 v[10:11], v[6:7], v[38:39], v[10:11] op_sel:[0,1,0]
	global_store_dwordx2 v[12:13], v[10:11], off
	global_load_dwordx2 v[10:11], v[14:15], off
	v_add_u32_e32 v12, v2, v0
	v_ashrrev_i32_e32 v13, 31, v12
	v_add_u32_e32 v2, s4, v12
	v_lshl_add_u64 v[16:17], v[2:3], 3, s[8:9]
	v_add_u32_e32 v2, s5, v12
	s_waitcnt vmcnt(0)
	v_pk_fma_f32 v[10:11], v[30:31], v[40:41], v[10:11] op_sel_hi:[1,0,1]
	s_nop 0
	v_pk_fma_f32 v[10:11], v[6:7], v[40:41], v[10:11] op_sel:[0,1,0]
	global_store_dwordx2 v[14:15], v[10:11], off
	global_load_dwordx2 v[10:11], v[4:5], off
	v_lshl_add_u64 v[14:15], v[12:13], 3, s[10:11]
	global_load_dwordx2 v[14:15], v[14:15], off
	s_waitcnt vmcnt(1)
	v_pk_fma_f32 v[10:11], v[30:31], v[42:43], v[10:11] op_sel_hi:[1,0,1]
	s_nop 0
	v_pk_fma_f32 v[6:7], v[6:7], v[42:43], v[10:11] op_sel:[0,1,0]
	global_store_dwordx2 v[4:5], v[6:7], off
	global_load_dwordx2 v[4:5], v[16:17], off
	s_waitcnt vmcnt(2)
	v_pk_add_f32 v[10:11], v[14:15], 0 neg_lo:[1,1] neg_hi:[1,1]
	v_lshl_add_u64 v[6:7], v[2:3], 3, s[8:9]
	v_pk_mov_b32 v[10:11], v[14:15], v[10:11] op_sel:[1,0]
	v_add_u32_e32 v2, s12, v12
	s_waitcnt vmcnt(0)
	v_pk_fma_f32 v[4:5], v[14:15], v[8:9], v[4:5] op_sel_hi:[1,0,1] neg_lo:[1,0,0] neg_hi:[1,0,0]
	s_nop 0
	v_pk_fma_f32 v[4:5], v[10:11], v[8:9], v[4:5] op_sel:[0,1,0]
	global_store_dwordx2 v[16:17], v[4:5], off
	global_load_dwordx2 v[4:5], v[6:7], off
	v_lshl_add_u64 v[8:9], v[2:3], 3, s[8:9]
	v_add_u32_e32 v2, s13, v12
	s_waitcnt vmcnt(0)
	v_pk_fma_f32 v[4:5], v[14:15], v[28:29], v[4:5] op_sel_hi:[1,0,1] neg_lo:[1,0,0] neg_hi:[1,0,0]
	s_nop 0
	v_pk_fma_f32 v[4:5], v[10:11], v[28:29], v[4:5] op_sel:[0,1,0]
	global_store_dwordx2 v[6:7], v[4:5], off
	global_load_dwordx2 v[4:5], v[8:9], off
	v_lshl_add_u64 v[6:7], v[2:3], 3, s[8:9]
	;; [unrolled: 8-line block ×6, first 2 shown]
	s_waitcnt vmcnt(0)
	v_pk_fma_f32 v[4:5], v[14:15], v[40:41], v[4:5] op_sel_hi:[1,0,1] neg_lo:[1,0,0] neg_hi:[1,0,0]
	s_nop 0
	v_pk_fma_f32 v[4:5], v[10:11], v[40:41], v[4:5] op_sel:[0,1,0]
	global_store_dwordx2 v[8:9], v[4:5], off
	global_load_dwordx2 v[4:5], v[6:7], off
	s_waitcnt vmcnt(0)
	v_pk_fma_f32 v[4:5], v[14:15], v[42:43], v[4:5] op_sel_hi:[1,0,1] neg_lo:[1,0,0] neg_hi:[1,0,0]
	s_nop 0
	v_pk_fma_f32 v[4:5], v[10:11], v[42:43], v[4:5] op_sel:[0,1,0]
	global_store_dwordx2 v[6:7], v[4:5], off
                                        ; implicit-def: $vgpr4
                                        ; implicit-def: $vgpr6_vgpr7
.LBB229_27:                             ;   in Loop: Header=BB229_25 Depth=1
	s_or_saveexec_b64 s[2:3], s[2:3]
	v_mov_b32_e32 v2, s18
	s_xor_b64 exec, exec, s[2:3]
	s_cbranch_execz .LBB229_24
; %bb.28:                               ;   in Loop: Header=BB229_25 Depth=1
	v_add_u32_e32 v5, v92, v1
	v_add_u32_e32 v2, s4, v5
	v_lshl_add_u64 v[8:9], v[2:3], 3, s[8:9]
	v_add_u32_e32 v2, s4, v4
	v_lshl_add_u64 v[10:11], v[2:3], 3, s[8:9]
	global_load_dwordx2 v[12:13], v[8:9], off
	global_load_dwordx2 v[14:15], v[10:11], off
	s_waitcnt vmcnt(2)
	v_pk_add_f32 v[8:9], v[6:7], 0 neg_lo:[1,1] neg_hi:[1,1]
	v_xor_b32_e32 v17, 0x80000000, v7
	v_mov_b32_e32 v16, v8
	v_pk_mov_b32 v[8:9], v[6:7], v[8:9] op_sel:[1,0]
	v_add_u32_e32 v2, s5, v5
	v_lshl_add_u64 v[18:19], v[2:3], 3, s[8:9]
	v_add_u32_e32 v2, s5, v4
	v_lshl_add_u64 v[20:21], v[2:3], 3, s[8:9]
	v_add_u32_e32 v2, s12, v5
	s_waitcnt vmcnt(0)
	v_pk_fma_f32 v[14:15], v[16:17], v[12:13], v[14:15] op_sel_hi:[1,0,1]
	s_nop 0
	v_pk_fma_f32 v[12:13], v[8:9], v[12:13], v[14:15] op_sel:[0,1,0]
	global_store_dwordx2 v[10:11], v[12:13], off
	global_load_dwordx2 v[10:11], v[18:19], off
	s_nop 0
	global_load_dwordx2 v[12:13], v[20:21], off
	v_lshl_add_u64 v[14:15], v[2:3], 3, s[8:9]
	v_add_u32_e32 v2, s12, v4
	v_lshl_add_u64 v[18:19], v[2:3], 3, s[8:9]
	v_add_u32_e32 v2, s13, v5
	s_waitcnt vmcnt(0)
	v_pk_fma_f32 v[12:13], v[16:17], v[10:11], v[12:13] op_sel_hi:[1,0,1]
	s_nop 0
	v_pk_fma_f32 v[10:11], v[8:9], v[10:11], v[12:13] op_sel:[0,1,0]
	global_store_dwordx2 v[20:21], v[10:11], off
	global_load_dwordx2 v[10:11], v[14:15], off
	s_nop 0
	global_load_dwordx2 v[12:13], v[18:19], off
	;; [unrolled: 12-line block ×6, first 2 shown]
	v_lshl_add_u64 v[14:15], v[2:3], 3, s[8:9]
	v_add_u32_e32 v2, s17, v4
	v_lshl_add_u64 v[4:5], v[2:3], 3, s[8:9]
	v_mov_b32_e32 v2, s22
	s_waitcnt vmcnt(0)
	v_pk_fma_f32 v[12:13], v[16:17], v[10:11], v[12:13] op_sel_hi:[1,0,1]
	s_nop 0
	v_pk_fma_f32 v[10:11], v[8:9], v[10:11], v[12:13] op_sel:[0,1,0]
	global_store_dwordx2 v[18:19], v[10:11], off
	global_load_dwordx2 v[10:11], v[14:15], off
	s_nop 0
	global_load_dwordx2 v[12:13], v[4:5], off
	s_waitcnt vmcnt(0)
	v_pk_fma_f32 v[6:7], v[6:7], v[10:11], v[12:13] op_sel_hi:[1,0,1] neg_lo:[1,0,0] neg_hi:[1,0,0]
	s_nop 0
	v_pk_fma_f32 v[6:7], v[8:9], v[10:11], v[6:7] op_sel:[0,1,0]
	global_store_dwordx2 v[4:5], v[6:7], off
	s_branch .LBB229_24
.LBB229_29:
	s_endpgm
	.section	.rodata,"a",@progbits
	.p2align	6, 0x0
	.amdhsa_kernel _ZN9rocsparseL19gtsv_LBM_rhs_kernelILj256ELj32ELj8E21rocsparse_complex_numIfEEEviiiPKT2_S5_S5_PS3_S5_PKi
		.amdhsa_group_segment_fixed_size 0
		.amdhsa_private_segment_fixed_size 0
		.amdhsa_kernarg_size 64
		.amdhsa_user_sgpr_count 2
		.amdhsa_user_sgpr_dispatch_ptr 0
		.amdhsa_user_sgpr_queue_ptr 0
		.amdhsa_user_sgpr_kernarg_segment_ptr 1
		.amdhsa_user_sgpr_dispatch_id 0
		.amdhsa_user_sgpr_kernarg_preload_length 0
		.amdhsa_user_sgpr_kernarg_preload_offset 0
		.amdhsa_user_sgpr_private_segment_size 0
		.amdhsa_uses_dynamic_stack 0
		.amdhsa_enable_private_segment 0
		.amdhsa_system_sgpr_workgroup_id_x 1
		.amdhsa_system_sgpr_workgroup_id_y 1
		.amdhsa_system_sgpr_workgroup_id_z 0
		.amdhsa_system_sgpr_workgroup_info 0
		.amdhsa_system_vgpr_workitem_id 0
		.amdhsa_next_free_vgpr 120
		.amdhsa_next_free_sgpr 37
		.amdhsa_accum_offset 120
		.amdhsa_reserve_vcc 1
		.amdhsa_float_round_mode_32 0
		.amdhsa_float_round_mode_16_64 0
		.amdhsa_float_denorm_mode_32 3
		.amdhsa_float_denorm_mode_16_64 3
		.amdhsa_dx10_clamp 1
		.amdhsa_ieee_mode 1
		.amdhsa_fp16_overflow 0
		.amdhsa_tg_split 0
		.amdhsa_exception_fp_ieee_invalid_op 0
		.amdhsa_exception_fp_denorm_src 0
		.amdhsa_exception_fp_ieee_div_zero 0
		.amdhsa_exception_fp_ieee_overflow 0
		.amdhsa_exception_fp_ieee_underflow 0
		.amdhsa_exception_fp_ieee_inexact 0
		.amdhsa_exception_int_div_zero 0
	.end_amdhsa_kernel
	.section	.text._ZN9rocsparseL19gtsv_LBM_rhs_kernelILj256ELj32ELj8E21rocsparse_complex_numIfEEEviiiPKT2_S5_S5_PS3_S5_PKi,"axG",@progbits,_ZN9rocsparseL19gtsv_LBM_rhs_kernelILj256ELj32ELj8E21rocsparse_complex_numIfEEEviiiPKT2_S5_S5_PS3_S5_PKi,comdat
.Lfunc_end229:
	.size	_ZN9rocsparseL19gtsv_LBM_rhs_kernelILj256ELj32ELj8E21rocsparse_complex_numIfEEEviiiPKT2_S5_S5_PS3_S5_PKi, .Lfunc_end229-_ZN9rocsparseL19gtsv_LBM_rhs_kernelILj256ELj32ELj8E21rocsparse_complex_numIfEEEviiiPKT2_S5_S5_PS3_S5_PKi
                                        ; -- End function
	.set _ZN9rocsparseL19gtsv_LBM_rhs_kernelILj256ELj32ELj8E21rocsparse_complex_numIfEEEviiiPKT2_S5_S5_PS3_S5_PKi.num_vgpr, 120
	.set _ZN9rocsparseL19gtsv_LBM_rhs_kernelILj256ELj32ELj8E21rocsparse_complex_numIfEEEviiiPKT2_S5_S5_PS3_S5_PKi.num_agpr, 0
	.set _ZN9rocsparseL19gtsv_LBM_rhs_kernelILj256ELj32ELj8E21rocsparse_complex_numIfEEEviiiPKT2_S5_S5_PS3_S5_PKi.numbered_sgpr, 37
	.set _ZN9rocsparseL19gtsv_LBM_rhs_kernelILj256ELj32ELj8E21rocsparse_complex_numIfEEEviiiPKT2_S5_S5_PS3_S5_PKi.num_named_barrier, 0
	.set _ZN9rocsparseL19gtsv_LBM_rhs_kernelILj256ELj32ELj8E21rocsparse_complex_numIfEEEviiiPKT2_S5_S5_PS3_S5_PKi.private_seg_size, 0
	.set _ZN9rocsparseL19gtsv_LBM_rhs_kernelILj256ELj32ELj8E21rocsparse_complex_numIfEEEviiiPKT2_S5_S5_PS3_S5_PKi.uses_vcc, 1
	.set _ZN9rocsparseL19gtsv_LBM_rhs_kernelILj256ELj32ELj8E21rocsparse_complex_numIfEEEviiiPKT2_S5_S5_PS3_S5_PKi.uses_flat_scratch, 0
	.set _ZN9rocsparseL19gtsv_LBM_rhs_kernelILj256ELj32ELj8E21rocsparse_complex_numIfEEEviiiPKT2_S5_S5_PS3_S5_PKi.has_dyn_sized_stack, 0
	.set _ZN9rocsparseL19gtsv_LBM_rhs_kernelILj256ELj32ELj8E21rocsparse_complex_numIfEEEviiiPKT2_S5_S5_PS3_S5_PKi.has_recursion, 0
	.set _ZN9rocsparseL19gtsv_LBM_rhs_kernelILj256ELj32ELj8E21rocsparse_complex_numIfEEEviiiPKT2_S5_S5_PS3_S5_PKi.has_indirect_call, 0
	.section	.AMDGPU.csdata,"",@progbits
; Kernel info:
; codeLenInByte = 6184
; TotalNumSgprs: 43
; NumVgprs: 120
; NumAgprs: 0
; TotalNumVgprs: 120
; ScratchSize: 0
; MemoryBound: 0
; FloatMode: 240
; IeeeMode: 1
; LDSByteSize: 0 bytes/workgroup (compile time only)
; SGPRBlocks: 5
; VGPRBlocks: 14
; NumSGPRsForWavesPerEU: 43
; NumVGPRsForWavesPerEU: 120
; AccumOffset: 120
; Occupancy: 4
; WaveLimiterHint : 0
; COMPUTE_PGM_RSRC2:SCRATCH_EN: 0
; COMPUTE_PGM_RSRC2:USER_SGPR: 2
; COMPUTE_PGM_RSRC2:TRAP_HANDLER: 0
; COMPUTE_PGM_RSRC2:TGID_X_EN: 1
; COMPUTE_PGM_RSRC2:TGID_Y_EN: 1
; COMPUTE_PGM_RSRC2:TGID_Z_EN: 0
; COMPUTE_PGM_RSRC2:TIDIG_COMP_CNT: 0
; COMPUTE_PGM_RSRC3_GFX90A:ACCUM_OFFSET: 29
; COMPUTE_PGM_RSRC3_GFX90A:TG_SPLIT: 0
	.section	.text._ZN9rocsparseL19gtsv_LBM_rhs_kernelILj256ELj32ELj4E21rocsparse_complex_numIfEEEviiiPKT2_S5_S5_PS3_S5_PKi,"axG",@progbits,_ZN9rocsparseL19gtsv_LBM_rhs_kernelILj256ELj32ELj4E21rocsparse_complex_numIfEEEviiiPKT2_S5_S5_PS3_S5_PKi,comdat
	.globl	_ZN9rocsparseL19gtsv_LBM_rhs_kernelILj256ELj32ELj4E21rocsparse_complex_numIfEEEviiiPKT2_S5_S5_PS3_S5_PKi ; -- Begin function _ZN9rocsparseL19gtsv_LBM_rhs_kernelILj256ELj32ELj4E21rocsparse_complex_numIfEEEviiiPKT2_S5_S5_PS3_S5_PKi
	.p2align	8
	.type	_ZN9rocsparseL19gtsv_LBM_rhs_kernelILj256ELj32ELj4E21rocsparse_complex_numIfEEEviiiPKT2_S5_S5_PS3_S5_PKi,@function
_ZN9rocsparseL19gtsv_LBM_rhs_kernelILj256ELj32ELj4E21rocsparse_complex_numIfEEEviiiPKT2_S5_S5_PS3_S5_PKi: ; @_ZN9rocsparseL19gtsv_LBM_rhs_kernelILj256ELj32ELj4E21rocsparse_complex_numIfEEEviiiPKT2_S5_S5_PS3_S5_PKi
; %bb.0:
	s_load_dword s23, s[0:1], 0x0
	v_lshl_or_b32 v0, s2, 8, v0
	s_waitcnt lgkmcnt(0)
	s_lshr_b32 s22, s23, 5
	v_cmp_gt_i32_e32 vcc, s22, v0
	s_and_saveexec_b64 s[4:5], vcc
	s_cbranch_execz .LBB230_29
; %bb.1:
	s_load_dwordx4 s[8:11], s[0:1], 0x28
	s_load_dwordx2 s[6:7], s[0:1], 0x38
	s_cmp_lt_i32 s23, 1
	v_add_u32_e32 v56, s22, v0
	s_mul_i32 s24, s3, s23
	s_cbranch_scc1 .LBB230_21
; %bb.2:
	s_load_dwordx4 s[12:15], s[0:1], 0x10
	s_load_dwordx2 s[16:17], s[0:1], 0x20
	v_ashrrev_i32_e32 v1, 31, v0
	s_lshl_b32 s28, s24, 2
	s_add_i32 s29, s28, s23
	s_waitcnt lgkmcnt(0)
	v_lshl_add_u64 v[2:3], v[0:1], 3, s[14:15]
	global_load_dwordx2 v[4:5], v[2:3], off
	s_add_i32 s30, s29, s23
	s_mul_i32 s25, s22, 31
	s_mul_i32 s26, s22, 30
	s_lshl_b32 s27, s22, 1
	v_add_u32_e32 v57, s22, v56
	s_add_i32 s31, s30, s23
	v_mov_b32_e32 v3, 0
	s_mov_b64 s[18:19], 0
	v_mov_b32_e32 v1, 0
	s_branch .LBB230_5
.LBB230_3:                              ;   in Loop: Header=BB230_5 Depth=1
	s_or_b64 exec, exec, s[4:5]
	v_mov_b32_e32 v17, v6
	v_pk_mul_f32 v[14:15], v[8:9], v[16:17] op_sel:[1,0]
	s_nop 0
	v_pk_fma_f32 v[6:7], v[6:7], v[8:9], v[14:15] op_sel_hi:[1,0,1]
	s_nop 0
	v_xor_b32_e32 v8, 0x80000000, v7
	v_mov_b32_e32 v9, v6
	v_pk_mul_f32 v[8:9], v[10:11], v[8:9] op_sel_hi:[0,1]
	v_pk_fma_f32 v[4:5], v[6:7], v[4:5], v[8:9] op_sel_hi:[1,0,1]
	v_mov_b32_e32 v10, s22
	v_pk_add_f32 v[4:5], v[12:13], v[4:5] neg_lo:[0,1] neg_hi:[0,1]
.LBB230_4:                              ;   in Loop: Header=BB230_5 Depth=1
	s_or_b64 exec, exec, s[2:3]
	v_add_u32_e32 v1, v10, v1
	v_cmp_le_i32_e32 vcc, s23, v1
	s_or_b64 s[18:19], vcc, s[18:19]
	s_andn2_b64 exec, exec, s[18:19]
	s_cbranch_execz .LBB230_20
.LBB230_5:                              ; =>This Inner Loop Header: Depth=1
	v_add_u32_e32 v16, v1, v0
	v_ashrrev_i32_e32 v17, 31, v16
	v_lshl_add_u64 v[6:7], v[16:17], 3, s[16:17]
	global_load_dwordx2 v[8:9], v[6:7], off
	v_cmp_gt_u32_e64 s[0:1], s25, v1
	v_mov_b32_e32 v6, 0
	v_mov_b32_e32 v7, 0
	s_and_saveexec_b64 s[2:3], s[0:1]
	s_cbranch_execz .LBB230_7
; %bb.6:                                ;   in Loop: Header=BB230_5 Depth=1
	v_add_u32_e32 v6, v56, v1
	v_ashrrev_i32_e32 v7, 31, v6
	v_lshl_add_u64 v[6:7], v[6:7], 3, s[12:13]
	global_load_dwordx2 v[6:7], v[6:7], off
.LBB230_7:                              ;   in Loop: Header=BB230_5 Depth=1
	s_or_b64 exec, exec, s[2:3]
	v_mov_b32_e32 v10, 0
	v_mov_b32_e32 v12, 0
	;; [unrolled: 1-line block ×3, first 2 shown]
	s_and_saveexec_b64 s[2:3], s[0:1]
	s_cbranch_execz .LBB230_9
; %bb.8:                                ;   in Loop: Header=BB230_5 Depth=1
	v_add_u32_e32 v12, v56, v1
	v_ashrrev_i32_e32 v13, 31, v12
	v_lshl_add_u64 v[12:13], v[12:13], 3, s[14:15]
	global_load_dwordx2 v[12:13], v[12:13], off
.LBB230_9:                              ;   in Loop: Header=BB230_5 Depth=1
	s_or_b64 exec, exec, s[2:3]
	v_mov_b32_e32 v11, 0
	s_and_saveexec_b64 s[2:3], s[0:1]
	s_cbranch_execz .LBB230_11
; %bb.10:                               ;   in Loop: Header=BB230_5 Depth=1
	v_add_u32_e32 v10, v56, v1
	v_ashrrev_i32_e32 v11, 31, v10
	v_lshl_add_u64 v[10:11], v[10:11], 3, s[16:17]
	global_load_dwordx2 v[10:11], v[10:11], off
.LBB230_11:                             ;   in Loop: Header=BB230_5 Depth=1
	s_or_b64 exec, exec, s[2:3]
	v_cmp_gt_u32_e64 s[2:3], s26, v1
	v_mov_b32_e32 v14, 0
	v_mov_b32_e32 v15, 0
	s_and_saveexec_b64 s[4:5], s[2:3]
	s_cbranch_execz .LBB230_13
; %bb.12:                               ;   in Loop: Header=BB230_5 Depth=1
	v_add_u32_e32 v14, v57, v1
	v_ashrrev_i32_e32 v15, 31, v14
	v_lshl_add_u64 v[14:15], v[14:15], 3, s[12:13]
	global_load_dwordx2 v[14:15], v[14:15], off
.LBB230_13:                             ;   in Loop: Header=BB230_5 Depth=1
	s_or_b64 exec, exec, s[4:5]
	v_lshl_add_u64 v[18:19], v[16:17], 2, s[6:7]
	global_load_dword v17, v[18:19], off
	v_cmp_ne_u32_e32 vcc, s25, v1
	v_add_u32_e32 v2, s28, v16
	v_add_u32_e32 v22, s29, v16
	;; [unrolled: 1-line block ×4, first 2 shown]
	s_waitcnt vmcnt(1)
	v_xor_b32_e32 v16, 0x80000000, v7
	s_waitcnt vmcnt(0)
	v_cmp_ne_u32_e64 s[4:5], 1, v17
	s_and_b64 s[4:5], vcc, s[4:5]
	s_and_saveexec_b64 s[20:21], s[4:5]
	s_xor_b64 s[4:5], exec, s[20:21]
	s_cbranch_execz .LBB230_17
; %bb.14:                               ;   in Loop: Header=BB230_5 Depth=1
	v_add_u32_e32 v17, v56, v1
	v_lshl_add_u64 v[24:25], v[2:3], 3, s[8:9]
	v_add_u32_e32 v2, s28, v17
	v_lshl_add_u64 v[54:55], v[2:3], 3, s[8:9]
	global_load_dwordx2 v[26:27], v[24:25], off
	global_load_dwordx2 v[28:29], v[54:55], off
	v_mov_b32_e32 v23, v3
	v_add_u32_e32 v2, s29, v17
	v_mov_b32_e32 v21, v3
	v_lshl_add_u64 v[22:23], v[22:23], 3, s[8:9]
	v_lshl_add_u64 v[58:59], v[2:3], 3, s[8:9]
	;; [unrolled: 1-line block ×3, first 2 shown]
	global_load_dwordx2 v[32:33], v[58:59], off
	global_load_dwordx2 v[40:41], v[34:35], off
	;; [unrolled: 1-line block ×3, first 2 shown]
	v_add_u32_e32 v2, s30, v17
	v_lshl_add_u64 v[60:61], v[2:3], 3, s[8:9]
	global_load_dwordx2 v[62:63], v[60:61], off
	v_mov_b32_e32 v19, v3
	v_lshl_add_u64 v[64:65], v[18:19], 3, s[8:9]
	v_add_u32_e32 v2, s31, v17
	global_load_dwordx2 v[66:67], v[64:65], off
	v_lshl_add_u64 v[68:69], v[2:3], 3, s[8:9]
	global_load_dwordx2 v[70:71], v[68:69], off
	v_xor_b32_e32 v18, 0x80000000, v5
	v_mov_b32_e32 v19, v4
	v_mov_b32_e32 v17, v6
	v_pk_mul_f32 v[20:21], v[12:13], v[18:19] op_sel:[1,0]
	v_pk_mul_f32 v[16:17], v[8:9], v[16:17] op_sel:[1,0]
	v_pk_fma_f32 v[20:21], v[4:5], v[12:13], v[20:21] op_sel_hi:[1,0,1]
	v_pk_fma_f32 v[16:17], v[6:7], v[8:9], v[16:17] op_sel_hi:[1,0,1]
	v_xor_b32_e32 v72, 0x80000000, v13
	v_pk_add_f32 v[16:17], v[20:21], v[16:17] neg_lo:[0,1] neg_hi:[0,1]
	v_xor_b32_e32 v74, 0x80000000, v9
	v_mul_f32_e32 v2, v17, v17
	v_fmac_f32_e32 v2, v16, v16
	v_div_scale_f32 v21, s[20:21], v2, v2, 1.0
	v_rcp_f32_e32 v36, v21
	v_fma_f32 v20, 0, v17, v16
	v_fma_f32 v17, v16, 0, -v17
	v_div_scale_f32 v16, vcc, 1.0, v2, 1.0
	v_fma_f32 v37, -v21, v36, 1.0
	v_fmac_f32_e32 v36, v37, v36
	v_mul_f32_e32 v37, v16, v36
	v_fma_f32 v38, -v21, v37, v16
	v_fmac_f32_e32 v37, v38, v36
	v_fma_f32 v16, -v21, v37, v16
	v_div_fmas_f32 v16, v16, v36, v37
	v_div_fixup_f32 v2, v16, v2, 1.0
	v_mul_f32_e32 v16, v20, v2
	v_mul_f32_e32 v20, v17, v2
	v_mov_b32_e32 v73, v12
	v_mov_b32_e32 v75, v8
	;; [unrolled: 1-line block ×3, first 2 shown]
	s_waitcnt vmcnt(7)
	v_mul_f32_e32 v48, v20, v26
	s_waitcnt vmcnt(6)
	v_mul_f32_e32 v44, v20, v28
	v_mul_f32_e64 v46, v20, -v27
	v_fmac_f32_e32 v48, v27, v16
	v_mul_f32_e64 v42, v20, -v29
	v_fmac_f32_e32 v44, v29, v16
	v_fmac_f32_e32 v46, v26, v16
	;; [unrolled: 1-line block ×3, first 2 shown]
	v_pk_mul_f32 v[26:27], v[48:49], v[72:73] op_sel_hi:[0,1]
	v_pk_mul_f32 v[28:29], v[44:45], v[74:75] op_sel_hi:[0,1]
	v_pk_fma_f32 v[26:27], v[12:13], v[46:47], v[26:27] op_sel_hi:[1,0,1]
	v_pk_fma_f32 v[28:29], v[8:9], v[42:43], v[28:29] op_sel_hi:[1,0,1]
	s_waitcnt vmcnt(3)
	v_mul_f32_e32 v38, v20, v30
	v_mul_f32_e32 v52, v20, v32
	v_pk_add_f32 v[26:27], v[26:27], v[28:29] neg_lo:[0,1] neg_hi:[0,1]
	v_mul_f32_e64 v36, v20, -v31
	v_fmac_f32_e32 v38, v31, v16
	v_mul_f32_e64 v50, v20, -v33
	v_fmac_f32_e32 v52, v33, v16
	global_store_dwordx2 v[24:25], v[26:27], off
	v_fmac_f32_e32 v36, v30, v16
	v_fmac_f32_e32 v50, v32, v16
	v_pk_mul_f32 v[24:25], v[38:39], v[72:73] op_sel_hi:[0,1]
	v_pk_mul_f32 v[26:27], v[52:53], v[74:75] op_sel_hi:[0,1]
	v_pk_fma_f32 v[24:25], v[12:13], v[36:37], v[24:25] op_sel_hi:[1,0,1]
	v_pk_fma_f32 v[26:27], v[8:9], v[50:51], v[26:27] op_sel_hi:[1,0,1]
	s_waitcnt vmcnt(3)
	v_mul_f32_e32 v28, v20, v62
	v_pk_add_f32 v[24:25], v[24:25], v[26:27] neg_lo:[0,1] neg_hi:[0,1]
	global_store_dwordx2 v[22:23], v[24:25], off
	v_mul_f32_e32 v24, v20, v40
	v_mul_f32_e64 v22, v20, -v41
	v_fmac_f32_e32 v24, v41, v16
	v_mul_f32_e64 v26, v20, -v63
	v_fmac_f32_e32 v28, v63, v16
	v_fmac_f32_e32 v22, v40, v16
	;; [unrolled: 1-line block ×3, first 2 shown]
	v_pk_mul_f32 v[30:31], v[24:25], v[72:73] op_sel_hi:[0,1]
	v_pk_mul_f32 v[32:33], v[28:29], v[74:75] op_sel_hi:[0,1]
	v_pk_fma_f32 v[30:31], v[12:13], v[22:23], v[30:31] op_sel_hi:[1,0,1]
	v_pk_fma_f32 v[32:33], v[8:9], v[26:27], v[32:33] op_sel_hi:[1,0,1]
	s_waitcnt vmcnt(2)
	v_mul_f32_e32 v40, v20, v70
	v_pk_add_f32 v[30:31], v[30:31], v[32:33] neg_lo:[0,1] neg_hi:[0,1]
	v_mul_f32_e32 v32, v20, v66
	global_store_dwordx2 v[34:35], v[30:31], off
	v_mul_f32_e64 v30, v20, -v67
	v_fmac_f32_e32 v32, v67, v16
	v_fmac_f32_e32 v30, v66, v16
	v_mul_f32_e64 v34, v20, -v71
	v_fmac_f32_e32 v40, v71, v16
	v_pk_mul_f32 v[62:63], v[32:33], v[72:73] op_sel_hi:[0,1]
	v_fmac_f32_e32 v34, v70, v16
	v_pk_fma_f32 v[12:13], v[12:13], v[30:31], v[62:63] op_sel_hi:[1,0,1]
	v_pk_mul_f32 v[62:63], v[40:41], v[74:75] op_sel_hi:[0,1]
	v_pk_fma_f32 v[8:9], v[8:9], v[34:35], v[62:63] op_sel_hi:[1,0,1]
	v_pk_mul_f32 v[62:63], v[44:45], v[18:19] op_sel_hi:[0,1]
	v_pk_add_f32 v[8:9], v[12:13], v[8:9] neg_lo:[0,1] neg_hi:[0,1]
	v_pk_add_f32 v[12:13], v[6:7], 0 neg_lo:[1,1] neg_hi:[1,1]
	global_store_dwordx2 v[64:65], v[8:9], off
	v_pk_mov_b32 v[12:13], v[6:7], v[12:13] op_sel:[1,0]
	v_pk_fma_f32 v[62:63], v[4:5], v[42:43], v[62:63] op_sel_hi:[1,0,1]
	v_pk_mul_f32 v[8:9], v[12:13], v[48:49] op_sel_hi:[1,0]
	s_nop 0
	v_pk_fma_f32 v[8:9], v[6:7], v[46:47], v[8:9] op_sel_hi:[1,0,1] neg_lo:[1,0,0] neg_hi:[1,0,0]
	s_nop 0
	v_pk_add_f32 v[62:63], v[8:9], v[62:63]
	global_store_dwordx2 v[54:55], v[62:63], off
	v_pk_mul_f32 v[54:55], v[12:13], v[38:39] op_sel_hi:[1,0]
	v_pk_mul_f32 v[62:63], v[52:53], v[18:19] op_sel_hi:[0,1]
	v_pk_fma_f32 v[54:55], v[6:7], v[36:37], v[54:55] op_sel_hi:[1,0,1] neg_lo:[1,0,0] neg_hi:[1,0,0]
	v_pk_fma_f32 v[62:63], v[4:5], v[50:51], v[62:63] op_sel_hi:[1,0,1]
	v_mov_b32_e32 v8, v4
	v_pk_add_f32 v[54:55], v[54:55], v[62:63]
	global_store_dwordx2 v[58:59], v[54:55], off
	v_pk_mul_f32 v[54:55], v[12:13], v[24:25] op_sel_hi:[1,0]
	v_pk_mul_f32 v[58:59], v[28:29], v[18:19] op_sel_hi:[0,1]
	v_pk_fma_f32 v[54:55], v[6:7], v[22:23], v[54:55] op_sel_hi:[1,0,1] neg_lo:[1,0,0] neg_hi:[1,0,0]
	v_pk_fma_f32 v[58:59], v[4:5], v[26:27], v[58:59] op_sel_hi:[1,0,1]
	v_mov_b32_e32 v9, v4
	v_pk_add_f32 v[54:55], v[54:55], v[58:59]
	global_store_dwordx2 v[60:61], v[54:55], off
	v_pk_mul_f32 v[54:55], v[12:13], v[32:33] op_sel_hi:[1,0]
	v_pk_mul_f32 v[58:59], v[40:41], v[18:19] op_sel_hi:[0,1]
	v_pk_fma_f32 v[54:55], v[6:7], v[30:31], v[54:55] op_sel_hi:[1,0,1] neg_lo:[1,0,0] neg_hi:[1,0,0]
	v_pk_fma_f32 v[58:59], v[4:5], v[34:35], v[58:59] op_sel_hi:[1,0,1]
	s_nop 0
	v_pk_add_f32 v[54:55], v[54:55], v[58:59]
	global_store_dwordx2 v[68:69], v[54:55], off
	v_mov_b64_e32 v[54:55], v[2:3]
	s_and_saveexec_b64 s[20:21], s[2:3]
	s_cbranch_execz .LBB230_16
; %bb.15:                               ;   in Loop: Header=BB230_5 Depth=1
	v_mov_b32_e32 v60, v15
	v_pk_mul_f32 v[12:13], v[60:61], v[12:13] op_sel_hi:[0,1]
	v_pk_fma_f32 v[6:7], v[6:7], v[14:15], v[12:13] op_sel_hi:[1,0,1] neg_lo:[1,0,0] neg_hi:[1,0,0]
	v_pk_mul_f32 v[18:19], v[60:61], v[18:19] op_sel_hi:[0,1]
	v_pk_add_f32 v[60:61], v[6:7], 0 neg_lo:[1,1] neg_hi:[1,1]
	v_mov_b32_e32 v49, v48
	v_pk_mov_b32 v[60:61], v[6:7], v[60:61] op_sel:[1,0]
	v_mov_b32_e32 v47, v46
	v_add_u32_e32 v54, v57, v1
	v_pk_fma_f32 v[18:19], v[4:5], v[14:15], v[18:19] op_sel_hi:[1,0,1]
	v_pk_mul_f32 v[48:49], v[60:61], v[48:49]
	v_mov_b32_e32 v45, v44
	v_add_u32_e32 v2, s28, v54
	v_pk_fma_f32 v[46:47], v[6:7], v[46:47], v[48:49] neg_lo:[1,0,0] neg_hi:[1,0,0]
	v_xor_b32_e32 v48, 0x80000000, v19
	v_mov_b32_e32 v49, v18
	v_mov_b32_e32 v43, v42
	v_lshl_add_u64 v[58:59], v[2:3], 3, s[8:9]
	v_pk_mul_f32 v[44:45], v[44:45], v[48:49]
	v_mov_b32_e32 v53, v52
	v_add_u32_e32 v2, s29, v54
	v_pk_fma_f32 v[42:43], v[18:19], v[42:43], v[44:45]
	global_load_dwordx2 v[44:45], v[58:59], off
	v_mov_b32_e32 v51, v50
	v_lshl_add_u64 v[12:13], v[2:3], 3, s[8:9]
	v_pk_mul_f32 v[52:53], v[52:53], v[48:49]
	v_mov_b32_e32 v39, v38
	v_pk_fma_f32 v[50:51], v[18:19], v[50:51], v[52:53]
	global_load_dwordx2 v[52:53], v[12:13], off
	v_mov_b32_e32 v37, v36
	v_pk_mul_f32 v[38:39], v[60:61], v[38:39]
	v_pk_add_f32 v[42:43], v[46:47], v[42:43] neg_lo:[0,1] neg_hi:[0,1]
	v_add_u32_e32 v2, s30, v54
	v_pk_fma_f32 v[36:37], v[6:7], v[36:37], v[38:39] neg_lo:[1,0,0] neg_hi:[1,0,0]
	v_lshl_add_u64 v[38:39], v[2:3], 3, s[8:9]
	v_pk_add_f32 v[36:37], v[36:37], v[50:51] neg_lo:[0,1] neg_hi:[0,1]
	v_ashrrev_i32_e32 v55, 31, v54
	v_add_u32_e32 v2, s31, v54
	v_lshl_add_u64 v[46:47], v[2:3], 3, s[8:9]
	v_mov_b32_e32 v2, v11
	v_mov_b32_e32 v29, v28
	;; [unrolled: 1-line block ×9, first 2 shown]
	v_pk_mul_f32 v[24:25], v[60:61], v[24:25]
	s_waitcnt vmcnt(1)
	v_pk_add_f32 v[42:43], v[42:43], v[44:45]
	global_store_dwordx2 v[58:59], v[42:43], off
	global_load_dwordx2 v[42:43], v[38:39], off
	v_xor_b32_e32 v44, 0x80000000, v15
	v_mov_b32_e32 v45, v14
	v_pk_mul_f32 v[4:5], v[4:5], v[44:45] op_sel:[1,0]
	s_waitcnt vmcnt(2)
	v_pk_add_f32 v[36:37], v[36:37], v[52:53]
	global_store_dwordx2 v[12:13], v[36:37], off
	v_lshl_add_u64 v[36:37], v[54:55], 3, s[14:15]
	global_load_dwordx2 v[12:13], v[46:47], off
	v_pk_fma_f32 v[4:5], v[14:15], v[8:9], v[4:5]
	global_load_dwordx2 v[36:37], v[36:37], off
	v_xor_b32_e32 v8, 0x80000000, v5
	v_mov_b32_e32 v9, v4
	v_pk_mul_f32 v[8:9], v[2:3], v[8:9] op_sel_hi:[0,1]
	v_pk_mul_f32 v[14:15], v[28:29], v[48:49]
	v_pk_fma_f32 v[4:5], v[4:5], v[10:11], v[8:9] op_sel_hi:[1,0,1]
	v_pk_mul_f32 v[28:29], v[40:41], v[48:49]
	v_pk_fma_f32 v[14:15], v[18:19], v[26:27], v[14:15]
	v_pk_mul_f32 v[26:27], v[60:61], v[32:33]
	v_xor_b32_e32 v10, 0x80000000, v5
	v_mov_b32_e32 v11, v4
	v_pk_fma_f32 v[18:19], v[18:19], v[34:35], v[28:29]
	v_pk_fma_f32 v[8:9], v[6:7], v[22:23], v[24:25] neg_lo:[1,0,0] neg_hi:[1,0,0]
	v_pk_fma_f32 v[6:7], v[6:7], v[30:31], v[26:27] neg_lo:[1,0,0] neg_hi:[1,0,0]
	v_pk_mul_f32 v[10:11], v[20:21], v[10:11] op_sel_hi:[0,1]
	v_pk_add_f32 v[8:9], v[8:9], v[14:15] neg_lo:[0,1] neg_hi:[0,1]
	v_pk_add_f32 v[6:7], v[6:7], v[18:19] neg_lo:[0,1] neg_hi:[0,1]
	v_pk_fma_f32 v[4:5], v[4:5], v[16:17], v[10:11] op_sel_hi:[1,0,1]
	s_waitcnt vmcnt(3)
	v_pk_add_f32 v[8:9], v[8:9], v[42:43]
	global_store_dwordx2 v[38:39], v[8:9], off
	s_waitcnt vmcnt(2)
	v_pk_add_f32 v[6:7], v[6:7], v[12:13]
	global_store_dwordx2 v[46:47], v[6:7], off
	s_waitcnt vmcnt(2)
	v_pk_add_f32 v[54:55], v[36:37], v[4:5] neg_lo:[0,1] neg_hi:[0,1]
.LBB230_16:                             ;   in Loop: Header=BB230_5 Depth=1
	s_or_b64 exec, exec, s[20:21]
	v_mov_b64_e32 v[4:5], v[54:55]
                                        ; implicit-def: $vgpr8_vgpr9
                                        ; implicit-def: $vgpr6
                                        ; implicit-def: $vgpr12_vgpr13
                                        ; implicit-def: $vgpr22
                                        ; implicit-def: $vgpr20
                                        ; implicit-def: $vgpr18
                                        ; implicit-def: $vgpr16
.LBB230_17:                             ;   in Loop: Header=BB230_5 Depth=1
	s_or_saveexec_b64 s[2:3], s[4:5]
	v_mov_b32_e32 v10, s27
	s_xor_b64 exec, exec, s[2:3]
	s_cbranch_execz .LBB230_4
; %bb.18:                               ;   in Loop: Header=BB230_5 Depth=1
	v_lshl_add_u64 v[24:25], v[2:3], 3, s[8:9]
	v_mov_b32_e32 v23, v3
	global_load_dwordx2 v[14:15], v[24:25], off
	v_lshl_add_u64 v[26:27], v[22:23], 3, s[8:9]
	v_mov_b32_e32 v21, v3
	v_mov_b32_e32 v19, v3
	v_lshl_add_u64 v[28:29], v[20:21], 3, s[8:9]
	v_lshl_add_u64 v[30:31], v[18:19], 3, s[8:9]
	global_load_dwordx2 v[18:19], v[26:27], off
	global_load_dwordx2 v[20:21], v[28:29], off
	;; [unrolled: 1-line block ×3, first 2 shown]
	v_mul_f32_e32 v2, v5, v5
	v_fmac_f32_e32 v2, v4, v4
	v_div_scale_f32 v11, s[4:5], v2, v2, 1.0
	v_rcp_f32_e32 v17, v11
	v_fma_f32 v10, 0, v5, v4
	v_fma_f32 v5, v4, 0, -v5
	v_div_scale_f32 v4, vcc, 1.0, v2, 1.0
	v_fma_f32 v22, -v11, v17, 1.0
	v_fmac_f32_e32 v17, v22, v17
	v_mul_f32_e32 v22, v4, v17
	v_fma_f32 v23, -v11, v22, v4
	v_fmac_f32_e32 v22, v23, v17
	v_fma_f32 v4, -v11, v22, v4
	v_div_fmas_f32 v4, v4, v17, v22
	v_div_fixup_f32 v2, v4, v2, 1.0
	v_mul_f32_e32 v4, v10, v2
	v_mul_f32_e32 v10, v5, v2
	s_waitcnt vmcnt(3)
	v_pk_mul_f32 v[22:23], v[10:11], v[14:15] op_sel:[0,1] op_sel_hi:[0,0] neg_lo:[0,1]
	v_pk_fma_f32 v[14:15], v[14:15], v[4:5], v[22:23] op_sel_hi:[1,0,1]
	global_store_dwordx2 v[24:25], v[14:15], off
	s_waitcnt vmcnt(3)
	v_pk_mul_f32 v[22:23], v[10:11], v[18:19] op_sel:[0,1] op_sel_hi:[0,0] neg_lo:[0,1]
	s_waitcnt vmcnt(2)
	v_pk_mul_f32 v[34:35], v[10:11], v[20:21] op_sel:[0,1] op_sel_hi:[0,0] neg_lo:[0,1]
	;; [unrolled: 2-line block ×3, first 2 shown]
	v_pk_fma_f32 v[22:23], v[18:19], v[4:5], v[22:23] op_sel_hi:[1,0,1]
	v_pk_fma_f32 v[20:21], v[20:21], v[4:5], v[34:35] op_sel_hi:[1,0,1]
	;; [unrolled: 1-line block ×3, first 2 shown]
	global_store_dwordx2 v[26:27], v[22:23], off
	global_store_dwordx2 v[28:29], v[20:21], off
	;; [unrolled: 1-line block ×3, first 2 shown]
	s_and_saveexec_b64 s[4:5], s[0:1]
	s_cbranch_execz .LBB230_3
; %bb.19:                               ;   in Loop: Header=BB230_5 Depth=1
	v_add_u32_e32 v5, v56, v1
	v_add_u32_e32 v2, s28, v5
	v_lshl_add_u64 v[24:25], v[2:3], 3, s[8:9]
	v_add_u32_e32 v2, s29, v5
	global_load_dwordx2 v[26:27], v[24:25], off
	v_lshl_add_u64 v[28:29], v[2:3], 3, s[8:9]
	global_load_dwordx2 v[30:31], v[28:29], off
	v_xor_b32_e32 v32, 0x80000000, v6
	v_mov_b32_e32 v33, v16
	v_mov_b32_e32 v34, v7
	;; [unrolled: 1-line block ×3, first 2 shown]
	v_add_u32_e32 v2, s30, v5
	v_lshl_add_u64 v[36:37], v[2:3], 3, s[8:9]
	v_add_u32_e32 v2, s31, v5
	v_lshl_add_u64 v[38:39], v[2:3], 3, s[8:9]
	s_waitcnt vmcnt(1)
	v_pk_fma_f32 v[26:27], v[32:33], v[14:15], v[26:27] op_sel_hi:[1,0,1]
	s_nop 0
	v_pk_fma_f32 v[14:15], v[34:35], v[14:15], v[26:27] op_sel:[0,1,0]
	s_waitcnt vmcnt(0)
	v_pk_fma_f32 v[26:27], v[32:33], v[22:23], v[30:31] op_sel_hi:[1,0,1]
	global_store_dwordx2 v[24:25], v[14:15], off
	v_pk_fma_f32 v[14:15], v[34:35], v[22:23], v[26:27] op_sel:[0,1,0]
	global_store_dwordx2 v[28:29], v[14:15], off
	global_load_dwordx2 v[22:23], v[36:37], off
	s_nop 0
	global_load_dwordx2 v[14:15], v[38:39], off
	s_waitcnt vmcnt(1)
	v_pk_fma_f32 v[22:23], v[32:33], v[20:21], v[22:23] op_sel_hi:[1,0,1]
	s_nop 0
	v_pk_fma_f32 v[20:21], v[34:35], v[20:21], v[22:23] op_sel:[0,1,0]
	s_waitcnt vmcnt(0)
	v_pk_fma_f32 v[14:15], v[32:33], v[18:19], v[14:15] op_sel_hi:[1,0,1]
	global_store_dwordx2 v[36:37], v[20:21], off
	v_pk_fma_f32 v[14:15], v[34:35], v[18:19], v[14:15] op_sel:[0,1,0]
	global_store_dwordx2 v[38:39], v[14:15], off
	s_branch .LBB230_3
.LBB230_20:
	s_or_b64 exec, exec, s[18:19]
	s_branch .LBB230_22
.LBB230_21:
	v_mov_b32_e32 v1, 0
.LBB230_22:
	v_subrev_u32_e32 v1, s22, v1
	v_add_u32_e32 v2, v1, v0
	v_ashrrev_i32_e32 v3, 31, v2
	s_waitcnt lgkmcnt(0)
	v_lshl_add_u64 v[2:3], v[2:3], 2, s[6:7]
	buffer_wbl2 sc1
	s_waitcnt vmcnt(0)
	buffer_inv sc1
	global_load_dword v2, v[2:3], off
	s_waitcnt vmcnt(0)
	v_mul_lo_u32 v2, v2, s22
	v_sub_u32_e32 v1, v1, v2
	v_cmp_lt_i32_e32 vcc, -1, v1
	s_and_b64 exec, exec, vcc
	s_cbranch_execz .LBB230_29
; %bb.23:
	s_lshl_b32 s4, s24, 2
	s_add_i32 s5, s4, s23
	s_add_i32 s12, s5, s23
	;; [unrolled: 1-line block ×3, first 2 shown]
	s_lshl_b32 s14, s22, 1
	s_mov_b64 s[0:1], 0
	v_mov_b32_e32 v3, 0
	s_branch .LBB230_25
.LBB230_24:                             ;   in Loop: Header=BB230_25 Depth=1
	s_or_b64 exec, exec, s[2:3]
	v_sub_u32_e32 v1, v1, v2
	v_cmp_gt_i32_e32 vcc, 0, v1
	s_or_b64 s[0:1], vcc, s[0:1]
	s_andn2_b64 exec, exec, s[0:1]
	s_cbranch_execz .LBB230_29
.LBB230_25:                             ; =>This Inner Loop Header: Depth=1
	v_add_u32_e32 v4, v1, v0
	v_ashrrev_i32_e32 v5, 31, v4
	s_waitcnt vmcnt(0)
	v_lshl_add_u64 v[6:7], v[4:5], 2, s[6:7]
	global_load_dword v2, v[6:7], off
	v_lshl_add_u64 v[6:7], v[4:5], 3, s[10:11]
	global_load_dwordx2 v[6:7], v[6:7], off
	s_waitcnt vmcnt(1)
	v_cmp_ne_u32_e32 vcc, 1, v2
	s_and_saveexec_b64 s[2:3], vcc
	s_xor_b64 s[2:3], exec, s[2:3]
	s_cbranch_execz .LBB230_27
; %bb.26:                               ;   in Loop: Header=BB230_25 Depth=1
	v_add_u32_e32 v5, v56, v1
	v_add_u32_e32 v2, s4, v5
	v_lshl_add_u64 v[8:9], v[2:3], 3, s[8:9]
	v_add_u32_e32 v2, s5, v5
	v_lshl_add_u64 v[10:11], v[2:3], 3, s[8:9]
	;; [unrolled: 2-line block ×5, first 2 shown]
	global_load_dwordx2 v[8:9], v[8:9], off
	s_waitcnt vmcnt(1)
	v_pk_add_f32 v[20:21], v[6:7], 0 neg_lo:[1,1] neg_hi:[1,1]
	global_load_dwordx2 v[18:19], v[16:17], off
	v_xor_b32_e32 v23, 0x80000000, v7
	v_mov_b32_e32 v22, v20
	v_pk_mov_b32 v[6:7], v[6:7], v[20:21] op_sel:[1,0]
	global_load_dwordx2 v[20:21], v[10:11], off
	global_load_dwordx2 v[24:25], v[12:13], off
	;; [unrolled: 1-line block ×3, first 2 shown]
	v_add_u32_e32 v2, s5, v4
	v_lshl_add_u64 v[10:11], v[2:3], 3, s[8:9]
	v_add_u32_e32 v2, s12, v4
	v_lshl_add_u64 v[14:15], v[2:3], 3, s[8:9]
	;; [unrolled: 2-line block ×3, first 2 shown]
	v_subrev_u32_e32 v2, s22, v1
	s_waitcnt vmcnt(3)
	v_pk_fma_f32 v[12:13], v[22:23], v[8:9], v[18:19] op_sel_hi:[1,0,1]
	s_nop 0
	v_pk_fma_f32 v[12:13], v[6:7], v[8:9], v[12:13] op_sel:[0,1,0]
	global_store_dwordx2 v[16:17], v[12:13], off
	global_load_dwordx2 v[12:13], v[10:11], off
	s_waitcnt vmcnt(0)
	v_pk_fma_f32 v[12:13], v[22:23], v[20:21], v[12:13] op_sel_hi:[1,0,1]
	s_nop 0
	v_pk_fma_f32 v[12:13], v[6:7], v[20:21], v[12:13] op_sel:[0,1,0]
	global_store_dwordx2 v[10:11], v[12:13], off
	global_load_dwordx2 v[10:11], v[14:15], off
	v_add_u32_e32 v12, v2, v0
	v_ashrrev_i32_e32 v13, 31, v12
	v_add_u32_e32 v2, s4, v12
	v_lshl_add_u64 v[16:17], v[2:3], 3, s[8:9]
	v_add_u32_e32 v2, s5, v12
	s_waitcnt vmcnt(0)
	v_pk_fma_f32 v[10:11], v[22:23], v[24:25], v[10:11] op_sel_hi:[1,0,1]
	s_nop 0
	v_pk_fma_f32 v[10:11], v[6:7], v[24:25], v[10:11] op_sel:[0,1,0]
	global_store_dwordx2 v[14:15], v[10:11], off
	global_load_dwordx2 v[10:11], v[4:5], off
	v_lshl_add_u64 v[14:15], v[12:13], 3, s[10:11]
	global_load_dwordx2 v[14:15], v[14:15], off
	s_waitcnt vmcnt(1)
	v_pk_fma_f32 v[10:11], v[22:23], v[26:27], v[10:11] op_sel_hi:[1,0,1]
	s_nop 0
	v_pk_fma_f32 v[6:7], v[6:7], v[26:27], v[10:11] op_sel:[0,1,0]
	global_store_dwordx2 v[4:5], v[6:7], off
	global_load_dwordx2 v[4:5], v[16:17], off
	s_waitcnt vmcnt(2)
	v_pk_add_f32 v[10:11], v[14:15], 0 neg_lo:[1,1] neg_hi:[1,1]
	v_lshl_add_u64 v[6:7], v[2:3], 3, s[8:9]
	v_pk_mov_b32 v[10:11], v[14:15], v[10:11] op_sel:[1,0]
	v_add_u32_e32 v2, s12, v12
	s_waitcnt vmcnt(0)
	v_pk_fma_f32 v[4:5], v[14:15], v[8:9], v[4:5] op_sel_hi:[1,0,1] neg_lo:[1,0,0] neg_hi:[1,0,0]
	s_nop 0
	v_pk_fma_f32 v[4:5], v[10:11], v[8:9], v[4:5] op_sel:[0,1,0]
	global_store_dwordx2 v[16:17], v[4:5], off
	global_load_dwordx2 v[4:5], v[6:7], off
	v_lshl_add_u64 v[8:9], v[2:3], 3, s[8:9]
	v_add_u32_e32 v2, s13, v12
	s_waitcnt vmcnt(0)
	v_pk_fma_f32 v[4:5], v[14:15], v[20:21], v[4:5] op_sel_hi:[1,0,1] neg_lo:[1,0,0] neg_hi:[1,0,0]
	s_nop 0
	v_pk_fma_f32 v[4:5], v[10:11], v[20:21], v[4:5] op_sel:[0,1,0]
	global_store_dwordx2 v[6:7], v[4:5], off
	global_load_dwordx2 v[4:5], v[8:9], off
	v_lshl_add_u64 v[6:7], v[2:3], 3, s[8:9]
	s_waitcnt vmcnt(0)
	v_pk_fma_f32 v[4:5], v[14:15], v[24:25], v[4:5] op_sel_hi:[1,0,1] neg_lo:[1,0,0] neg_hi:[1,0,0]
	s_nop 0
	v_pk_fma_f32 v[4:5], v[10:11], v[24:25], v[4:5] op_sel:[0,1,0]
	global_store_dwordx2 v[8:9], v[4:5], off
	global_load_dwordx2 v[4:5], v[6:7], off
	s_waitcnt vmcnt(0)
	v_pk_fma_f32 v[4:5], v[14:15], v[26:27], v[4:5] op_sel_hi:[1,0,1] neg_lo:[1,0,0] neg_hi:[1,0,0]
	s_nop 0
	v_pk_fma_f32 v[4:5], v[10:11], v[26:27], v[4:5] op_sel:[0,1,0]
	global_store_dwordx2 v[6:7], v[4:5], off
                                        ; implicit-def: $vgpr4
                                        ; implicit-def: $vgpr6_vgpr7
.LBB230_27:                             ;   in Loop: Header=BB230_25 Depth=1
	s_or_saveexec_b64 s[2:3], s[2:3]
	v_mov_b32_e32 v2, s14
	s_xor_b64 exec, exec, s[2:3]
	s_cbranch_execz .LBB230_24
; %bb.28:                               ;   in Loop: Header=BB230_25 Depth=1
	v_add_u32_e32 v5, v56, v1
	v_add_u32_e32 v2, s4, v5
	v_lshl_add_u64 v[8:9], v[2:3], 3, s[8:9]
	v_add_u32_e32 v2, s4, v4
	v_lshl_add_u64 v[10:11], v[2:3], 3, s[8:9]
	global_load_dwordx2 v[12:13], v[8:9], off
	global_load_dwordx2 v[14:15], v[10:11], off
	s_waitcnt vmcnt(2)
	v_pk_add_f32 v[8:9], v[6:7], 0 neg_lo:[1,1] neg_hi:[1,1]
	v_xor_b32_e32 v17, 0x80000000, v7
	v_mov_b32_e32 v16, v8
	v_pk_mov_b32 v[8:9], v[6:7], v[8:9] op_sel:[1,0]
	v_add_u32_e32 v2, s5, v5
	v_lshl_add_u64 v[18:19], v[2:3], 3, s[8:9]
	v_add_u32_e32 v2, s5, v4
	v_lshl_add_u64 v[20:21], v[2:3], 3, s[8:9]
	v_add_u32_e32 v2, s12, v5
	s_waitcnt vmcnt(0)
	v_pk_fma_f32 v[14:15], v[16:17], v[12:13], v[14:15] op_sel_hi:[1,0,1]
	s_nop 0
	v_pk_fma_f32 v[12:13], v[8:9], v[12:13], v[14:15] op_sel:[0,1,0]
	global_store_dwordx2 v[10:11], v[12:13], off
	global_load_dwordx2 v[10:11], v[18:19], off
	s_nop 0
	global_load_dwordx2 v[12:13], v[20:21], off
	v_lshl_add_u64 v[14:15], v[2:3], 3, s[8:9]
	v_add_u32_e32 v2, s12, v4
	v_lshl_add_u64 v[18:19], v[2:3], 3, s[8:9]
	v_add_u32_e32 v2, s13, v5
	s_waitcnt vmcnt(0)
	v_pk_fma_f32 v[12:13], v[16:17], v[10:11], v[12:13] op_sel_hi:[1,0,1]
	s_nop 0
	v_pk_fma_f32 v[10:11], v[8:9], v[10:11], v[12:13] op_sel:[0,1,0]
	global_store_dwordx2 v[20:21], v[10:11], off
	global_load_dwordx2 v[10:11], v[14:15], off
	s_nop 0
	global_load_dwordx2 v[12:13], v[18:19], off
	v_lshl_add_u64 v[14:15], v[2:3], 3, s[8:9]
	v_add_u32_e32 v2, s13, v4
	v_lshl_add_u64 v[4:5], v[2:3], 3, s[8:9]
	v_mov_b32_e32 v2, s22
	s_waitcnt vmcnt(0)
	v_pk_fma_f32 v[12:13], v[16:17], v[10:11], v[12:13] op_sel_hi:[1,0,1]
	s_nop 0
	v_pk_fma_f32 v[10:11], v[8:9], v[10:11], v[12:13] op_sel:[0,1,0]
	global_store_dwordx2 v[18:19], v[10:11], off
	global_load_dwordx2 v[10:11], v[14:15], off
	s_nop 0
	global_load_dwordx2 v[12:13], v[4:5], off
	s_waitcnt vmcnt(0)
	v_pk_fma_f32 v[6:7], v[6:7], v[10:11], v[12:13] op_sel_hi:[1,0,1] neg_lo:[1,0,0] neg_hi:[1,0,0]
	s_nop 0
	v_pk_fma_f32 v[6:7], v[8:9], v[10:11], v[6:7] op_sel:[0,1,0]
	global_store_dwordx2 v[4:5], v[6:7], off
	s_branch .LBB230_24
.LBB230_29:
	s_endpgm
	.section	.rodata,"a",@progbits
	.p2align	6, 0x0
	.amdhsa_kernel _ZN9rocsparseL19gtsv_LBM_rhs_kernelILj256ELj32ELj4E21rocsparse_complex_numIfEEEviiiPKT2_S5_S5_PS3_S5_PKi
		.amdhsa_group_segment_fixed_size 0
		.amdhsa_private_segment_fixed_size 0
		.amdhsa_kernarg_size 64
		.amdhsa_user_sgpr_count 2
		.amdhsa_user_sgpr_dispatch_ptr 0
		.amdhsa_user_sgpr_queue_ptr 0
		.amdhsa_user_sgpr_kernarg_segment_ptr 1
		.amdhsa_user_sgpr_dispatch_id 0
		.amdhsa_user_sgpr_kernarg_preload_length 0
		.amdhsa_user_sgpr_kernarg_preload_offset 0
		.amdhsa_user_sgpr_private_segment_size 0
		.amdhsa_uses_dynamic_stack 0
		.amdhsa_enable_private_segment 0
		.amdhsa_system_sgpr_workgroup_id_x 1
		.amdhsa_system_sgpr_workgroup_id_y 1
		.amdhsa_system_sgpr_workgroup_id_z 0
		.amdhsa_system_sgpr_workgroup_info 0
		.amdhsa_system_vgpr_workitem_id 0
		.amdhsa_next_free_vgpr 76
		.amdhsa_next_free_sgpr 32
		.amdhsa_accum_offset 76
		.amdhsa_reserve_vcc 1
		.amdhsa_float_round_mode_32 0
		.amdhsa_float_round_mode_16_64 0
		.amdhsa_float_denorm_mode_32 3
		.amdhsa_float_denorm_mode_16_64 3
		.amdhsa_dx10_clamp 1
		.amdhsa_ieee_mode 1
		.amdhsa_fp16_overflow 0
		.amdhsa_tg_split 0
		.amdhsa_exception_fp_ieee_invalid_op 0
		.amdhsa_exception_fp_denorm_src 0
		.amdhsa_exception_fp_ieee_div_zero 0
		.amdhsa_exception_fp_ieee_overflow 0
		.amdhsa_exception_fp_ieee_underflow 0
		.amdhsa_exception_fp_ieee_inexact 0
		.amdhsa_exception_int_div_zero 0
	.end_amdhsa_kernel
	.section	.text._ZN9rocsparseL19gtsv_LBM_rhs_kernelILj256ELj32ELj4E21rocsparse_complex_numIfEEEviiiPKT2_S5_S5_PS3_S5_PKi,"axG",@progbits,_ZN9rocsparseL19gtsv_LBM_rhs_kernelILj256ELj32ELj4E21rocsparse_complex_numIfEEEviiiPKT2_S5_S5_PS3_S5_PKi,comdat
.Lfunc_end230:
	.size	_ZN9rocsparseL19gtsv_LBM_rhs_kernelILj256ELj32ELj4E21rocsparse_complex_numIfEEEviiiPKT2_S5_S5_PS3_S5_PKi, .Lfunc_end230-_ZN9rocsparseL19gtsv_LBM_rhs_kernelILj256ELj32ELj4E21rocsparse_complex_numIfEEEviiiPKT2_S5_S5_PS3_S5_PKi
                                        ; -- End function
	.set _ZN9rocsparseL19gtsv_LBM_rhs_kernelILj256ELj32ELj4E21rocsparse_complex_numIfEEEviiiPKT2_S5_S5_PS3_S5_PKi.num_vgpr, 76
	.set _ZN9rocsparseL19gtsv_LBM_rhs_kernelILj256ELj32ELj4E21rocsparse_complex_numIfEEEviiiPKT2_S5_S5_PS3_S5_PKi.num_agpr, 0
	.set _ZN9rocsparseL19gtsv_LBM_rhs_kernelILj256ELj32ELj4E21rocsparse_complex_numIfEEEviiiPKT2_S5_S5_PS3_S5_PKi.numbered_sgpr, 32
	.set _ZN9rocsparseL19gtsv_LBM_rhs_kernelILj256ELj32ELj4E21rocsparse_complex_numIfEEEviiiPKT2_S5_S5_PS3_S5_PKi.num_named_barrier, 0
	.set _ZN9rocsparseL19gtsv_LBM_rhs_kernelILj256ELj32ELj4E21rocsparse_complex_numIfEEEviiiPKT2_S5_S5_PS3_S5_PKi.private_seg_size, 0
	.set _ZN9rocsparseL19gtsv_LBM_rhs_kernelILj256ELj32ELj4E21rocsparse_complex_numIfEEEviiiPKT2_S5_S5_PS3_S5_PKi.uses_vcc, 1
	.set _ZN9rocsparseL19gtsv_LBM_rhs_kernelILj256ELj32ELj4E21rocsparse_complex_numIfEEEviiiPKT2_S5_S5_PS3_S5_PKi.uses_flat_scratch, 0
	.set _ZN9rocsparseL19gtsv_LBM_rhs_kernelILj256ELj32ELj4E21rocsparse_complex_numIfEEEviiiPKT2_S5_S5_PS3_S5_PKi.has_dyn_sized_stack, 0
	.set _ZN9rocsparseL19gtsv_LBM_rhs_kernelILj256ELj32ELj4E21rocsparse_complex_numIfEEEviiiPKT2_S5_S5_PS3_S5_PKi.has_recursion, 0
	.set _ZN9rocsparseL19gtsv_LBM_rhs_kernelILj256ELj32ELj4E21rocsparse_complex_numIfEEEviiiPKT2_S5_S5_PS3_S5_PKi.has_indirect_call, 0
	.section	.AMDGPU.csdata,"",@progbits
; Kernel info:
; codeLenInByte = 3788
; TotalNumSgprs: 38
; NumVgprs: 76
; NumAgprs: 0
; TotalNumVgprs: 76
; ScratchSize: 0
; MemoryBound: 0
; FloatMode: 240
; IeeeMode: 1
; LDSByteSize: 0 bytes/workgroup (compile time only)
; SGPRBlocks: 4
; VGPRBlocks: 9
; NumSGPRsForWavesPerEU: 38
; NumVGPRsForWavesPerEU: 76
; AccumOffset: 76
; Occupancy: 6
; WaveLimiterHint : 0
; COMPUTE_PGM_RSRC2:SCRATCH_EN: 0
; COMPUTE_PGM_RSRC2:USER_SGPR: 2
; COMPUTE_PGM_RSRC2:TRAP_HANDLER: 0
; COMPUTE_PGM_RSRC2:TGID_X_EN: 1
; COMPUTE_PGM_RSRC2:TGID_Y_EN: 1
; COMPUTE_PGM_RSRC2:TGID_Z_EN: 0
; COMPUTE_PGM_RSRC2:TIDIG_COMP_CNT: 0
; COMPUTE_PGM_RSRC3_GFX90A:ACCUM_OFFSET: 18
; COMPUTE_PGM_RSRC3_GFX90A:TG_SPLIT: 0
	.section	.text._ZN9rocsparseL19gtsv_LBM_rhs_kernelILj256ELj32ELj2E21rocsparse_complex_numIfEEEviiiPKT2_S5_S5_PS3_S5_PKi,"axG",@progbits,_ZN9rocsparseL19gtsv_LBM_rhs_kernelILj256ELj32ELj2E21rocsparse_complex_numIfEEEviiiPKT2_S5_S5_PS3_S5_PKi,comdat
	.globl	_ZN9rocsparseL19gtsv_LBM_rhs_kernelILj256ELj32ELj2E21rocsparse_complex_numIfEEEviiiPKT2_S5_S5_PS3_S5_PKi ; -- Begin function _ZN9rocsparseL19gtsv_LBM_rhs_kernelILj256ELj32ELj2E21rocsparse_complex_numIfEEEviiiPKT2_S5_S5_PS3_S5_PKi
	.p2align	8
	.type	_ZN9rocsparseL19gtsv_LBM_rhs_kernelILj256ELj32ELj2E21rocsparse_complex_numIfEEEviiiPKT2_S5_S5_PS3_S5_PKi,@function
_ZN9rocsparseL19gtsv_LBM_rhs_kernelILj256ELj32ELj2E21rocsparse_complex_numIfEEEviiiPKT2_S5_S5_PS3_S5_PKi: ; @_ZN9rocsparseL19gtsv_LBM_rhs_kernelILj256ELj32ELj2E21rocsparse_complex_numIfEEEviiiPKT2_S5_S5_PS3_S5_PKi
; %bb.0:
	s_load_dword s23, s[0:1], 0x0
	v_lshl_or_b32 v0, s2, 8, v0
	s_waitcnt lgkmcnt(0)
	s_lshr_b32 s22, s23, 5
	v_cmp_gt_i32_e32 vcc, s22, v0
	s_and_saveexec_b64 s[4:5], vcc
	s_cbranch_execz .LBB231_29
; %bb.1:
	s_load_dwordx4 s[8:11], s[0:1], 0x28
	s_load_dwordx2 s[6:7], s[0:1], 0x38
	s_cmp_lt_i32 s23, 1
	v_add_u32_e32 v25, s22, v0
	s_mul_i32 s24, s3, s23
	s_cbranch_scc1 .LBB231_21
; %bb.2:
	s_load_dwordx4 s[12:15], s[0:1], 0x10
	s_load_dwordx2 s[16:17], s[0:1], 0x20
	v_ashrrev_i32_e32 v1, 31, v0
	s_lshl_b32 s28, s24, 1
	s_mul_i32 s25, s22, 31
	s_waitcnt lgkmcnt(0)
	v_lshl_add_u64 v[2:3], v[0:1], 3, s[14:15]
	global_load_dwordx2 v[6:7], v[2:3], off
	s_mul_i32 s26, s22, 30
	s_lshl_b32 s27, s22, 1
	v_add_u32_e32 v42, s22, v25
	s_add_i32 s29, s28, s23
	v_mov_b32_e32 v3, 0
	s_mov_b64 s[18:19], 0
	v_mov_b32_e32 v1, 0
	s_branch .LBB231_5
.LBB231_3:                              ;   in Loop: Header=BB231_5 Depth=1
	s_or_b64 exec, exec, s[4:5]
	v_mov_b32_e32 v21, v4
	v_pk_mul_f32 v[14:15], v[8:9], v[20:21] op_sel:[1,0]
	s_nop 0
	v_pk_fma_f32 v[4:5], v[4:5], v[8:9], v[14:15] op_sel_hi:[1,0,1]
	s_nop 0
	v_xor_b32_e32 v8, 0x80000000, v5
	v_mov_b32_e32 v9, v4
	v_pk_mul_f32 v[8:9], v[12:13], v[8:9] op_sel_hi:[0,1]
	v_pk_fma_f32 v[4:5], v[4:5], v[6:7], v[8:9] op_sel_hi:[1,0,1]
	v_mov_b32_e32 v12, s22
	v_pk_add_f32 v[6:7], v[10:11], v[4:5] neg_lo:[0,1] neg_hi:[0,1]
.LBB231_4:                              ;   in Loop: Header=BB231_5 Depth=1
	s_or_b64 exec, exec, s[2:3]
	v_add_u32_e32 v1, v12, v1
	v_cmp_le_i32_e32 vcc, s23, v1
	s_or_b64 s[18:19], vcc, s[18:19]
	s_andn2_b64 exec, exec, s[18:19]
	s_cbranch_execz .LBB231_20
.LBB231_5:                              ; =>This Inner Loop Header: Depth=1
	v_add_u32_e32 v16, v1, v0
	v_ashrrev_i32_e32 v17, 31, v16
	v_lshl_add_u64 v[4:5], v[16:17], 3, s[16:17]
	global_load_dwordx2 v[8:9], v[4:5], off
	v_cmp_gt_u32_e64 s[0:1], s25, v1
	v_mov_b32_e32 v4, 0
	v_mov_b32_e32 v5, 0
	s_and_saveexec_b64 s[2:3], s[0:1]
	s_cbranch_execz .LBB231_7
; %bb.6:                                ;   in Loop: Header=BB231_5 Depth=1
	v_add_u32_e32 v4, v25, v1
	v_ashrrev_i32_e32 v5, 31, v4
	v_lshl_add_u64 v[4:5], v[4:5], 3, s[12:13]
	global_load_dwordx2 v[4:5], v[4:5], off
.LBB231_7:                              ;   in Loop: Header=BB231_5 Depth=1
	s_or_b64 exec, exec, s[2:3]
	v_mov_b32_e32 v12, 0
	v_mov_b32_e32 v10, 0
	;; [unrolled: 1-line block ×3, first 2 shown]
	s_and_saveexec_b64 s[2:3], s[0:1]
	s_cbranch_execz .LBB231_9
; %bb.8:                                ;   in Loop: Header=BB231_5 Depth=1
	v_add_u32_e32 v10, v25, v1
	v_ashrrev_i32_e32 v11, 31, v10
	v_lshl_add_u64 v[10:11], v[10:11], 3, s[14:15]
	global_load_dwordx2 v[10:11], v[10:11], off
.LBB231_9:                              ;   in Loop: Header=BB231_5 Depth=1
	s_or_b64 exec, exec, s[2:3]
	v_mov_b32_e32 v13, 0
	s_and_saveexec_b64 s[2:3], s[0:1]
	s_cbranch_execz .LBB231_11
; %bb.10:                               ;   in Loop: Header=BB231_5 Depth=1
	v_add_u32_e32 v12, v25, v1
	v_ashrrev_i32_e32 v13, 31, v12
	v_lshl_add_u64 v[12:13], v[12:13], 3, s[16:17]
	global_load_dwordx2 v[12:13], v[12:13], off
.LBB231_11:                             ;   in Loop: Header=BB231_5 Depth=1
	s_or_b64 exec, exec, s[2:3]
	v_cmp_gt_u32_e64 s[2:3], s26, v1
	v_mov_b32_e32 v14, 0
	v_mov_b32_e32 v15, 0
	s_and_saveexec_b64 s[4:5], s[2:3]
	s_cbranch_execz .LBB231_13
; %bb.12:                               ;   in Loop: Header=BB231_5 Depth=1
	v_add_u32_e32 v14, v42, v1
	v_ashrrev_i32_e32 v15, 31, v14
	v_lshl_add_u64 v[14:15], v[14:15], 3, s[12:13]
	global_load_dwordx2 v[14:15], v[14:15], off
.LBB231_13:                             ;   in Loop: Header=BB231_5 Depth=1
	s_or_b64 exec, exec, s[4:5]
	v_lshl_add_u64 v[18:19], v[16:17], 2, s[6:7]
	global_load_dword v17, v[18:19], off
	v_cmp_ne_u32_e32 vcc, s25, v1
	v_add_u32_e32 v2, s28, v16
	v_add_u32_e32 v16, s29, v16
	s_waitcnt vmcnt(1)
	v_xor_b32_e32 v20, 0x80000000, v5
	s_waitcnt vmcnt(0)
	v_cmp_ne_u32_e64 s[4:5], 1, v17
	s_and_b64 s[4:5], vcc, s[4:5]
	s_and_saveexec_b64 s[20:21], s[4:5]
	s_xor_b64 s[4:5], exec, s[20:21]
	s_cbranch_execz .LBB231_17
; %bb.14:                               ;   in Loop: Header=BB231_5 Depth=1
	v_mov_b32_e32 v17, v3
	v_lshl_add_u64 v[46:47], v[16:17], 3, s[8:9]
	v_add_u32_e32 v16, v25, v1
	v_lshl_add_u64 v[44:45], v[2:3], 3, s[8:9]
	v_add_u32_e32 v2, s28, v16
	global_load_dwordx2 v[28:29], v[44:45], off
	global_load_dwordx2 v[34:35], v[46:47], off
	v_lshl_add_u64 v[48:49], v[2:3], 3, s[8:9]
	v_add_u32_e32 v2, s29, v16
	v_lshl_add_u64 v[50:51], v[2:3], 3, s[8:9]
	global_load_dwordx2 v[36:37], v[48:49], off
	global_load_dwordx2 v[52:53], v[50:51], off
	v_xor_b32_e32 v16, 0x80000000, v7
	v_mov_b32_e32 v17, v6
	v_mov_b32_e32 v21, v4
	v_pk_mul_f32 v[26:27], v[10:11], v[16:17] op_sel:[1,0]
	v_pk_mul_f32 v[20:21], v[8:9], v[20:21] op_sel:[1,0]
	v_pk_fma_f32 v[26:27], v[6:7], v[10:11], v[26:27] op_sel_hi:[1,0,1]
	v_pk_fma_f32 v[20:21], v[4:5], v[8:9], v[20:21] op_sel_hi:[1,0,1]
	v_xor_b32_e32 v54, 0x80000000, v11
	v_pk_add_f32 v[20:21], v[26:27], v[20:21] neg_lo:[0,1] neg_hi:[0,1]
	v_xor_b32_e32 v56, 0x80000000, v9
	v_mul_f32_e32 v24, v21, v21
	v_fmac_f32_e32 v24, v20, v20
	v_div_scale_f32 v27, s[20:21], v24, v24, 1.0
	v_rcp_f32_e32 v30, v27
	v_fma_f32 v26, 0, v21, v20
	v_fma_f32 v21, v20, 0, -v21
	v_div_scale_f32 v20, vcc, 1.0, v24, 1.0
	v_fma_f32 v31, -v27, v30, 1.0
	v_fmac_f32_e32 v30, v31, v30
	v_mul_f32_e32 v31, v20, v30
	v_fma_f32 v32, -v27, v31, v20
	v_fmac_f32_e32 v31, v32, v30
	v_fma_f32 v20, -v27, v31, v20
	v_div_fmas_f32 v20, v20, v30, v31
	v_div_fixup_f32 v24, v20, v24, 1.0
	v_mul_f32_e32 v20, v26, v24
	v_mul_f32_e32 v24, v21, v24
	v_pk_add_f32 v[22:23], v[4:5], 0 neg_lo:[1,1] neg_hi:[1,1]
	v_mov_b32_e32 v55, v10
	v_mov_b32_e32 v57, v8
	v_pk_mov_b32 v[22:23], v[4:5], v[22:23] op_sel:[1,0]
	v_mov_b32_e32 v2, v3
	v_mov_b32_e32 v18, v6
	v_mov_b32_e32 v19, v6
	s_waitcnt vmcnt(3)
	v_mul_f32_e64 v26, v24, -v29
	v_mul_f32_e32 v30, v24, v28
	v_fmac_f32_e32 v26, v28, v20
	s_waitcnt vmcnt(2)
	v_mul_f32_e64 v28, v24, -v35
	v_mul_f32_e32 v32, v24, v34
	v_fmac_f32_e32 v28, v34, v20
	s_waitcnt vmcnt(1)
	v_mul_f32_e64 v34, v24, -v37
	v_mul_f32_e32 v38, v24, v36
	s_waitcnt vmcnt(0)
	v_mul_f32_e32 v40, v24, v52
	v_fmac_f32_e32 v30, v29, v20
	v_fmac_f32_e32 v32, v35, v20
	;; [unrolled: 1-line block ×4, first 2 shown]
	v_mul_f32_e64 v36, v24, -v53
	v_fmac_f32_e32 v40, v53, v20
	v_pk_mul_f32 v[58:59], v[30:31], v[54:55] op_sel_hi:[0,1]
	v_pk_mul_f32 v[54:55], v[32:33], v[54:55] op_sel_hi:[0,1]
	v_fmac_f32_e32 v36, v52, v20
	v_pk_mul_f32 v[52:53], v[38:39], v[56:57] op_sel_hi:[0,1]
	v_pk_mul_f32 v[56:57], v[40:41], v[56:57] op_sel_hi:[0,1]
	;; [unrolled: 1-line block ×3, first 2 shown]
	v_pk_fma_f32 v[58:59], v[10:11], v[26:27], v[58:59] op_sel_hi:[1,0,1]
	v_pk_mul_f32 v[62:63], v[22:23], v[32:33] op_sel_hi:[1,0]
	v_pk_fma_f32 v[10:11], v[10:11], v[28:29], v[54:55] op_sel_hi:[1,0,1]
	v_pk_mul_f32 v[54:55], v[38:39], v[16:17] op_sel_hi:[0,1]
	;; [unrolled: 2-line block ×3, first 2 shown]
	v_pk_fma_f32 v[8:9], v[8:9], v[36:37], v[56:57] op_sel_hi:[1,0,1]
	v_pk_fma_f32 v[60:61], v[4:5], v[26:27], v[60:61] op_sel_hi:[1,0,1] neg_lo:[1,0,0] neg_hi:[1,0,0]
	v_pk_fma_f32 v[62:63], v[4:5], v[28:29], v[62:63] op_sel_hi:[1,0,1] neg_lo:[1,0,0] neg_hi:[1,0,0]
	v_pk_fma_f32 v[54:55], v[6:7], v[34:35], v[54:55] op_sel_hi:[1,0,1]
	v_pk_add_f32 v[52:53], v[58:59], v[52:53] neg_lo:[0,1] neg_hi:[0,1]
	v_pk_fma_f32 v[56:57], v[6:7], v[36:37], v[64:65] op_sel_hi:[1,0,1]
	v_pk_add_f32 v[8:9], v[10:11], v[8:9] neg_lo:[0,1] neg_hi:[0,1]
	v_pk_add_f32 v[54:55], v[60:61], v[54:55]
	global_store_dwordx2 v[44:45], v[52:53], off
	v_pk_add_f32 v[10:11], v[62:63], v[56:57]
	global_store_dwordx2 v[46:47], v[8:9], off
	global_store_dwordx2 v[48:49], v[54:55], off
	;; [unrolled: 1-line block ×3, first 2 shown]
	v_mov_b64_e32 v[8:9], v[2:3]
	s_and_saveexec_b64 s[20:21], s[2:3]
	s_cbranch_execz .LBB231_16
; %bb.15:                               ;   in Loop: Header=BB231_5 Depth=1
	v_add_u32_e32 v8, v42, v1
	v_add_u32_e32 v2, s28, v8
	v_ashrrev_i32_e32 v9, 31, v8
	v_lshl_add_u64 v[10:11], v[2:3], 3, s[8:9]
	v_add_u32_e32 v2, s29, v8
	v_lshl_add_u64 v[8:9], v[8:9], 3, s[14:15]
	v_lshl_add_u64 v[44:45], v[2:3], 3, s[8:9]
	global_load_dwordx2 v[46:47], v[10:11], off
	global_load_dwordx2 v[48:49], v[44:45], off
	v_mov_b32_e32 v2, v15
	global_load_dwordx2 v[8:9], v[8:9], off
	v_xor_b32_e32 v50, 0x80000000, v15
	v_mov_b32_e32 v51, v14
	v_pk_mul_f32 v[22:23], v[2:3], v[22:23] op_sel_hi:[0,1]
	v_pk_mul_f32 v[16:17], v[2:3], v[16:17] op_sel_hi:[0,1]
	v_pk_mul_f32 v[50:51], v[6:7], v[50:51] op_sel:[1,0]
	v_pk_fma_f32 v[4:5], v[4:5], v[14:15], v[22:23] op_sel_hi:[1,0,1] neg_lo:[1,0,0] neg_hi:[1,0,0]
	v_pk_fma_f32 v[6:7], v[6:7], v[14:15], v[16:17] op_sel_hi:[1,0,1]
	v_pk_fma_f32 v[14:15], v[14:15], v[18:19], v[50:51]
	v_mov_b32_e32 v52, v13
	v_pk_add_f32 v[16:17], v[4:5], 0 neg_lo:[1,1] neg_hi:[1,1]
	v_xor_b32_e32 v22, 0x80000000, v15
	v_mov_b32_e32 v23, v14
	v_mov_b32_e32 v31, v30
	;; [unrolled: 1-line block ×5, first 2 shown]
	v_xor_b32_e32 v18, 0x80000000, v7
	v_mov_b32_e32 v19, v6
	v_pk_mov_b32 v[16:17], v[4:5], v[16:17] op_sel:[1,0]
	v_pk_mul_f32 v[22:23], v[52:53], v[22:23] op_sel_hi:[0,1]
	v_mov_b32_e32 v27, v26
	v_mov_b32_e32 v35, v34
	;; [unrolled: 1-line block ×4, first 2 shown]
	v_pk_mul_f32 v[38:39], v[38:39], v[18:19]
	v_pk_mul_f32 v[18:19], v[40:41], v[18:19]
	;; [unrolled: 1-line block ×4, first 2 shown]
	v_pk_fma_f32 v[12:13], v[14:15], v[12:13], v[22:23] op_sel_hi:[1,0,1]
	v_pk_fma_f32 v[34:35], v[6:7], v[34:35], v[38:39]
	v_pk_fma_f32 v[6:7], v[6:7], v[36:37], v[18:19]
	v_pk_fma_f32 v[14:15], v[4:5], v[26:27], v[30:31] neg_lo:[1,0,0] neg_hi:[1,0,0]
	v_pk_fma_f32 v[4:5], v[4:5], v[28:29], v[16:17] neg_lo:[1,0,0] neg_hi:[1,0,0]
	v_xor_b32_e32 v16, 0x80000000, v13
	v_mov_b32_e32 v17, v12
	v_pk_add_f32 v[4:5], v[4:5], v[6:7] neg_lo:[0,1] neg_hi:[0,1]
	v_pk_mul_f32 v[6:7], v[24:25], v[16:17] op_sel_hi:[0,1]
	v_pk_add_f32 v[14:15], v[14:15], v[34:35] neg_lo:[0,1] neg_hi:[0,1]
	v_pk_fma_f32 v[6:7], v[12:13], v[20:21], v[6:7] op_sel_hi:[1,0,1]
	s_waitcnt vmcnt(2)
	v_pk_add_f32 v[12:13], v[14:15], v[46:47]
	s_waitcnt vmcnt(1)
	v_pk_add_f32 v[4:5], v[4:5], v[48:49]
	global_store_dwordx2 v[10:11], v[12:13], off
	s_waitcnt vmcnt(1)
	v_pk_add_f32 v[8:9], v[8:9], v[6:7] neg_lo:[0,1] neg_hi:[0,1]
	global_store_dwordx2 v[44:45], v[4:5], off
.LBB231_16:                             ;   in Loop: Header=BB231_5 Depth=1
	s_or_b64 exec, exec, s[20:21]
	v_mov_b64_e32 v[6:7], v[8:9]
                                        ; implicit-def: $vgpr8_vgpr9
                                        ; implicit-def: $vgpr4
                                        ; implicit-def: $vgpr10_vgpr11
                                        ; implicit-def: $vgpr16
                                        ; implicit-def: $vgpr20
.LBB231_17:                             ;   in Loop: Header=BB231_5 Depth=1
	s_or_saveexec_b64 s[2:3], s[4:5]
	v_mov_b32_e32 v12, s27
	s_xor_b64 exec, exec, s[2:3]
	s_cbranch_execz .LBB231_4
; %bb.18:                               ;   in Loop: Header=BB231_5 Depth=1
	v_lshl_add_u64 v[18:19], v[2:3], 3, s[8:9]
	v_mov_b32_e32 v17, v3
	global_load_dwordx2 v[14:15], v[18:19], off
	v_lshl_add_u64 v[22:23], v[16:17], 3, s[8:9]
	global_load_dwordx2 v[16:17], v[22:23], off
	v_mul_f32_e32 v2, v7, v7
	v_fmac_f32_e32 v2, v6, v6
	v_div_scale_f32 v13, s[4:5], v2, v2, 1.0
	v_rcp_f32_e32 v21, v13
	v_fma_f32 v12, 0, v7, v6
	v_fma_f32 v7, v6, 0, -v7
	v_div_scale_f32 v6, vcc, 1.0, v2, 1.0
	v_fma_f32 v24, -v13, v21, 1.0
	v_fmac_f32_e32 v21, v24, v21
	v_mul_f32_e32 v24, v6, v21
	v_fma_f32 v26, -v13, v24, v6
	v_fmac_f32_e32 v24, v26, v21
	v_fma_f32 v6, -v13, v24, v6
	v_div_fmas_f32 v6, v6, v21, v24
	v_div_fixup_f32 v2, v6, v2, 1.0
	v_mul_f32_e32 v6, v12, v2
	v_mul_f32_e32 v12, v7, v2
	s_waitcnt vmcnt(1)
	v_pk_mul_f32 v[26:27], v[12:13], v[14:15] op_sel:[0,1] op_sel_hi:[0,0] neg_lo:[0,1]
	v_pk_fma_f32 v[14:15], v[14:15], v[6:7], v[26:27] op_sel_hi:[1,0,1]
	s_waitcnt vmcnt(0)
	v_pk_mul_f32 v[26:27], v[12:13], v[16:17] op_sel:[0,1] op_sel_hi:[0,0] neg_lo:[0,1]
	v_pk_fma_f32 v[16:17], v[16:17], v[6:7], v[26:27] op_sel_hi:[1,0,1]
	global_store_dwordx2 v[18:19], v[14:15], off
	global_store_dwordx2 v[22:23], v[16:17], off
	s_and_saveexec_b64 s[4:5], s[0:1]
	s_cbranch_execz .LBB231_3
; %bb.19:                               ;   in Loop: Header=BB231_5 Depth=1
	v_add_u32_e32 v7, v25, v1
	v_add_u32_e32 v2, s28, v7
	v_lshl_add_u64 v[18:19], v[2:3], 3, s[8:9]
	v_add_u32_e32 v2, s29, v7
	global_load_dwordx2 v[22:23], v[18:19], off
	v_lshl_add_u64 v[26:27], v[2:3], 3, s[8:9]
	global_load_dwordx2 v[28:29], v[26:27], off
	v_xor_b32_e32 v30, 0x80000000, v4
	v_mov_b32_e32 v31, v20
	v_mov_b32_e32 v32, v5
	v_mov_b32_e32 v33, v30
	s_waitcnt vmcnt(1)
	v_pk_fma_f32 v[22:23], v[30:31], v[14:15], v[22:23] op_sel_hi:[1,0,1]
	s_nop 0
	v_pk_fma_f32 v[14:15], v[32:33], v[14:15], v[22:23] op_sel:[0,1,0]
	s_waitcnt vmcnt(0)
	v_pk_fma_f32 v[22:23], v[30:31], v[16:17], v[28:29] op_sel_hi:[1,0,1]
	global_store_dwordx2 v[18:19], v[14:15], off
	v_pk_fma_f32 v[14:15], v[32:33], v[16:17], v[22:23] op_sel:[0,1,0]
	global_store_dwordx2 v[26:27], v[14:15], off
	s_branch .LBB231_3
.LBB231_20:
	s_or_b64 exec, exec, s[18:19]
	s_branch .LBB231_22
.LBB231_21:
	v_mov_b32_e32 v1, 0
.LBB231_22:
	v_subrev_u32_e32 v1, s22, v1
	v_add_u32_e32 v2, v1, v0
	v_ashrrev_i32_e32 v3, 31, v2
	s_waitcnt lgkmcnt(0)
	v_lshl_add_u64 v[2:3], v[2:3], 2, s[6:7]
	buffer_wbl2 sc1
	s_waitcnt vmcnt(0)
	buffer_inv sc1
	global_load_dword v2, v[2:3], off
	s_waitcnt vmcnt(0)
	v_mul_lo_u32 v2, v2, s22
	v_sub_u32_e32 v1, v1, v2
	v_cmp_lt_i32_e32 vcc, -1, v1
	s_and_b64 exec, exec, vcc
	s_cbranch_execz .LBB231_29
; %bb.23:
	s_lshl_b32 s4, s24, 1
	s_add_i32 s5, s4, s23
	s_lshl_b32 s12, s22, 1
	s_mov_b64 s[0:1], 0
	v_mov_b32_e32 v3, 0
	s_branch .LBB231_25
.LBB231_24:                             ;   in Loop: Header=BB231_25 Depth=1
	s_or_b64 exec, exec, s[2:3]
	v_sub_u32_e32 v1, v1, v2
	v_cmp_gt_i32_e32 vcc, 0, v1
	s_or_b64 s[0:1], vcc, s[0:1]
	s_andn2_b64 exec, exec, s[0:1]
	s_cbranch_execz .LBB231_29
.LBB231_25:                             ; =>This Inner Loop Header: Depth=1
	v_add_u32_e32 v4, v1, v0
	v_ashrrev_i32_e32 v5, 31, v4
	s_waitcnt vmcnt(0)
	v_lshl_add_u64 v[6:7], v[4:5], 2, s[6:7]
	global_load_dword v2, v[6:7], off
	v_lshl_add_u64 v[6:7], v[4:5], 3, s[10:11]
	global_load_dwordx2 v[6:7], v[6:7], off
	s_waitcnt vmcnt(1)
	v_cmp_ne_u32_e32 vcc, 1, v2
	s_and_saveexec_b64 s[2:3], vcc
	s_xor_b64 s[2:3], exec, s[2:3]
	s_cbranch_execz .LBB231_27
; %bb.26:                               ;   in Loop: Header=BB231_25 Depth=1
	v_add_u32_e32 v5, v25, v1
	v_add_u32_e32 v2, s4, v5
	v_lshl_add_u64 v[8:9], v[2:3], 3, s[8:9]
	v_add_u32_e32 v2, s5, v5
	v_lshl_add_u64 v[10:11], v[2:3], 3, s[8:9]
	;; [unrolled: 2-line block ×3, first 2 shown]
	global_load_dwordx2 v[14:15], v[8:9], off
	global_load_dwordx2 v[16:17], v[12:13], off
	;; [unrolled: 1-line block ×3, first 2 shown]
	s_waitcnt vmcnt(3)
	v_pk_add_f32 v[8:9], v[6:7], 0 neg_lo:[1,1] neg_hi:[1,1]
	v_xor_b32_e32 v11, 0x80000000, v7
	v_mov_b32_e32 v10, v8
	v_pk_mov_b32 v[6:7], v[6:7], v[8:9] op_sel:[1,0]
	v_add_u32_e32 v2, s5, v4
	v_lshl_add_u64 v[4:5], v[2:3], 3, s[8:9]
	v_subrev_u32_e32 v2, s22, v1
	s_waitcnt vmcnt(1)
	v_pk_fma_f32 v[8:9], v[10:11], v[14:15], v[16:17] op_sel_hi:[1,0,1]
	s_nop 0
	v_pk_fma_f32 v[8:9], v[6:7], v[14:15], v[8:9] op_sel:[0,1,0]
	global_store_dwordx2 v[12:13], v[8:9], off
	global_load_dwordx2 v[8:9], v[4:5], off
	v_add_u32_e32 v12, v2, v0
	v_ashrrev_i32_e32 v13, 31, v12
	v_lshl_add_u64 v[16:17], v[12:13], 3, s[10:11]
	v_add_u32_e32 v2, s4, v12
	global_load_dwordx2 v[16:17], v[16:17], off
	v_lshl_add_u64 v[20:21], v[2:3], 3, s[8:9]
	v_add_u32_e32 v2, s5, v12
	s_waitcnt vmcnt(1)
	v_pk_fma_f32 v[8:9], v[10:11], v[18:19], v[8:9] op_sel_hi:[1,0,1]
	s_nop 0
	v_pk_fma_f32 v[6:7], v[6:7], v[18:19], v[8:9] op_sel:[0,1,0]
	global_store_dwordx2 v[4:5], v[6:7], off
	global_load_dwordx2 v[4:5], v[20:21], off
	v_lshl_add_u64 v[6:7], v[2:3], 3, s[8:9]
	s_waitcnt vmcnt(2)
	v_pk_add_f32 v[8:9], v[16:17], 0 neg_lo:[1,1] neg_hi:[1,1]
	s_waitcnt vmcnt(0)
	v_pk_fma_f32 v[4:5], v[16:17], v[14:15], v[4:5] op_sel_hi:[1,0,1] neg_lo:[1,0,0] neg_hi:[1,0,0]
	v_pk_mov_b32 v[8:9], v[16:17], v[8:9] op_sel:[1,0]
	s_nop 0
	v_pk_fma_f32 v[4:5], v[8:9], v[14:15], v[4:5] op_sel:[0,1,0]
	global_store_dwordx2 v[20:21], v[4:5], off
	global_load_dwordx2 v[4:5], v[6:7], off
	s_waitcnt vmcnt(0)
	v_pk_fma_f32 v[4:5], v[16:17], v[18:19], v[4:5] op_sel_hi:[1,0,1] neg_lo:[1,0,0] neg_hi:[1,0,0]
	s_nop 0
	v_pk_fma_f32 v[4:5], v[8:9], v[18:19], v[4:5] op_sel:[0,1,0]
	global_store_dwordx2 v[6:7], v[4:5], off
                                        ; implicit-def: $vgpr4
                                        ; implicit-def: $vgpr6_vgpr7
.LBB231_27:                             ;   in Loop: Header=BB231_25 Depth=1
	s_or_saveexec_b64 s[2:3], s[2:3]
	v_mov_b32_e32 v2, s12
	s_xor_b64 exec, exec, s[2:3]
	s_cbranch_execz .LBB231_24
; %bb.28:                               ;   in Loop: Header=BB231_25 Depth=1
	v_add_u32_e32 v5, v25, v1
	v_add_u32_e32 v2, s4, v5
	v_lshl_add_u64 v[8:9], v[2:3], 3, s[8:9]
	v_add_u32_e32 v2, s4, v4
	v_lshl_add_u64 v[10:11], v[2:3], 3, s[8:9]
	global_load_dwordx2 v[12:13], v[8:9], off
	global_load_dwordx2 v[14:15], v[10:11], off
	s_waitcnt vmcnt(2)
	v_pk_add_f32 v[8:9], v[6:7], 0 neg_lo:[1,1] neg_hi:[1,1]
	v_xor_b32_e32 v17, 0x80000000, v7
	v_mov_b32_e32 v16, v8
	v_pk_mov_b32 v[8:9], v[6:7], v[8:9] op_sel:[1,0]
	v_add_u32_e32 v2, s5, v5
	v_lshl_add_u64 v[18:19], v[2:3], 3, s[8:9]
	v_add_u32_e32 v2, s5, v4
	v_lshl_add_u64 v[4:5], v[2:3], 3, s[8:9]
	v_mov_b32_e32 v2, s22
	s_waitcnt vmcnt(0)
	v_pk_fma_f32 v[14:15], v[16:17], v[12:13], v[14:15] op_sel_hi:[1,0,1]
	s_nop 0
	v_pk_fma_f32 v[12:13], v[8:9], v[12:13], v[14:15] op_sel:[0,1,0]
	global_store_dwordx2 v[10:11], v[12:13], off
	global_load_dwordx2 v[10:11], v[18:19], off
	s_nop 0
	global_load_dwordx2 v[12:13], v[4:5], off
	s_waitcnt vmcnt(0)
	v_pk_fma_f32 v[6:7], v[6:7], v[10:11], v[12:13] op_sel_hi:[1,0,1] neg_lo:[1,0,0] neg_hi:[1,0,0]
	s_nop 0
	v_pk_fma_f32 v[6:7], v[8:9], v[10:11], v[6:7] op_sel:[0,1,0]
	global_store_dwordx2 v[4:5], v[6:7], off
	s_branch .LBB231_24
.LBB231_29:
	s_endpgm
	.section	.rodata,"a",@progbits
	.p2align	6, 0x0
	.amdhsa_kernel _ZN9rocsparseL19gtsv_LBM_rhs_kernelILj256ELj32ELj2E21rocsparse_complex_numIfEEEviiiPKT2_S5_S5_PS3_S5_PKi
		.amdhsa_group_segment_fixed_size 0
		.amdhsa_private_segment_fixed_size 0
		.amdhsa_kernarg_size 64
		.amdhsa_user_sgpr_count 2
		.amdhsa_user_sgpr_dispatch_ptr 0
		.amdhsa_user_sgpr_queue_ptr 0
		.amdhsa_user_sgpr_kernarg_segment_ptr 1
		.amdhsa_user_sgpr_dispatch_id 0
		.amdhsa_user_sgpr_kernarg_preload_length 0
		.amdhsa_user_sgpr_kernarg_preload_offset 0
		.amdhsa_user_sgpr_private_segment_size 0
		.amdhsa_uses_dynamic_stack 0
		.amdhsa_enable_private_segment 0
		.amdhsa_system_sgpr_workgroup_id_x 1
		.amdhsa_system_sgpr_workgroup_id_y 1
		.amdhsa_system_sgpr_workgroup_id_z 0
		.amdhsa_system_sgpr_workgroup_info 0
		.amdhsa_system_vgpr_workitem_id 0
		.amdhsa_next_free_vgpr 66
		.amdhsa_next_free_sgpr 30
		.amdhsa_accum_offset 68
		.amdhsa_reserve_vcc 1
		.amdhsa_float_round_mode_32 0
		.amdhsa_float_round_mode_16_64 0
		.amdhsa_float_denorm_mode_32 3
		.amdhsa_float_denorm_mode_16_64 3
		.amdhsa_dx10_clamp 1
		.amdhsa_ieee_mode 1
		.amdhsa_fp16_overflow 0
		.amdhsa_tg_split 0
		.amdhsa_exception_fp_ieee_invalid_op 0
		.amdhsa_exception_fp_denorm_src 0
		.amdhsa_exception_fp_ieee_div_zero 0
		.amdhsa_exception_fp_ieee_overflow 0
		.amdhsa_exception_fp_ieee_underflow 0
		.amdhsa_exception_fp_ieee_inexact 0
		.amdhsa_exception_int_div_zero 0
	.end_amdhsa_kernel
	.section	.text._ZN9rocsparseL19gtsv_LBM_rhs_kernelILj256ELj32ELj2E21rocsparse_complex_numIfEEEviiiPKT2_S5_S5_PS3_S5_PKi,"axG",@progbits,_ZN9rocsparseL19gtsv_LBM_rhs_kernelILj256ELj32ELj2E21rocsparse_complex_numIfEEEviiiPKT2_S5_S5_PS3_S5_PKi,comdat
.Lfunc_end231:
	.size	_ZN9rocsparseL19gtsv_LBM_rhs_kernelILj256ELj32ELj2E21rocsparse_complex_numIfEEEviiiPKT2_S5_S5_PS3_S5_PKi, .Lfunc_end231-_ZN9rocsparseL19gtsv_LBM_rhs_kernelILj256ELj32ELj2E21rocsparse_complex_numIfEEEviiiPKT2_S5_S5_PS3_S5_PKi
                                        ; -- End function
	.set _ZN9rocsparseL19gtsv_LBM_rhs_kernelILj256ELj32ELj2E21rocsparse_complex_numIfEEEviiiPKT2_S5_S5_PS3_S5_PKi.num_vgpr, 66
	.set _ZN9rocsparseL19gtsv_LBM_rhs_kernelILj256ELj32ELj2E21rocsparse_complex_numIfEEEviiiPKT2_S5_S5_PS3_S5_PKi.num_agpr, 0
	.set _ZN9rocsparseL19gtsv_LBM_rhs_kernelILj256ELj32ELj2E21rocsparse_complex_numIfEEEviiiPKT2_S5_S5_PS3_S5_PKi.numbered_sgpr, 30
	.set _ZN9rocsparseL19gtsv_LBM_rhs_kernelILj256ELj32ELj2E21rocsparse_complex_numIfEEEviiiPKT2_S5_S5_PS3_S5_PKi.num_named_barrier, 0
	.set _ZN9rocsparseL19gtsv_LBM_rhs_kernelILj256ELj32ELj2E21rocsparse_complex_numIfEEEviiiPKT2_S5_S5_PS3_S5_PKi.private_seg_size, 0
	.set _ZN9rocsparseL19gtsv_LBM_rhs_kernelILj256ELj32ELj2E21rocsparse_complex_numIfEEEviiiPKT2_S5_S5_PS3_S5_PKi.uses_vcc, 1
	.set _ZN9rocsparseL19gtsv_LBM_rhs_kernelILj256ELj32ELj2E21rocsparse_complex_numIfEEEviiiPKT2_S5_S5_PS3_S5_PKi.uses_flat_scratch, 0
	.set _ZN9rocsparseL19gtsv_LBM_rhs_kernelILj256ELj32ELj2E21rocsparse_complex_numIfEEEviiiPKT2_S5_S5_PS3_S5_PKi.has_dyn_sized_stack, 0
	.set _ZN9rocsparseL19gtsv_LBM_rhs_kernelILj256ELj32ELj2E21rocsparse_complex_numIfEEEviiiPKT2_S5_S5_PS3_S5_PKi.has_recursion, 0
	.set _ZN9rocsparseL19gtsv_LBM_rhs_kernelILj256ELj32ELj2E21rocsparse_complex_numIfEEEviiiPKT2_S5_S5_PS3_S5_PKi.has_indirect_call, 0
	.section	.AMDGPU.csdata,"",@progbits
; Kernel info:
; codeLenInByte = 2604
; TotalNumSgprs: 36
; NumVgprs: 66
; NumAgprs: 0
; TotalNumVgprs: 66
; ScratchSize: 0
; MemoryBound: 0
; FloatMode: 240
; IeeeMode: 1
; LDSByteSize: 0 bytes/workgroup (compile time only)
; SGPRBlocks: 4
; VGPRBlocks: 8
; NumSGPRsForWavesPerEU: 36
; NumVGPRsForWavesPerEU: 66
; AccumOffset: 68
; Occupancy: 7
; WaveLimiterHint : 0
; COMPUTE_PGM_RSRC2:SCRATCH_EN: 0
; COMPUTE_PGM_RSRC2:USER_SGPR: 2
; COMPUTE_PGM_RSRC2:TRAP_HANDLER: 0
; COMPUTE_PGM_RSRC2:TGID_X_EN: 1
; COMPUTE_PGM_RSRC2:TGID_Y_EN: 1
; COMPUTE_PGM_RSRC2:TGID_Z_EN: 0
; COMPUTE_PGM_RSRC2:TIDIG_COMP_CNT: 0
; COMPUTE_PGM_RSRC3_GFX90A:ACCUM_OFFSET: 16
; COMPUTE_PGM_RSRC3_GFX90A:TG_SPLIT: 0
	.section	.text._ZN9rocsparseL19gtsv_LBM_rhs_kernelILj256ELj32ELj1E21rocsparse_complex_numIfEEEviiiPKT2_S5_S5_PS3_S5_PKi,"axG",@progbits,_ZN9rocsparseL19gtsv_LBM_rhs_kernelILj256ELj32ELj1E21rocsparse_complex_numIfEEEviiiPKT2_S5_S5_PS3_S5_PKi,comdat
	.globl	_ZN9rocsparseL19gtsv_LBM_rhs_kernelILj256ELj32ELj1E21rocsparse_complex_numIfEEEviiiPKT2_S5_S5_PS3_S5_PKi ; -- Begin function _ZN9rocsparseL19gtsv_LBM_rhs_kernelILj256ELj32ELj1E21rocsparse_complex_numIfEEEviiiPKT2_S5_S5_PS3_S5_PKi
	.p2align	8
	.type	_ZN9rocsparseL19gtsv_LBM_rhs_kernelILj256ELj32ELj1E21rocsparse_complex_numIfEEEviiiPKT2_S5_S5_PS3_S5_PKi,@function
_ZN9rocsparseL19gtsv_LBM_rhs_kernelILj256ELj32ELj1E21rocsparse_complex_numIfEEEviiiPKT2_S5_S5_PS3_S5_PKi: ; @_ZN9rocsparseL19gtsv_LBM_rhs_kernelILj256ELj32ELj1E21rocsparse_complex_numIfEEEviiiPKT2_S5_S5_PS3_S5_PKi
; %bb.0:
	s_load_dword s24, s[0:1], 0x0
	v_lshl_or_b32 v0, s2, 8, v0
	s_waitcnt lgkmcnt(0)
	s_lshr_b32 s22, s24, 5
	v_cmp_gt_i32_e32 vcc, s22, v0
	s_and_saveexec_b64 s[4:5], vcc
	s_cbranch_execz .LBB232_29
; %bb.1:
	s_load_dwordx4 s[8:11], s[0:1], 0x28
	s_load_dwordx2 s[6:7], s[0:1], 0x38
	s_cmp_lt_i32 s24, 1
	s_mul_i32 s23, s24, s3
	s_cbranch_scc1 .LBB232_21
; %bb.2:
	s_load_dwordx4 s[12:15], s[0:1], 0x10
	s_load_dwordx2 s[16:17], s[0:1], 0x20
	v_ashrrev_i32_e32 v1, 31, v0
	v_add_u32_e32 v25, s22, v0
	s_mul_i32 s25, s22, 31
	s_waitcnt lgkmcnt(0)
	v_lshl_add_u64 v[2:3], v[0:1], 3, s[14:15]
	global_load_dwordx2 v[4:5], v[2:3], off
	s_mul_i32 s26, s22, 30
	s_lshl_b32 s27, s22, 1
	v_add_u32_e32 v34, s22, v25
	v_add_u32_e32 v35, s23, v25
	v_mov_b32_e32 v3, 0
	s_mov_b64 s[18:19], 0
	v_mov_b32_e32 v1, 0
	s_branch .LBB232_5
.LBB232_3:                              ;   in Loop: Header=BB232_5 Depth=1
	s_or_b64 exec, exec, s[4:5]
	v_mov_b32_e32 v17, v6
	v_pk_mul_f32 v[14:15], v[8:9], v[16:17] op_sel:[1,0]
	s_nop 0
	v_pk_fma_f32 v[6:7], v[6:7], v[8:9], v[14:15] op_sel_hi:[1,0,1]
	s_nop 0
	v_xor_b32_e32 v8, 0x80000000, v7
	v_mov_b32_e32 v9, v6
	v_pk_mul_f32 v[4:5], v[4:5], v[8:9] op_sel_hi:[0,1]
	v_pk_fma_f32 v[4:5], v[6:7], v[12:13], v[4:5] op_sel_hi:[1,0,1]
	v_mov_b32_e32 v12, s22
	v_pk_add_f32 v[4:5], v[10:11], v[4:5] neg_lo:[0,1] neg_hi:[0,1]
.LBB232_4:                              ;   in Loop: Header=BB232_5 Depth=1
	s_or_b64 exec, exec, s[2:3]
	v_add_u32_e32 v1, v12, v1
	v_cmp_le_i32_e32 vcc, s24, v1
	s_or_b64 s[18:19], vcc, s[18:19]
	s_andn2_b64 exec, exec, s[18:19]
	s_cbranch_execz .LBB232_20
.LBB232_5:                              ; =>This Inner Loop Header: Depth=1
	v_add_u32_e32 v16, v1, v0
	v_ashrrev_i32_e32 v17, 31, v16
	v_lshl_add_u64 v[6:7], v[16:17], 3, s[16:17]
	global_load_dwordx2 v[8:9], v[6:7], off
	v_cmp_gt_u32_e64 s[0:1], s25, v1
	v_add_u32_e32 v14, v25, v1
	v_mov_b32_e32 v6, 0
	v_mov_b32_e32 v7, 0
	s_and_saveexec_b64 s[2:3], s[0:1]
	s_cbranch_execz .LBB232_7
; %bb.6:                                ;   in Loop: Header=BB232_5 Depth=1
	v_ashrrev_i32_e32 v15, 31, v14
	v_lshl_add_u64 v[6:7], v[14:15], 3, s[12:13]
	global_load_dwordx2 v[6:7], v[6:7], off
.LBB232_7:                              ;   in Loop: Header=BB232_5 Depth=1
	s_or_b64 exec, exec, s[2:3]
	v_mov_b32_e32 v12, 0
	v_mov_b32_e32 v10, 0
	;; [unrolled: 1-line block ×3, first 2 shown]
	s_and_saveexec_b64 s[2:3], s[0:1]
	s_cbranch_execz .LBB232_9
; %bb.8:                                ;   in Loop: Header=BB232_5 Depth=1
	v_ashrrev_i32_e32 v15, 31, v14
	v_lshl_add_u64 v[10:11], v[14:15], 3, s[14:15]
	global_load_dwordx2 v[10:11], v[10:11], off
.LBB232_9:                              ;   in Loop: Header=BB232_5 Depth=1
	s_or_b64 exec, exec, s[2:3]
	v_mov_b32_e32 v13, 0
	s_and_saveexec_b64 s[2:3], s[0:1]
	s_cbranch_execz .LBB232_11
; %bb.10:                               ;   in Loop: Header=BB232_5 Depth=1
	v_ashrrev_i32_e32 v15, 31, v14
	v_lshl_add_u64 v[12:13], v[14:15], 3, s[16:17]
	global_load_dwordx2 v[12:13], v[12:13], off
.LBB232_11:                             ;   in Loop: Header=BB232_5 Depth=1
	s_or_b64 exec, exec, s[2:3]
	v_cmp_gt_u32_e64 s[2:3], s26, v1
	v_mov_b32_e32 v14, 0
	v_mov_b32_e32 v15, 0
	s_and_saveexec_b64 s[4:5], s[2:3]
	s_cbranch_execz .LBB232_13
; %bb.12:                               ;   in Loop: Header=BB232_5 Depth=1
	v_add_u32_e32 v14, v34, v1
	v_ashrrev_i32_e32 v15, 31, v14
	v_lshl_add_u64 v[14:15], v[14:15], 3, s[12:13]
	global_load_dwordx2 v[14:15], v[14:15], off
.LBB232_13:                             ;   in Loop: Header=BB232_5 Depth=1
	s_or_b64 exec, exec, s[4:5]
	v_lshl_add_u64 v[18:19], v[16:17], 2, s[6:7]
	global_load_dword v17, v[18:19], off
	v_cmp_ne_u32_e32 vcc, s25, v1
	v_add_u32_e32 v2, s23, v16
	s_waitcnt vmcnt(1)
	v_xor_b32_e32 v16, 0x80000000, v7
	s_waitcnt vmcnt(0)
	v_cmp_ne_u32_e64 s[4:5], 1, v17
	s_and_b64 s[4:5], vcc, s[4:5]
	s_and_saveexec_b64 s[20:21], s[4:5]
	s_xor_b64 s[4:5], exec, s[20:21]
	s_cbranch_execz .LBB232_17
; %bb.14:                               ;   in Loop: Header=BB232_5 Depth=1
	v_lshl_add_u64 v[36:37], v[2:3], 3, s[8:9]
	v_add_u32_e32 v2, v35, v1
	global_load_dwordx2 v[30:31], v[36:37], off
	v_lshl_add_u64 v[38:39], v[2:3], 3, s[8:9]
	global_load_dwordx2 v[40:41], v[38:39], off
	v_xor_b32_e32 v18, 0x80000000, v5
	v_mov_b32_e32 v19, v4
	v_mov_b32_e32 v17, v6
	v_pk_mul_f32 v[26:27], v[10:11], v[18:19] op_sel:[1,0]
	v_pk_mul_f32 v[16:17], v[8:9], v[16:17] op_sel:[1,0]
	v_pk_fma_f32 v[26:27], v[4:5], v[10:11], v[26:27] op_sel_hi:[1,0,1]
	v_pk_fma_f32 v[16:17], v[6:7], v[8:9], v[16:17] op_sel_hi:[1,0,1]
	v_xor_b32_e32 v42, 0x80000000, v11
	v_pk_add_f32 v[16:17], v[26:27], v[16:17] neg_lo:[0,1] neg_hi:[0,1]
	v_mov_b32_e32 v43, v10
	v_mul_f32_e32 v24, v17, v17
	v_fmac_f32_e32 v24, v16, v16
	v_div_scale_f32 v27, s[20:21], v24, v24, 1.0
	v_rcp_f32_e32 v28, v27
	v_fma_f32 v26, 0, v17, v16
	v_fma_f32 v17, v16, 0, -v17
	v_div_scale_f32 v16, vcc, 1.0, v24, 1.0
	v_fma_f32 v29, -v27, v28, 1.0
	v_fmac_f32_e32 v28, v29, v28
	v_mul_f32_e32 v29, v16, v28
	v_fma_f32 v32, -v27, v29, v16
	v_fmac_f32_e32 v29, v32, v28
	v_fma_f32 v16, -v27, v29, v16
	v_div_fmas_f32 v16, v16, v28, v29
	v_div_fixup_f32 v24, v16, v24, 1.0
	v_mul_f32_e32 v16, v26, v24
	v_mul_f32_e32 v24, v17, v24
	v_xor_b32_e32 v44, 0x80000000, v9
	v_pk_add_f32 v[22:23], v[6:7], 0 neg_lo:[1,1] neg_hi:[1,1]
	v_mov_b32_e32 v45, v8
	v_pk_mov_b32 v[22:23], v[6:7], v[22:23] op_sel:[1,0]
	v_mov_b32_e32 v2, v3
	v_mov_b32_e32 v20, v4
	;; [unrolled: 1-line block ×3, first 2 shown]
	s_waitcnt vmcnt(1)
	v_mul_f32_e64 v26, v24, -v31
	v_mul_f32_e32 v28, v24, v30
	v_fmac_f32_e32 v26, v30, v16
	v_fmac_f32_e32 v28, v31, v16
	s_waitcnt vmcnt(0)
	v_mul_f32_e64 v30, v24, -v41
	v_mul_f32_e32 v32, v24, v40
	v_fmac_f32_e32 v30, v40, v16
	v_fmac_f32_e32 v32, v41, v16
	v_pk_mul_f32 v[40:41], v[28:29], v[42:43] op_sel_hi:[0,1]
	v_pk_fma_f32 v[10:11], v[10:11], v[26:27], v[40:41] op_sel_hi:[1,0,1]
	v_pk_mul_f32 v[40:41], v[32:33], v[44:45] op_sel_hi:[0,1]
	v_pk_mul_f32 v[42:43], v[22:23], v[28:29] op_sel_hi:[1,0]
	;; [unrolled: 1-line block ×3, first 2 shown]
	v_pk_fma_f32 v[8:9], v[8:9], v[30:31], v[40:41] op_sel_hi:[1,0,1]
	v_pk_fma_f32 v[42:43], v[6:7], v[26:27], v[42:43] op_sel_hi:[1,0,1] neg_lo:[1,0,0] neg_hi:[1,0,0]
	v_pk_fma_f32 v[40:41], v[4:5], v[30:31], v[44:45] op_sel_hi:[1,0,1]
	v_pk_add_f32 v[8:9], v[10:11], v[8:9] neg_lo:[0,1] neg_hi:[0,1]
	v_pk_add_f32 v[10:11], v[42:43], v[40:41]
	global_store_dwordx2 v[36:37], v[8:9], off
	global_store_dwordx2 v[38:39], v[10:11], off
	v_mov_b64_e32 v[8:9], v[2:3]
	s_and_saveexec_b64 s[20:21], s[2:3]
	s_cbranch_execz .LBB232_16
; %bb.15:                               ;   in Loop: Header=BB232_5 Depth=1
	v_add_u32_e32 v8, v34, v1
	v_add_u32_e32 v2, s23, v8
	v_ashrrev_i32_e32 v9, 31, v8
	v_lshl_add_u64 v[10:11], v[2:3], 3, s[8:9]
	v_lshl_add_u64 v[8:9], v[8:9], 3, s[14:15]
	global_load_dwordx2 v[36:37], v[10:11], off
	v_mov_b32_e32 v2, v15
	global_load_dwordx2 v[8:9], v[8:9], off
	v_xor_b32_e32 v38, 0x80000000, v15
	v_mov_b32_e32 v39, v14
	v_pk_mul_f32 v[22:23], v[2:3], v[22:23] op_sel_hi:[0,1]
	v_pk_mul_f32 v[18:19], v[2:3], v[18:19] op_sel_hi:[0,1]
	v_pk_mul_f32 v[38:39], v[4:5], v[38:39] op_sel:[1,0]
	v_pk_fma_f32 v[6:7], v[6:7], v[14:15], v[22:23] op_sel_hi:[1,0,1] neg_lo:[1,0,0] neg_hi:[1,0,0]
	v_pk_fma_f32 v[4:5], v[4:5], v[14:15], v[18:19] op_sel_hi:[1,0,1]
	v_pk_fma_f32 v[14:15], v[14:15], v[20:21], v[38:39]
	v_mov_b32_e32 v40, v13
	v_pk_add_f32 v[18:19], v[6:7], 0 neg_lo:[1,1] neg_hi:[1,1]
	v_xor_b32_e32 v22, 0x80000000, v15
	v_mov_b32_e32 v23, v14
	v_mov_b32_e32 v29, v28
	;; [unrolled: 1-line block ×3, first 2 shown]
	v_xor_b32_e32 v20, 0x80000000, v5
	v_mov_b32_e32 v21, v4
	v_pk_mov_b32 v[18:19], v[6:7], v[18:19] op_sel:[1,0]
	v_pk_mul_f32 v[22:23], v[40:41], v[22:23] op_sel_hi:[0,1]
	v_mov_b32_e32 v27, v26
	v_mov_b32_e32 v31, v30
	v_pk_mul_f32 v[20:21], v[32:33], v[20:21]
	v_pk_mul_f32 v[18:19], v[18:19], v[28:29]
	v_pk_fma_f32 v[12:13], v[14:15], v[12:13], v[22:23] op_sel_hi:[1,0,1]
	v_pk_fma_f32 v[4:5], v[4:5], v[30:31], v[20:21]
	v_pk_fma_f32 v[6:7], v[6:7], v[26:27], v[18:19] neg_lo:[1,0,0] neg_hi:[1,0,0]
	v_xor_b32_e32 v14, 0x80000000, v13
	v_mov_b32_e32 v15, v12
	v_pk_add_f32 v[4:5], v[6:7], v[4:5] neg_lo:[0,1] neg_hi:[0,1]
	v_pk_mul_f32 v[6:7], v[24:25], v[14:15] op_sel_hi:[0,1]
	v_pk_fma_f32 v[6:7], v[12:13], v[16:17], v[6:7] op_sel_hi:[1,0,1]
	s_waitcnt vmcnt(1)
	v_pk_add_f32 v[4:5], v[4:5], v[36:37]
	global_store_dwordx2 v[10:11], v[4:5], off
	s_waitcnt vmcnt(1)
	v_pk_add_f32 v[8:9], v[8:9], v[6:7] neg_lo:[0,1] neg_hi:[0,1]
.LBB232_16:                             ;   in Loop: Header=BB232_5 Depth=1
	s_or_b64 exec, exec, s[20:21]
	v_mov_b64_e32 v[4:5], v[8:9]
                                        ; implicit-def: $vgpr16
                                        ; implicit-def: $vgpr6
                                        ; implicit-def: $vgpr8_vgpr9
                                        ; implicit-def: $vgpr10_vgpr11
.LBB232_17:                             ;   in Loop: Header=BB232_5 Depth=1
	s_or_saveexec_b64 s[2:3], s[4:5]
	v_mov_b32_e32 v12, s27
	s_xor_b64 exec, exec, s[2:3]
	s_cbranch_execz .LBB232_4
; %bb.18:                               ;   in Loop: Header=BB232_5 Depth=1
	v_lshl_add_u64 v[18:19], v[2:3], 3, s[8:9]
	global_load_dwordx2 v[14:15], v[18:19], off
	v_mul_f32_e32 v2, v5, v5
	v_fmac_f32_e32 v2, v4, v4
	v_div_scale_f32 v12, s[4:5], v2, v2, 1.0
	v_rcp_f32_e32 v13, v12
	s_nop 0
	v_fma_f32 v17, -v12, v13, 1.0
	v_fmac_f32_e32 v13, v17, v13
	v_div_scale_f32 v17, vcc, 1.0, v2, 1.0
	v_mul_f32_e32 v20, v17, v13
	v_fma_f32 v21, -v12, v20, v17
	v_fmac_f32_e32 v20, v21, v13
	v_fma_f32 v12, -v12, v20, v17
	v_div_fmas_f32 v12, v12, v13, v20
	v_div_fixup_f32 v2, v12, v2, 1.0
	v_fma_f32 v12, 0, v5, v4
	v_fma_f32 v4, v4, 0, -v5
	v_mul_f32_e32 v4, v4, v2
	v_mul_f32_e32 v12, v12, v2
	s_waitcnt vmcnt(0)
	v_pk_mul_f32 v[20:21], v[4:5], v[14:15] op_sel:[0,1] op_sel_hi:[0,0] neg_lo:[0,1]
	v_pk_fma_f32 v[14:15], v[14:15], v[12:13], v[20:21] op_sel_hi:[1,0,1]
	global_store_dwordx2 v[18:19], v[14:15], off
	s_and_saveexec_b64 s[4:5], s[0:1]
	s_cbranch_execz .LBB232_3
; %bb.19:                               ;   in Loop: Header=BB232_5 Depth=1
	v_add_u32_e32 v2, v35, v1
	v_lshl_add_u64 v[18:19], v[2:3], 3, s[8:9]
	global_load_dwordx2 v[20:21], v[18:19], off
	v_xor_b32_e32 v22, 0x80000000, v6
	v_mov_b32_e32 v23, v16
	v_mov_b32_e32 v26, v7
	;; [unrolled: 1-line block ×3, first 2 shown]
	s_waitcnt vmcnt(0)
	v_pk_fma_f32 v[20:21], v[22:23], v[14:15], v[20:21] op_sel_hi:[1,0,1]
	s_nop 0
	v_pk_fma_f32 v[14:15], v[26:27], v[14:15], v[20:21] op_sel:[0,1,0]
	global_store_dwordx2 v[18:19], v[14:15], off
	s_branch .LBB232_3
.LBB232_20:
	s_or_b64 exec, exec, s[18:19]
	s_branch .LBB232_22
.LBB232_21:
	v_mov_b32_e32 v1, 0
.LBB232_22:
	v_subrev_u32_e32 v1, s22, v1
	v_add_u32_e32 v2, v1, v0
	v_ashrrev_i32_e32 v3, 31, v2
	s_waitcnt lgkmcnt(0)
	v_lshl_add_u64 v[2:3], v[2:3], 2, s[6:7]
	buffer_wbl2 sc1
	s_waitcnt vmcnt(0)
	buffer_inv sc1
	global_load_dword v2, v[2:3], off
	s_waitcnt vmcnt(0)
	v_mul_lo_u32 v2, v2, s22
	v_sub_u32_e32 v1, v1, v2
	v_cmp_lt_i32_e32 vcc, -1, v1
	s_and_b64 exec, exec, vcc
	s_cbranch_execz .LBB232_29
; %bb.23:
	s_add_i32 s0, s23, s22
	v_add_u32_e32 v8, s0, v0
	s_lshl_b32 s4, s22, 1
	s_mov_b64 s[0:1], 0
	v_mov_b32_e32 v3, 0
	s_branch .LBB232_25
.LBB232_24:                             ;   in Loop: Header=BB232_25 Depth=1
	s_or_b64 exec, exec, s[2:3]
	v_sub_u32_e32 v1, v1, v2
	v_cmp_gt_i32_e32 vcc, 0, v1
	s_or_b64 s[0:1], vcc, s[0:1]
	s_andn2_b64 exec, exec, s[0:1]
	s_cbranch_execz .LBB232_29
.LBB232_25:                             ; =>This Inner Loop Header: Depth=1
	v_add_u32_e32 v6, v1, v0
	v_ashrrev_i32_e32 v7, 31, v6
	s_waitcnt vmcnt(0)
	v_lshl_add_u64 v[4:5], v[6:7], 2, s[6:7]
	global_load_dword v2, v[4:5], off
	v_lshl_add_u64 v[4:5], v[6:7], 3, s[10:11]
	global_load_dwordx2 v[4:5], v[4:5], off
	s_waitcnt vmcnt(1)
	v_cmp_ne_u32_e32 vcc, 1, v2
	s_and_saveexec_b64 s[2:3], vcc
	s_xor_b64 s[2:3], exec, s[2:3]
	s_cbranch_execz .LBB232_27
; %bb.26:                               ;   in Loop: Header=BB232_25 Depth=1
	v_add_u32_e32 v2, v8, v1
	v_lshl_add_u64 v[10:11], v[2:3], 3, s[8:9]
	v_add_u32_e32 v2, s23, v6
	v_lshl_add_u64 v[6:7], v[2:3], 3, s[8:9]
	global_load_dwordx2 v[12:13], v[10:11], off
	global_load_dwordx2 v[14:15], v[6:7], off
	v_subrev_u32_e32 v2, s22, v1
	s_waitcnt vmcnt(2)
	v_pk_add_f32 v[10:11], v[4:5], 0 neg_lo:[1,1] neg_hi:[1,1]
	v_add_u32_e32 v16, v2, v0
	v_pk_mov_b32 v[10:11], v[4:5], v[10:11] op_sel:[1,0]
	v_ashrrev_i32_e32 v17, 31, v16
	v_add_u32_e32 v2, s23, v16
	v_lshl_add_u64 v[16:17], v[16:17], 3, s[10:11]
	v_lshl_add_u64 v[18:19], v[2:3], 3, s[8:9]
	global_load_dwordx2 v[16:17], v[16:17], off
	s_waitcnt vmcnt(1)
	v_pk_fma_f32 v[4:5], v[4:5], v[12:13], v[14:15] op_sel_hi:[1,0,1] neg_lo:[1,0,0] neg_hi:[1,0,0]
	s_nop 0
	v_pk_fma_f32 v[4:5], v[10:11], v[12:13], v[4:5] op_sel:[0,1,0]
	global_store_dwordx2 v[6:7], v[4:5], off
	global_load_dwordx2 v[4:5], v[18:19], off
	s_waitcnt vmcnt(2)
	v_pk_add_f32 v[6:7], v[16:17], 0 neg_lo:[1,1] neg_hi:[1,1]
	s_nop 0
	v_pk_mov_b32 v[6:7], v[16:17], v[6:7] op_sel:[1,0]
	s_waitcnt vmcnt(0)
	v_pk_fma_f32 v[4:5], v[16:17], v[12:13], v[4:5] op_sel_hi:[1,0,1] neg_lo:[1,0,0] neg_hi:[1,0,0]
	s_nop 0
	v_pk_fma_f32 v[4:5], v[6:7], v[12:13], v[4:5] op_sel:[0,1,0]
	global_store_dwordx2 v[18:19], v[4:5], off
                                        ; implicit-def: $vgpr6
                                        ; implicit-def: $vgpr4_vgpr5
.LBB232_27:                             ;   in Loop: Header=BB232_25 Depth=1
	s_or_saveexec_b64 s[2:3], s[2:3]
	v_mov_b32_e32 v2, s4
	s_xor_b64 exec, exec, s[2:3]
	s_cbranch_execz .LBB232_24
; %bb.28:                               ;   in Loop: Header=BB232_25 Depth=1
	v_add_u32_e32 v2, v8, v1
	v_lshl_add_u64 v[10:11], v[2:3], 3, s[8:9]
	v_add_u32_e32 v2, s23, v6
	v_lshl_add_u64 v[6:7], v[2:3], 3, s[8:9]
	global_load_dwordx2 v[12:13], v[10:11], off
	global_load_dwordx2 v[14:15], v[6:7], off
	s_waitcnt vmcnt(2)
	v_pk_add_f32 v[10:11], v[4:5], 0 neg_lo:[1,1] neg_hi:[1,1]
	v_mov_b32_e32 v2, s22
	v_pk_mov_b32 v[10:11], v[4:5], v[10:11] op_sel:[1,0]
	s_waitcnt vmcnt(0)
	v_pk_fma_f32 v[4:5], v[4:5], v[12:13], v[14:15] op_sel_hi:[1,0,1] neg_lo:[1,0,0] neg_hi:[1,0,0]
	s_nop 0
	v_pk_fma_f32 v[4:5], v[10:11], v[12:13], v[4:5] op_sel:[0,1,0]
	global_store_dwordx2 v[6:7], v[4:5], off
	s_branch .LBB232_24
.LBB232_29:
	s_endpgm
	.section	.rodata,"a",@progbits
	.p2align	6, 0x0
	.amdhsa_kernel _ZN9rocsparseL19gtsv_LBM_rhs_kernelILj256ELj32ELj1E21rocsparse_complex_numIfEEEviiiPKT2_S5_S5_PS3_S5_PKi
		.amdhsa_group_segment_fixed_size 0
		.amdhsa_private_segment_fixed_size 0
		.amdhsa_kernarg_size 64
		.amdhsa_user_sgpr_count 2
		.amdhsa_user_sgpr_dispatch_ptr 0
		.amdhsa_user_sgpr_queue_ptr 0
		.amdhsa_user_sgpr_kernarg_segment_ptr 1
		.amdhsa_user_sgpr_dispatch_id 0
		.amdhsa_user_sgpr_kernarg_preload_length 0
		.amdhsa_user_sgpr_kernarg_preload_offset 0
		.amdhsa_user_sgpr_private_segment_size 0
		.amdhsa_uses_dynamic_stack 0
		.amdhsa_enable_private_segment 0
		.amdhsa_system_sgpr_workgroup_id_x 1
		.amdhsa_system_sgpr_workgroup_id_y 1
		.amdhsa_system_sgpr_workgroup_id_z 0
		.amdhsa_system_sgpr_workgroup_info 0
		.amdhsa_system_vgpr_workitem_id 0
		.amdhsa_next_free_vgpr 46
		.amdhsa_next_free_sgpr 28
		.amdhsa_accum_offset 48
		.amdhsa_reserve_vcc 1
		.amdhsa_float_round_mode_32 0
		.amdhsa_float_round_mode_16_64 0
		.amdhsa_float_denorm_mode_32 3
		.amdhsa_float_denorm_mode_16_64 3
		.amdhsa_dx10_clamp 1
		.amdhsa_ieee_mode 1
		.amdhsa_fp16_overflow 0
		.amdhsa_tg_split 0
		.amdhsa_exception_fp_ieee_invalid_op 0
		.amdhsa_exception_fp_denorm_src 0
		.amdhsa_exception_fp_ieee_div_zero 0
		.amdhsa_exception_fp_ieee_overflow 0
		.amdhsa_exception_fp_ieee_underflow 0
		.amdhsa_exception_fp_ieee_inexact 0
		.amdhsa_exception_int_div_zero 0
	.end_amdhsa_kernel
	.section	.text._ZN9rocsparseL19gtsv_LBM_rhs_kernelILj256ELj32ELj1E21rocsparse_complex_numIfEEEviiiPKT2_S5_S5_PS3_S5_PKi,"axG",@progbits,_ZN9rocsparseL19gtsv_LBM_rhs_kernelILj256ELj32ELj1E21rocsparse_complex_numIfEEEviiiPKT2_S5_S5_PS3_S5_PKi,comdat
.Lfunc_end232:
	.size	_ZN9rocsparseL19gtsv_LBM_rhs_kernelILj256ELj32ELj1E21rocsparse_complex_numIfEEEviiiPKT2_S5_S5_PS3_S5_PKi, .Lfunc_end232-_ZN9rocsparseL19gtsv_LBM_rhs_kernelILj256ELj32ELj1E21rocsparse_complex_numIfEEEviiiPKT2_S5_S5_PS3_S5_PKi
                                        ; -- End function
	.set _ZN9rocsparseL19gtsv_LBM_rhs_kernelILj256ELj32ELj1E21rocsparse_complex_numIfEEEviiiPKT2_S5_S5_PS3_S5_PKi.num_vgpr, 46
	.set _ZN9rocsparseL19gtsv_LBM_rhs_kernelILj256ELj32ELj1E21rocsparse_complex_numIfEEEviiiPKT2_S5_S5_PS3_S5_PKi.num_agpr, 0
	.set _ZN9rocsparseL19gtsv_LBM_rhs_kernelILj256ELj32ELj1E21rocsparse_complex_numIfEEEviiiPKT2_S5_S5_PS3_S5_PKi.numbered_sgpr, 28
	.set _ZN9rocsparseL19gtsv_LBM_rhs_kernelILj256ELj32ELj1E21rocsparse_complex_numIfEEEviiiPKT2_S5_S5_PS3_S5_PKi.num_named_barrier, 0
	.set _ZN9rocsparseL19gtsv_LBM_rhs_kernelILj256ELj32ELj1E21rocsparse_complex_numIfEEEviiiPKT2_S5_S5_PS3_S5_PKi.private_seg_size, 0
	.set _ZN9rocsparseL19gtsv_LBM_rhs_kernelILj256ELj32ELj1E21rocsparse_complex_numIfEEEviiiPKT2_S5_S5_PS3_S5_PKi.uses_vcc, 1
	.set _ZN9rocsparseL19gtsv_LBM_rhs_kernelILj256ELj32ELj1E21rocsparse_complex_numIfEEEviiiPKT2_S5_S5_PS3_S5_PKi.uses_flat_scratch, 0
	.set _ZN9rocsparseL19gtsv_LBM_rhs_kernelILj256ELj32ELj1E21rocsparse_complex_numIfEEEviiiPKT2_S5_S5_PS3_S5_PKi.has_dyn_sized_stack, 0
	.set _ZN9rocsparseL19gtsv_LBM_rhs_kernelILj256ELj32ELj1E21rocsparse_complex_numIfEEEviiiPKT2_S5_S5_PS3_S5_PKi.has_recursion, 0
	.set _ZN9rocsparseL19gtsv_LBM_rhs_kernelILj256ELj32ELj1E21rocsparse_complex_numIfEEEviiiPKT2_S5_S5_PS3_S5_PKi.has_indirect_call, 0
	.section	.AMDGPU.csdata,"",@progbits
; Kernel info:
; codeLenInByte = 1980
; TotalNumSgprs: 34
; NumVgprs: 46
; NumAgprs: 0
; TotalNumVgprs: 46
; ScratchSize: 0
; MemoryBound: 0
; FloatMode: 240
; IeeeMode: 1
; LDSByteSize: 0 bytes/workgroup (compile time only)
; SGPRBlocks: 4
; VGPRBlocks: 5
; NumSGPRsForWavesPerEU: 34
; NumVGPRsForWavesPerEU: 46
; AccumOffset: 48
; Occupancy: 8
; WaveLimiterHint : 0
; COMPUTE_PGM_RSRC2:SCRATCH_EN: 0
; COMPUTE_PGM_RSRC2:USER_SGPR: 2
; COMPUTE_PGM_RSRC2:TRAP_HANDLER: 0
; COMPUTE_PGM_RSRC2:TGID_X_EN: 1
; COMPUTE_PGM_RSRC2:TGID_Y_EN: 1
; COMPUTE_PGM_RSRC2:TGID_Z_EN: 0
; COMPUTE_PGM_RSRC2:TIDIG_COMP_CNT: 0
; COMPUTE_PGM_RSRC3_GFX90A:ACCUM_OFFSET: 11
; COMPUTE_PGM_RSRC3_GFX90A:TG_SPLIT: 0
	.section	.text._ZN9rocsparseL29gtsv_spike_block_level_kernelILj256ELj32E21rocsparse_complex_numIfEEEviiiPT1_PKS3_S6_S4_S4_S4_S4_S4_,"axG",@progbits,_ZN9rocsparseL29gtsv_spike_block_level_kernelILj256ELj32E21rocsparse_complex_numIfEEEviiiPT1_PKS3_S6_S4_S4_S4_S4_S4_,comdat
	.globl	_ZN9rocsparseL29gtsv_spike_block_level_kernelILj256ELj32E21rocsparse_complex_numIfEEEviiiPT1_PKS3_S6_S4_S4_S4_S4_S4_ ; -- Begin function _ZN9rocsparseL29gtsv_spike_block_level_kernelILj256ELj32E21rocsparse_complex_numIfEEEviiiPT1_PKS3_S6_S4_S4_S4_S4_S4_
	.p2align	8
	.type	_ZN9rocsparseL29gtsv_spike_block_level_kernelILj256ELj32E21rocsparse_complex_numIfEEEviiiPT1_PKS3_S6_S4_S4_S4_S4_S4_,@function
_ZN9rocsparseL29gtsv_spike_block_level_kernelILj256ELj32E21rocsparse_complex_numIfEEEviiiPT1_PKS3_S6_S4_S4_S4_S4_S4_: ; @_ZN9rocsparseL29gtsv_spike_block_level_kernelILj256ELj32E21rocsparse_complex_numIfEEEviiiPT1_PKS3_S6_S4_S4_S4_S4_S4_
; %bb.0:
	s_load_dword s14, s[0:1], 0x0
	s_load_dwordx2 s[8:9], s[0:1], 0x18
	v_lshl_or_b32 v2, s2, 8, v0
	v_mov_b32_e32 v4, 0
	v_mov_b32_e32 v8, 0
	s_waitcnt lgkmcnt(0)
	s_lshr_b32 s18, s14, 5
	v_cmp_gt_i32_e64 s[4:5], s18, v2
	v_mov_b32_e32 v9, 0
	s_and_saveexec_b64 s[6:7], s[4:5]
	s_cbranch_execz .LBB233_2
; %bb.1:
	v_ashrrev_i32_e32 v3, 31, v2
	v_lshl_add_u64 v[6:7], v[2:3], 3, s[8:9]
	global_load_dwordx2 v[8:9], v[6:7], off
.LBB233_2:
	s_or_b64 exec, exec, s[6:7]
	s_load_dwordx2 s[6:7], s[0:1], 0x20
	v_lshlrev_b32_e32 v1, 3, v0
	v_or_b32_e32 v6, 0x1000, v1
	v_mov_b32_e32 v5, 0
	s_waitcnt vmcnt(0)
	ds_write_b64 v1, v[8:9] offset:4096
	s_and_saveexec_b64 s[10:11], s[4:5]
	s_cbranch_execz .LBB233_4
; %bb.3:
	v_mad_u64_u32 v[4:5], s[12:13], s18, 31, v[2:3]
	v_mov_b32_e32 v5, 0
	v_lshl_add_u64 v[4:5], v[4:5], 3, s[8:9]
	global_load_dwordx2 v[4:5], v[4:5], off
.LBB233_4:
	s_or_b64 exec, exec, s[10:11]
	s_waitcnt vmcnt(0)
	ds_write_b64 v6, v[4:5] offset:2048
	v_mov_b32_e32 v4, 0
	v_mov_b32_e32 v8, 0
	;; [unrolled: 1-line block ×3, first 2 shown]
	s_and_saveexec_b64 s[8:9], s[4:5]
	s_cbranch_execz .LBB233_6
; %bb.5:
	v_ashrrev_i32_e32 v3, 31, v2
	s_waitcnt lgkmcnt(0)
	v_lshl_add_u64 v[8:9], v[2:3], 3, s[6:7]
	global_load_dwordx2 v[8:9], v[8:9], off
.LBB233_6:
	s_or_b64 exec, exec, s[8:9]
	s_load_dwordx2 s[12:13], s[0:1], 0x10
	v_mov_b32_e32 v5, 0
	s_waitcnt vmcnt(0)
	ds_write_b64 v1, v[8:9]
	s_and_saveexec_b64 s[8:9], s[4:5]
	s_cbranch_execz .LBB233_8
; %bb.7:
	v_mad_u64_u32 v[4:5], s[10:11], s18, 31, v[2:3]
	v_mov_b32_e32 v5, 0
	s_waitcnt lgkmcnt(0)
	v_lshl_add_u64 v[4:5], v[4:5], 3, s[6:7]
	global_load_dwordx2 v[4:5], v[4:5], off
.LBB233_8:
	s_or_b64 exec, exec, s[8:9]
	s_mul_i32 s14, s14, s3
	s_waitcnt vmcnt(0)
	ds_write_b64 v1, v[4:5] offset:2048
	v_mov_b32_e32 v8, 0
	v_add_u32_e32 v4, s14, v2
	v_mov_b32_e32 v10, 0
	v_mov_b32_e32 v11, 0
	s_waitcnt lgkmcnt(0)
	s_and_saveexec_b64 s[6:7], s[4:5]
	s_cbranch_execz .LBB233_10
; %bb.9:
	v_ashrrev_i32_e32 v5, 31, v4
	v_lshl_add_u64 v[10:11], v[4:5], 3, s[12:13]
	global_load_dwordx2 v[10:11], v[10:11], off
.LBB233_10:
	s_or_b64 exec, exec, s[6:7]
	v_or_b32_e32 v5, 0x2000, v1
	s_mul_i32 s19, s18, 31
	v_mov_b32_e32 v9, 0
	s_waitcnt vmcnt(0)
	ds_write_b64 v1, v[10:11] offset:8192
	s_and_saveexec_b64 s[6:7], s[4:5]
	s_cbranch_execz .LBB233_12
; %bb.11:
	s_mul_i32 s8, s18, 31
	s_add_i32 s8, s8, s14
	v_add_u32_e32 v8, s8, v2
	v_mov_b32_e32 v9, 0
	v_lshl_add_u64 v[8:9], v[8:9], 3, s[12:13]
	global_load_dwordx2 v[8:9], v[8:9], off
.LBB233_12:
	s_or_b64 exec, exec, s[6:7]
	s_movk_i32 s6, 0x80
	v_cmp_gt_u32_e32 vcc, s6, v0
	s_waitcnt vmcnt(0)
	ds_write_b64 v5, v[8:9] offset:2048
	s_waitcnt lgkmcnt(0)
	s_barrier
	s_and_saveexec_b64 s[6:7], vcc
	s_cbranch_execz .LBB233_14
; %bb.13:
	v_add_u32_e32 v3, v6, v1
	ds_read2_b64 v[8:11], v3 offset1:1
	v_add_u32_e32 v7, v1, v1
	ds_read_b128 v[12:15], v7 offset:2048
	ds_read_b64 v[36:37], v3 offset:2056
	s_mov_b64 s[8:9], 0x3f800000
	v_add_u32_e32 v47, v5, v1
	s_waitcnt lgkmcnt(2)
	v_xor_b32_e32 v20, 0x80000000, v11
	v_mov_b32_e32 v21, v10
	s_waitcnt lgkmcnt(1)
	v_pk_mul_f32 v[20:21], v[12:13], v[20:21] op_sel:[1,0]
	ds_read_b128 v[16:19], v7
	v_pk_fma_f32 v[12:13], v[10:11], v[12:13], v[20:21] op_sel_hi:[1,0,1]
	v_add_u32_e32 v28, 0x800, v47
	v_pk_add_f32 v[12:13], v[12:13], s[8:9] neg_lo:[1,0] neg_hi:[1,0]
	s_nop 0
	v_mul_f32_e32 v20, v13, v13
	v_fmac_f32_e32 v20, v12, v12
	v_div_scale_f32 v21, s[8:9], v20, v20, 1.0
	v_rcp_f32_e32 v22, v21
	v_fma_f32 v39, v12, 0, -v13
	v_fmac_f32_e32 v12, 0, v13
	v_add_u32_e32 v13, 0x800, v3
	v_fma_f32 v23, -v21, v22, 1.0
	v_fmac_f32_e32 v22, v23, v22
	v_div_scale_f32 v23, vcc, 1.0, v20, 1.0
	v_mul_f32_e32 v24, v23, v22
	v_fma_f32 v25, -v21, v24, v23
	v_fmac_f32_e32 v24, v25, v22
	v_fma_f32 v21, -v21, v24, v23
	v_div_fmas_f32 v21, v21, v22, v24
	v_div_fixup_f32 v38, v21, v20, 1.0
	ds_read_b128 v[20:23], v47
	ds_read2st64_b64 v[24:27], v7 offset1:4
	ds_read2_b64 v[28:31], v28 offset1:1
	s_waitcnt lgkmcnt(2)
	v_mov_b32_e32 v32, v23
	s_waitcnt lgkmcnt(1)
	v_pk_mul_f32 v[32:33], v[32:33], v[26:27] op_sel:[0,1] op_sel_hi:[0,0] neg_lo:[0,1]
	v_pk_fma_f32 v[32:33], v[26:27], v[22:23], v[32:33] op_sel_hi:[1,0,1]
	s_waitcnt lgkmcnt(0)
	v_pk_mul_f32 v[44:45], v[10:11], v[28:29] op_sel:[1,1] op_sel_hi:[1,0] neg_lo:[0,1]
	v_pk_add_f32 v[40:41], v[28:29], v[32:33] neg_lo:[0,1] neg_hi:[0,1]
	ds_read2_b64 v[32:35], v13 offset1:1
	v_pk_fma_f32 v[28:29], v[28:29], v[10:11], v[44:45] op_sel_hi:[1,0,1]
	v_mov_b32_e32 v13, v39
	v_xor_b32_e32 v42, 0x80000000, v41
	v_mov_b32_e32 v43, v40
	v_pk_add_f32 v[22:23], v[22:23], v[28:29] neg_lo:[0,1] neg_hi:[0,1]
	v_pk_mul_f32 v[38:39], v[12:13], v[38:39] op_sel_hi:[1,0]
	v_xor_b32_e32 v28, 0x80000000, v23
	v_mov_b32_e32 v29, v22
	v_mul_f32_e64 v46, v19, -v27
	v_mul_f32_e32 v48, v19, v26
	v_pk_mul_f32 v[12:13], v[38:39], v[42:43] op_sel:[1,0]
	v_fmac_f32_e32 v46, v26, v18
	v_fmac_f32_e32 v48, v27, v18
	v_pk_fma_f32 v[26:27], v[40:41], v[38:39], v[12:13] op_sel_hi:[1,0,1]
	v_pk_mul_f32 v[12:13], v[38:39], v[28:29] op_sel:[1,0]
	s_waitcnt lgkmcnt(0)
	v_xor_b32_e32 v44, 0x80000000, v35
	v_pk_fma_f32 v[22:23], v[22:23], v[38:39], v[12:13] op_sel_hi:[1,0,1]
	v_mov_b32_e32 v45, v34
	v_pk_mul_f32 v[12:13], v[22:23], v[16:17] op_sel:[1,1] op_sel_hi:[1,0] neg_lo:[0,1]
	s_nop 0
	v_pk_fma_f32 v[12:13], v[16:17], v[22:23], v[12:13] op_sel_hi:[1,0,1]
	v_pk_add_f32 v[16:17], v[38:39], 0 neg_lo:[1,1] neg_hi:[1,1]
	v_pk_add_f32 v[20:21], v[20:21], v[12:13] neg_lo:[0,1] neg_hi:[0,1]
	ds_write_b128 v47, v[20:23]
	v_pk_mov_b32 v[20:21], v[38:39], v[16:17] op_sel:[1,0]
	v_mov_b32_e32 v22, v19
	v_pk_mov_b32 v[16:17], v[16:17], v[38:39] op_sel:[1,0]
	v_pk_mul_f32 v[12:13], v[26:27], v[44:45] op_sel:[1,0]
	v_pk_mul_f32 v[16:17], v[22:23], v[16:17] op_sel_hi:[0,1]
	v_mul_f32_e32 v22, v11, v32
	v_pk_fma_f32 v[18:19], v[38:39], v[18:19], v[16:17] op_sel_hi:[1,0,1]
	v_mul_f32_e64 v16, v11, -v33
	v_fmac_f32_e32 v22, v33, v10
	v_pk_fma_f32 v[12:13], v[34:35], v[26:27], v[12:13] op_sel_hi:[1,0,1]
	v_fmac_f32_e32 v16, v32, v10
	v_pk_mul_f32 v[10:11], v[20:21], v[22:23] op_sel_hi:[1,0]
	v_pk_add_f32 v[28:29], v[30:31], v[12:13] neg_lo:[0,1] neg_hi:[0,1]
	v_pk_fma_f32 v[10:11], v[38:39], v[16:17], v[10:11] op_sel_hi:[1,0,1] neg_lo:[1,0,0] neg_hi:[1,0,0]
	ds_write_b128 v47, v[26:29] offset:2048
	v_xor_b32_e32 v26, 0x80000000, v39
	v_mov_b32_e32 v27, v38
	v_pk_mul_f32 v[22:23], v[10:11], v[24:25] op_sel:[1,1] op_sel_hi:[1,0] neg_lo:[0,1]
	v_pk_mul_f32 v[16:17], v[32:33], v[26:27] op_sel:[1,0]
	v_pk_fma_f32 v[22:23], v[24:25], v[10:11], v[22:23] op_sel_hi:[1,0,1]
	v_pk_mul_f32 v[12:13], v[20:21], v[48:49] op_sel_hi:[1,0]
	v_pk_fma_f32 v[20:21], v[38:39], v[32:33], v[16:17] op_sel_hi:[1,0,1]
	v_pk_add_f32 v[16:17], v[24:25], 0 neg_lo:[1,1] neg_hi:[1,1]
	v_pk_add_f32 v[8:9], v[8:9], v[22:23] neg_lo:[0,1] neg_hi:[0,1]
	ds_write_b128 v3, v[8:11]
	v_pk_mov_b32 v[8:9], v[24:25], v[16:17] op_sel:[1,0]
	v_pk_fma_f32 v[12:13], v[38:39], v[46:47], v[12:13] op_sel_hi:[1,0,1] neg_lo:[1,0,0] neg_hi:[1,0,0]
	v_pk_mul_f32 v[8:9], v[18:19], v[8:9] op_sel:[1,0]
	s_nop 0
	v_pk_fma_f32 v[16:17], v[24:25], v[18:19], v[8:9] op_sel_hi:[1,0,1] neg_lo:[1,0,0] neg_hi:[1,0,0]
	v_xor_b32_e32 v8, 0x80000000, v13
	v_mov_b32_e32 v9, v12
	v_pk_mul_f32 v[8:9], v[36:37], v[8:9] op_sel:[1,0]
	ds_write_b128 v7, v[16:19]
	v_pk_fma_f32 v[8:9], v[12:13], v[36:37], v[8:9] op_sel_hi:[1,0,1]
	s_nop 0
	v_pk_add_f32 v[14:15], v[14:15], v[8:9] neg_lo:[0,1] neg_hi:[0,1]
	v_pk_add_f32 v[8:9], v[36:37], 0 neg_lo:[1,1] neg_hi:[1,1]
	ds_write_b128 v7, v[12:15] offset:2048
	v_pk_mov_b32 v[8:9], v[36:37], v[8:9] op_sel:[1,0]
	s_nop 0
	v_pk_mul_f32 v[8:9], v[20:21], v[8:9] op_sel:[1,0]
	s_nop 0
	v_pk_fma_f32 v[22:23], v[36:37], v[20:21], v[8:9] op_sel_hi:[1,0,1] neg_lo:[1,0,0] neg_hi:[1,0,0]
	ds_write_b128 v3, v[20:23] offset:2048
.LBB233_14:
	s_or_b64 exec, exec, s[6:7]
	v_cmp_gt_u32_e32 vcc, 64, v0
	s_waitcnt lgkmcnt(0)
	s_barrier
	s_and_saveexec_b64 s[6:7], vcc
	s_cbranch_execz .LBB233_16
; %bb.15:
	v_lshlrev_b32_e32 v3, 5, v0
	v_add_u32_e32 v7, 0x1000, v3
	ds_read2_b64 v[8:11], v7 offset1:2
	v_add_u32_e32 v45, 0x800, v3
	ds_read2_b64 v[12:15], v45 offset0:1 offset1:3
	s_mov_b64 s[8:9], 0x3f800000
	v_add_u32_e32 v48, 0x1800, v3
	s_waitcnt lgkmcnt(1)
	v_xor_b32_e32 v16, 0x80000000, v11
	v_mov_b32_e32 v17, v10
	s_waitcnt lgkmcnt(0)
	v_pk_mul_f32 v[16:17], v[12:13], v[16:17] op_sel:[1,0]
	ds_read_b64 v[36:37], v3
	v_pk_fma_f32 v[16:17], v[10:11], v[12:13], v[16:17] op_sel_hi:[1,0,1]
	s_waitcnt lgkmcnt(0)
	v_xor_b32_e32 v40, 0x80000000, v37
	v_pk_add_f32 v[24:25], v[16:17], s[8:9] neg_lo:[1,0] neg_hi:[1,0]
	v_mov_b32_e32 v41, v36
	v_mul_f32_e32 v20, v25, v25
	v_fmac_f32_e32 v20, v24, v24
	v_div_scale_f32 v16, s[8:9], v20, v20, 1.0
	v_rcp_f32_e32 v21, v16
	v_fma_f32 v27, v24, 0, -v25
	v_fmac_f32_e32 v24, 0, v25
	v_mov_b32_e32 v25, v27
	v_fma_f32 v17, -v16, v21, 1.0
	v_fmac_f32_e32 v21, v17, v21
	v_div_scale_f32 v17, vcc, 1.0, v20, 1.0
	v_mul_f32_e32 v22, v17, v21
	v_fma_f32 v18, -v16, v22, v17
	v_fmac_f32_e32 v22, v18, v21
	v_fma_f32 v23, -v16, v22, v17
	v_add_u32_e32 v16, 0x2010, v3
	ds_read2_b64 v[16:19], v16 offset1:255
	v_div_fmas_f32 v21, v23, v21, v22
	v_div_fixup_f32 v26, v21, v20, 1.0
	v_pk_mul_f32 v[46:47], v[24:25], v[26:27] op_sel_hi:[1,0]
	s_waitcnt lgkmcnt(0)
	v_pk_mul_f32 v[20:21], v[16:17], v[12:13] op_sel:[1,1] op_sel_hi:[1,0] neg_lo:[0,1]
	s_nop 0
	v_pk_fma_f32 v[20:21], v[12:13], v[16:17], v[20:21] op_sel_hi:[1,0,1]
	s_nop 0
	v_pk_add_f32 v[28:29], v[18:19], v[20:21] neg_lo:[0,1] neg_hi:[0,1]
	v_pk_mul_f32 v[20:21], v[10:11], v[18:19] op_sel:[1,1] op_sel_hi:[1,0] neg_lo:[0,1]
	v_xor_b32_e32 v30, 0x80000000, v29
	v_pk_fma_f32 v[18:19], v[18:19], v[10:11], v[20:21] op_sel_hi:[1,0,1]
	v_mov_b32_e32 v31, v28
	v_pk_add_f32 v[32:33], v[16:17], v[18:19] neg_lo:[0,1] neg_hi:[0,1]
	ds_read2_b64 v[16:19], v48 offset0:1 offset1:3
	ds_read2_b64 v[20:23], v3 offset1:2
	ds_read_b64 v[38:39], v3 offset:10264
	v_pk_mul_f32 v[24:25], v[46:47], v[30:31] op_sel:[1,0]
	v_xor_b32_e32 v34, 0x80000000, v33
	v_mov_b32_e32 v35, v32
	s_waitcnt lgkmcnt(1)
	v_mul_f32_e64 v44, v23, -v13
	v_fmac_f32_e32 v44, v12, v22
	v_mul_f32_e32 v12, v23, v12
	v_fmac_f32_e32 v12, v13, v22
	v_add_u32_e32 v13, 0x1810, v3
	v_pk_fma_f32 v[28:29], v[28:29], v[46:47], v[24:25] op_sel_hi:[1,0,1]
	ds_read2_b64 v[24:27], v13 offset0:1 offset1:254
	v_pk_mul_f32 v[30:31], v[46:47], v[34:35] op_sel:[1,0]
	v_xor_b32_e32 v42, 0x80000000, v19
	v_pk_fma_f32 v[30:31], v[32:33], v[46:47], v[30:31] op_sel_hi:[1,0,1]
	v_mov_b32_e32 v43, v18
	v_pk_mul_f32 v[32:33], v[30:31], v[40:41] op_sel:[1,0]
	v_add_u32_e32 v13, 0x2000, v3
	v_pk_fma_f32 v[32:33], v[36:37], v[30:31], v[32:33] op_sel_hi:[1,0,1]
	s_waitcnt lgkmcnt(0)
	v_pk_add_f32 v[26:27], v[26:27], v[32:33] neg_lo:[0,1] neg_hi:[0,1]
	ds_write2_b64 v13, v[26:27], v[30:31] offset1:2
	v_pk_mul_f32 v[26:27], v[28:29], v[42:43] op_sel:[1,0]
	v_add_u32_e32 v13, 0x2800, v3
	v_pk_fma_f32 v[18:19], v[18:19], v[28:29], v[26:27] op_sel_hi:[1,0,1]
	s_nop 0
	v_pk_add_f32 v[18:19], v[38:39], v[18:19] neg_lo:[0,1] neg_hi:[0,1]
	ds_write2_b64 v13, v[28:29], v[18:19] offset0:1 offset1:3
	v_pk_add_f32 v[18:19], v[46:47], 0 neg_lo:[1,1] neg_hi:[1,1]
	v_mul_f32_e32 v28, v11, v16
	v_pk_mov_b32 v[26:27], v[46:47], v[18:19] op_sel:[1,0]
	v_pk_mov_b32 v[18:19], v[18:19], v[46:47] op_sel:[1,0]
	v_fmac_f32_e32 v28, v17, v10
	v_pk_mul_f32 v[18:19], v[22:23], v[18:19] op_sel:[1,0]
	v_pk_mul_f32 v[12:13], v[26:27], v[12:13] op_sel_hi:[1,0]
	v_pk_fma_f32 v[18:19], v[46:47], v[22:23], v[18:19] op_sel_hi:[1,0,1]
	v_mul_f32_e64 v22, v11, -v17
	v_fmac_f32_e32 v22, v16, v10
	v_pk_mul_f32 v[26:27], v[26:27], v[28:29] op_sel_hi:[1,0]
	v_xor_b32_e32 v10, 0x80000000, v47
	v_pk_fma_f32 v[22:23], v[46:47], v[22:23], v[26:27] op_sel_hi:[1,0,1] neg_lo:[1,0,0] neg_hi:[1,0,0]
	v_mov_b32_e32 v11, v46
	v_pk_mul_f32 v[26:27], v[22:23], v[20:21] op_sel:[1,1] op_sel_hi:[1,0] neg_lo:[0,1]
	v_pk_mul_f32 v[10:11], v[16:17], v[10:11] op_sel:[1,0]
	v_pk_fma_f32 v[26:27], v[20:21], v[22:23], v[26:27] op_sel_hi:[1,0,1]
	v_pk_fma_f32 v[10:11], v[46:47], v[16:17], v[10:11] op_sel_hi:[1,0,1]
	v_pk_add_f32 v[16:17], v[20:21], 0 neg_lo:[1,1] neg_hi:[1,1]
	v_pk_add_f32 v[8:9], v[8:9], v[26:27] neg_lo:[0,1] neg_hi:[0,1]
	ds_write2_b64 v7, v[8:9], v[22:23] offset1:2
	v_pk_mov_b32 v[8:9], v[20:21], v[16:17] op_sel:[1,0]
	v_pk_fma_f32 v[12:13], v[46:47], v[44:45], v[12:13] op_sel_hi:[1,0,1] neg_lo:[1,0,0] neg_hi:[1,0,0]
	v_pk_mul_f32 v[8:9], v[18:19], v[8:9] op_sel:[1,0]
	s_nop 0
	v_pk_fma_f32 v[8:9], v[20:21], v[18:19], v[8:9] op_sel_hi:[1,0,1] neg_lo:[1,0,0] neg_hi:[1,0,0]
	ds_write2_b64 v3, v[8:9], v[18:19] offset1:2
	v_xor_b32_e32 v8, 0x80000000, v13
	v_mov_b32_e32 v9, v12
	v_pk_mul_f32 v[8:9], v[24:25], v[8:9] op_sel:[1,0]
	s_nop 0
	v_pk_fma_f32 v[8:9], v[12:13], v[24:25], v[8:9] op_sel_hi:[1,0,1]
	s_nop 0
	v_pk_add_f32 v[8:9], v[14:15], v[8:9] neg_lo:[0,1] neg_hi:[0,1]
	ds_write2_b64 v45, v[12:13], v[8:9] offset0:1 offset1:3
	v_pk_add_f32 v[8:9], v[24:25], 0 neg_lo:[1,1] neg_hi:[1,1]
	s_nop 0
	v_pk_mov_b32 v[8:9], v[24:25], v[8:9] op_sel:[1,0]
	s_nop 0
	v_pk_mul_f32 v[8:9], v[10:11], v[8:9] op_sel:[1,0]
	s_nop 0
	v_pk_fma_f32 v[8:9], v[24:25], v[10:11], v[8:9] op_sel_hi:[1,0,1] neg_lo:[1,0,0] neg_hi:[1,0,0]
	ds_write2_b64 v48, v[10:11], v[8:9] offset0:1 offset1:3
.LBB233_16:
	s_or_b64 exec, exec, s[6:7]
	v_cmp_gt_u32_e32 vcc, 32, v0
	s_waitcnt lgkmcnt(0)
	s_barrier
	s_and_saveexec_b64 s[6:7], vcc
	s_cbranch_execz .LBB233_18
; %bb.17:
	v_lshlrev_b32_e32 v3, 6, v0
	v_add_u32_e32 v7, 0x1000, v3
	ds_read2_b64 v[8:11], v7 offset1:4
	v_add_u32_e32 v45, 0x800, v3
	ds_read2_b64 v[12:15], v45 offset0:3 offset1:7
	s_mov_b64 s[8:9], 0x3f800000
	v_add_u32_e32 v48, 0x1800, v3
	s_waitcnt lgkmcnt(1)
	v_xor_b32_e32 v16, 0x80000000, v11
	v_mov_b32_e32 v17, v10
	s_waitcnt lgkmcnt(0)
	v_pk_mul_f32 v[16:17], v[12:13], v[16:17] op_sel:[1,0]
	ds_read_b64 v[36:37], v3
	v_pk_fma_f32 v[16:17], v[10:11], v[12:13], v[16:17] op_sel_hi:[1,0,1]
	s_waitcnt lgkmcnt(0)
	v_xor_b32_e32 v40, 0x80000000, v37
	v_pk_add_f32 v[24:25], v[16:17], s[8:9] neg_lo:[1,0] neg_hi:[1,0]
	v_mov_b32_e32 v41, v36
	v_mul_f32_e32 v20, v25, v25
	v_fmac_f32_e32 v20, v24, v24
	v_div_scale_f32 v16, s[8:9], v20, v20, 1.0
	v_rcp_f32_e32 v21, v16
	v_fma_f32 v27, v24, 0, -v25
	v_fmac_f32_e32 v24, 0, v25
	v_mov_b32_e32 v25, v27
	v_fma_f32 v17, -v16, v21, 1.0
	v_fmac_f32_e32 v21, v17, v21
	v_div_scale_f32 v17, vcc, 1.0, v20, 1.0
	v_mul_f32_e32 v22, v17, v21
	v_fma_f32 v18, -v16, v22, v17
	v_fmac_f32_e32 v22, v18, v21
	v_fma_f32 v23, -v16, v22, v17
	v_add_u32_e32 v16, 0x2020, v3
	ds_read2_b64 v[16:19], v16 offset1:255
	v_div_fmas_f32 v21, v23, v21, v22
	v_div_fixup_f32 v26, v21, v20, 1.0
	v_pk_mul_f32 v[46:47], v[24:25], v[26:27] op_sel_hi:[1,0]
	s_waitcnt lgkmcnt(0)
	v_pk_mul_f32 v[20:21], v[16:17], v[12:13] op_sel:[1,1] op_sel_hi:[1,0] neg_lo:[0,1]
	s_nop 0
	v_pk_fma_f32 v[20:21], v[12:13], v[16:17], v[20:21] op_sel_hi:[1,0,1]
	s_nop 0
	v_pk_add_f32 v[28:29], v[18:19], v[20:21] neg_lo:[0,1] neg_hi:[0,1]
	v_pk_mul_f32 v[20:21], v[10:11], v[18:19] op_sel:[1,1] op_sel_hi:[1,0] neg_lo:[0,1]
	v_xor_b32_e32 v30, 0x80000000, v29
	v_pk_fma_f32 v[18:19], v[18:19], v[10:11], v[20:21] op_sel_hi:[1,0,1]
	v_mov_b32_e32 v31, v28
	v_pk_add_f32 v[32:33], v[16:17], v[18:19] neg_lo:[0,1] neg_hi:[0,1]
	ds_read2_b64 v[16:19], v48 offset0:3 offset1:7
	ds_read2_b64 v[20:23], v3 offset1:4
	ds_read_b64 v[38:39], v3 offset:10296
	v_pk_mul_f32 v[24:25], v[46:47], v[30:31] op_sel:[1,0]
	v_xor_b32_e32 v34, 0x80000000, v33
	v_mov_b32_e32 v35, v32
	s_waitcnt lgkmcnt(1)
	v_mul_f32_e64 v44, v23, -v13
	v_fmac_f32_e32 v44, v12, v22
	v_mul_f32_e32 v12, v23, v12
	v_fmac_f32_e32 v12, v13, v22
	v_add_u32_e32 v13, 0x1820, v3
	v_pk_fma_f32 v[28:29], v[28:29], v[46:47], v[24:25] op_sel_hi:[1,0,1]
	ds_read2_b64 v[24:27], v13 offset0:3 offset1:252
	v_pk_mul_f32 v[30:31], v[46:47], v[34:35] op_sel:[1,0]
	v_xor_b32_e32 v42, 0x80000000, v19
	v_pk_fma_f32 v[30:31], v[32:33], v[46:47], v[30:31] op_sel_hi:[1,0,1]
	v_mov_b32_e32 v43, v18
	v_pk_mul_f32 v[32:33], v[30:31], v[40:41] op_sel:[1,0]
	v_add_u32_e32 v13, 0x2000, v3
	v_pk_fma_f32 v[32:33], v[36:37], v[30:31], v[32:33] op_sel_hi:[1,0,1]
	s_waitcnt lgkmcnt(0)
	v_pk_add_f32 v[26:27], v[26:27], v[32:33] neg_lo:[0,1] neg_hi:[0,1]
	ds_write2_b64 v13, v[26:27], v[30:31] offset1:4
	v_pk_mul_f32 v[26:27], v[28:29], v[42:43] op_sel:[1,0]
	v_add_u32_e32 v13, 0x2800, v3
	v_pk_fma_f32 v[18:19], v[18:19], v[28:29], v[26:27] op_sel_hi:[1,0,1]
	s_nop 0
	v_pk_add_f32 v[18:19], v[38:39], v[18:19] neg_lo:[0,1] neg_hi:[0,1]
	ds_write2_b64 v13, v[28:29], v[18:19] offset0:3 offset1:7
	v_pk_add_f32 v[18:19], v[46:47], 0 neg_lo:[1,1] neg_hi:[1,1]
	v_mul_f32_e32 v28, v11, v16
	v_pk_mov_b32 v[26:27], v[46:47], v[18:19] op_sel:[1,0]
	v_pk_mov_b32 v[18:19], v[18:19], v[46:47] op_sel:[1,0]
	v_fmac_f32_e32 v28, v17, v10
	v_pk_mul_f32 v[18:19], v[22:23], v[18:19] op_sel:[1,0]
	v_pk_mul_f32 v[12:13], v[26:27], v[12:13] op_sel_hi:[1,0]
	v_pk_fma_f32 v[18:19], v[46:47], v[22:23], v[18:19] op_sel_hi:[1,0,1]
	v_mul_f32_e64 v22, v11, -v17
	v_fmac_f32_e32 v22, v16, v10
	v_pk_mul_f32 v[26:27], v[26:27], v[28:29] op_sel_hi:[1,0]
	v_xor_b32_e32 v10, 0x80000000, v47
	v_pk_fma_f32 v[22:23], v[46:47], v[22:23], v[26:27] op_sel_hi:[1,0,1] neg_lo:[1,0,0] neg_hi:[1,0,0]
	v_mov_b32_e32 v11, v46
	v_pk_mul_f32 v[26:27], v[22:23], v[20:21] op_sel:[1,1] op_sel_hi:[1,0] neg_lo:[0,1]
	v_pk_mul_f32 v[10:11], v[16:17], v[10:11] op_sel:[1,0]
	v_pk_fma_f32 v[26:27], v[20:21], v[22:23], v[26:27] op_sel_hi:[1,0,1]
	v_pk_fma_f32 v[10:11], v[46:47], v[16:17], v[10:11] op_sel_hi:[1,0,1]
	v_pk_add_f32 v[16:17], v[20:21], 0 neg_lo:[1,1] neg_hi:[1,1]
	v_pk_add_f32 v[8:9], v[8:9], v[26:27] neg_lo:[0,1] neg_hi:[0,1]
	ds_write2_b64 v7, v[8:9], v[22:23] offset1:4
	v_pk_mov_b32 v[8:9], v[20:21], v[16:17] op_sel:[1,0]
	v_pk_fma_f32 v[12:13], v[46:47], v[44:45], v[12:13] op_sel_hi:[1,0,1] neg_lo:[1,0,0] neg_hi:[1,0,0]
	v_pk_mul_f32 v[8:9], v[18:19], v[8:9] op_sel:[1,0]
	s_nop 0
	v_pk_fma_f32 v[8:9], v[20:21], v[18:19], v[8:9] op_sel_hi:[1,0,1] neg_lo:[1,0,0] neg_hi:[1,0,0]
	ds_write2_b64 v3, v[8:9], v[18:19] offset1:4
	v_xor_b32_e32 v8, 0x80000000, v13
	v_mov_b32_e32 v9, v12
	v_pk_mul_f32 v[8:9], v[24:25], v[8:9] op_sel:[1,0]
	s_nop 0
	v_pk_fma_f32 v[8:9], v[12:13], v[24:25], v[8:9] op_sel_hi:[1,0,1]
	s_nop 0
	v_pk_add_f32 v[8:9], v[14:15], v[8:9] neg_lo:[0,1] neg_hi:[0,1]
	ds_write2_b64 v45, v[12:13], v[8:9] offset0:3 offset1:7
	v_pk_add_f32 v[8:9], v[24:25], 0 neg_lo:[1,1] neg_hi:[1,1]
	s_nop 0
	v_pk_mov_b32 v[8:9], v[24:25], v[8:9] op_sel:[1,0]
	s_nop 0
	v_pk_mul_f32 v[8:9], v[10:11], v[8:9] op_sel:[1,0]
	s_nop 0
	v_pk_fma_f32 v[8:9], v[24:25], v[10:11], v[8:9] op_sel_hi:[1,0,1] neg_lo:[1,0,0] neg_hi:[1,0,0]
	ds_write2_b64 v48, v[10:11], v[8:9] offset0:3 offset1:7
.LBB233_18:
	s_or_b64 exec, exec, s[6:7]
	v_cmp_gt_u32_e32 vcc, 16, v0
	s_waitcnt lgkmcnt(0)
	s_barrier
	s_and_saveexec_b64 s[6:7], vcc
	s_cbranch_execz .LBB233_20
; %bb.19:
	v_lshlrev_b32_e32 v3, 7, v0
	v_add_u32_e32 v7, 0x1000, v3
	ds_read2_b64 v[8:11], v7 offset1:8
	v_add_u32_e32 v45, 0x800, v3
	ds_read2_b64 v[12:15], v45 offset0:7 offset1:15
	s_mov_b64 s[8:9], 0x3f800000
	v_add_u32_e32 v48, 0x1800, v3
	s_waitcnt lgkmcnt(1)
	v_xor_b32_e32 v16, 0x80000000, v11
	v_mov_b32_e32 v17, v10
	s_waitcnt lgkmcnt(0)
	v_pk_mul_f32 v[16:17], v[12:13], v[16:17] op_sel:[1,0]
	ds_read_b64 v[36:37], v3
	v_pk_fma_f32 v[16:17], v[10:11], v[12:13], v[16:17] op_sel_hi:[1,0,1]
	s_waitcnt lgkmcnt(0)
	v_xor_b32_e32 v40, 0x80000000, v37
	v_pk_add_f32 v[24:25], v[16:17], s[8:9] neg_lo:[1,0] neg_hi:[1,0]
	v_mov_b32_e32 v41, v36
	v_mul_f32_e32 v20, v25, v25
	v_fmac_f32_e32 v20, v24, v24
	v_div_scale_f32 v16, s[8:9], v20, v20, 1.0
	v_rcp_f32_e32 v21, v16
	v_fma_f32 v27, v24, 0, -v25
	v_fmac_f32_e32 v24, 0, v25
	v_mov_b32_e32 v25, v27
	v_fma_f32 v17, -v16, v21, 1.0
	v_fmac_f32_e32 v21, v17, v21
	v_div_scale_f32 v17, vcc, 1.0, v20, 1.0
	v_mul_f32_e32 v22, v17, v21
	v_fma_f32 v18, -v16, v22, v17
	v_fmac_f32_e32 v22, v18, v21
	v_fma_f32 v23, -v16, v22, v17
	v_add_u32_e32 v16, 0x2040, v3
	ds_read2_b64 v[16:19], v16 offset1:255
	v_div_fmas_f32 v21, v23, v21, v22
	v_div_fixup_f32 v26, v21, v20, 1.0
	v_pk_mul_f32 v[46:47], v[24:25], v[26:27] op_sel_hi:[1,0]
	s_waitcnt lgkmcnt(0)
	v_pk_mul_f32 v[20:21], v[16:17], v[12:13] op_sel:[1,1] op_sel_hi:[1,0] neg_lo:[0,1]
	s_nop 0
	v_pk_fma_f32 v[20:21], v[12:13], v[16:17], v[20:21] op_sel_hi:[1,0,1]
	s_nop 0
	v_pk_add_f32 v[28:29], v[18:19], v[20:21] neg_lo:[0,1] neg_hi:[0,1]
	v_pk_mul_f32 v[20:21], v[10:11], v[18:19] op_sel:[1,1] op_sel_hi:[1,0] neg_lo:[0,1]
	v_xor_b32_e32 v30, 0x80000000, v29
	v_pk_fma_f32 v[18:19], v[18:19], v[10:11], v[20:21] op_sel_hi:[1,0,1]
	v_mov_b32_e32 v31, v28
	v_pk_add_f32 v[32:33], v[16:17], v[18:19] neg_lo:[0,1] neg_hi:[0,1]
	ds_read2_b64 v[16:19], v48 offset0:7 offset1:15
	ds_read2_b64 v[20:23], v3 offset1:8
	ds_read_b64 v[38:39], v3 offset:10360
	v_pk_mul_f32 v[24:25], v[46:47], v[30:31] op_sel:[1,0]
	v_xor_b32_e32 v34, 0x80000000, v33
	v_mov_b32_e32 v35, v32
	s_waitcnt lgkmcnt(1)
	v_mul_f32_e64 v44, v23, -v13
	v_fmac_f32_e32 v44, v12, v22
	v_mul_f32_e32 v12, v23, v12
	v_fmac_f32_e32 v12, v13, v22
	v_add_u32_e32 v13, 0x1840, v3
	v_pk_fma_f32 v[28:29], v[28:29], v[46:47], v[24:25] op_sel_hi:[1,0,1]
	ds_read2_b64 v[24:27], v13 offset0:7 offset1:248
	v_pk_mul_f32 v[30:31], v[46:47], v[34:35] op_sel:[1,0]
	v_xor_b32_e32 v42, 0x80000000, v19
	v_pk_fma_f32 v[30:31], v[32:33], v[46:47], v[30:31] op_sel_hi:[1,0,1]
	v_mov_b32_e32 v43, v18
	v_pk_mul_f32 v[32:33], v[30:31], v[40:41] op_sel:[1,0]
	v_add_u32_e32 v13, 0x2000, v3
	v_pk_fma_f32 v[32:33], v[36:37], v[30:31], v[32:33] op_sel_hi:[1,0,1]
	s_waitcnt lgkmcnt(0)
	v_pk_add_f32 v[26:27], v[26:27], v[32:33] neg_lo:[0,1] neg_hi:[0,1]
	ds_write2_b64 v13, v[26:27], v[30:31] offset1:8
	v_pk_mul_f32 v[26:27], v[28:29], v[42:43] op_sel:[1,0]
	v_add_u32_e32 v13, 0x2800, v3
	v_pk_fma_f32 v[18:19], v[18:19], v[28:29], v[26:27] op_sel_hi:[1,0,1]
	s_nop 0
	v_pk_add_f32 v[18:19], v[38:39], v[18:19] neg_lo:[0,1] neg_hi:[0,1]
	ds_write2_b64 v13, v[28:29], v[18:19] offset0:7 offset1:15
	v_pk_add_f32 v[18:19], v[46:47], 0 neg_lo:[1,1] neg_hi:[1,1]
	v_mul_f32_e32 v28, v11, v16
	v_pk_mov_b32 v[26:27], v[46:47], v[18:19] op_sel:[1,0]
	v_pk_mov_b32 v[18:19], v[18:19], v[46:47] op_sel:[1,0]
	v_fmac_f32_e32 v28, v17, v10
	v_pk_mul_f32 v[18:19], v[22:23], v[18:19] op_sel:[1,0]
	v_pk_mul_f32 v[12:13], v[26:27], v[12:13] op_sel_hi:[1,0]
	v_pk_fma_f32 v[18:19], v[46:47], v[22:23], v[18:19] op_sel_hi:[1,0,1]
	v_mul_f32_e64 v22, v11, -v17
	v_fmac_f32_e32 v22, v16, v10
	v_pk_mul_f32 v[26:27], v[26:27], v[28:29] op_sel_hi:[1,0]
	v_xor_b32_e32 v10, 0x80000000, v47
	v_pk_fma_f32 v[22:23], v[46:47], v[22:23], v[26:27] op_sel_hi:[1,0,1] neg_lo:[1,0,0] neg_hi:[1,0,0]
	v_mov_b32_e32 v11, v46
	v_pk_mul_f32 v[26:27], v[22:23], v[20:21] op_sel:[1,1] op_sel_hi:[1,0] neg_lo:[0,1]
	v_pk_mul_f32 v[10:11], v[16:17], v[10:11] op_sel:[1,0]
	v_pk_fma_f32 v[26:27], v[20:21], v[22:23], v[26:27] op_sel_hi:[1,0,1]
	v_pk_fma_f32 v[10:11], v[46:47], v[16:17], v[10:11] op_sel_hi:[1,0,1]
	v_pk_add_f32 v[16:17], v[20:21], 0 neg_lo:[1,1] neg_hi:[1,1]
	v_pk_add_f32 v[8:9], v[8:9], v[26:27] neg_lo:[0,1] neg_hi:[0,1]
	ds_write2_b64 v7, v[8:9], v[22:23] offset1:8
	v_pk_mov_b32 v[8:9], v[20:21], v[16:17] op_sel:[1,0]
	v_pk_fma_f32 v[12:13], v[46:47], v[44:45], v[12:13] op_sel_hi:[1,0,1] neg_lo:[1,0,0] neg_hi:[1,0,0]
	v_pk_mul_f32 v[8:9], v[18:19], v[8:9] op_sel:[1,0]
	s_nop 0
	v_pk_fma_f32 v[8:9], v[20:21], v[18:19], v[8:9] op_sel_hi:[1,0,1] neg_lo:[1,0,0] neg_hi:[1,0,0]
	ds_write2_b64 v3, v[8:9], v[18:19] offset1:8
	v_xor_b32_e32 v8, 0x80000000, v13
	v_mov_b32_e32 v9, v12
	v_pk_mul_f32 v[8:9], v[24:25], v[8:9] op_sel:[1,0]
	s_nop 0
	v_pk_fma_f32 v[8:9], v[12:13], v[24:25], v[8:9] op_sel_hi:[1,0,1]
	s_nop 0
	v_pk_add_f32 v[8:9], v[14:15], v[8:9] neg_lo:[0,1] neg_hi:[0,1]
	ds_write2_b64 v45, v[12:13], v[8:9] offset0:7 offset1:15
	v_pk_add_f32 v[8:9], v[24:25], 0 neg_lo:[1,1] neg_hi:[1,1]
	s_nop 0
	v_pk_mov_b32 v[8:9], v[24:25], v[8:9] op_sel:[1,0]
	s_nop 0
	v_pk_mul_f32 v[8:9], v[10:11], v[8:9] op_sel:[1,0]
	s_nop 0
	v_pk_fma_f32 v[8:9], v[24:25], v[10:11], v[8:9] op_sel_hi:[1,0,1] neg_lo:[1,0,0] neg_hi:[1,0,0]
	ds_write2_b64 v48, v[10:11], v[8:9] offset0:7 offset1:15
.LBB233_20:
	s_or_b64 exec, exec, s[6:7]
	v_cmp_gt_u32_e32 vcc, 8, v0
	s_waitcnt lgkmcnt(0)
	s_barrier
	s_and_saveexec_b64 s[6:7], vcc
	s_cbranch_execz .LBB233_22
; %bb.21:
	v_lshlrev_b32_e32 v3, 8, v0
	v_add_u32_e32 v7, 0x1000, v3
	ds_read2_b64 v[8:11], v7 offset1:16
	v_add_u32_e32 v45, 0x800, v3
	ds_read2_b64 v[12:15], v45 offset0:15 offset1:31
	s_mov_b64 s[8:9], 0x3f800000
	v_add_u32_e32 v48, 0x1800, v3
	s_waitcnt lgkmcnt(1)
	v_xor_b32_e32 v16, 0x80000000, v11
	v_mov_b32_e32 v17, v10
	s_waitcnt lgkmcnt(0)
	v_pk_mul_f32 v[16:17], v[12:13], v[16:17] op_sel:[1,0]
	ds_read_b64 v[36:37], v3
	v_pk_fma_f32 v[16:17], v[10:11], v[12:13], v[16:17] op_sel_hi:[1,0,1]
	s_waitcnt lgkmcnt(0)
	v_xor_b32_e32 v40, 0x80000000, v37
	v_pk_add_f32 v[24:25], v[16:17], s[8:9] neg_lo:[1,0] neg_hi:[1,0]
	v_mov_b32_e32 v41, v36
	v_mul_f32_e32 v20, v25, v25
	v_fmac_f32_e32 v20, v24, v24
	v_div_scale_f32 v16, s[8:9], v20, v20, 1.0
	v_rcp_f32_e32 v21, v16
	v_fma_f32 v27, v24, 0, -v25
	v_fmac_f32_e32 v24, 0, v25
	v_mov_b32_e32 v25, v27
	v_fma_f32 v17, -v16, v21, 1.0
	v_fmac_f32_e32 v21, v17, v21
	v_div_scale_f32 v17, vcc, 1.0, v20, 1.0
	v_mul_f32_e32 v22, v17, v21
	v_fma_f32 v18, -v16, v22, v17
	v_fmac_f32_e32 v22, v18, v21
	v_fma_f32 v23, -v16, v22, v17
	v_add_u32_e32 v16, 0x2080, v3
	ds_read2_b64 v[16:19], v16 offset1:255
	v_div_fmas_f32 v21, v23, v21, v22
	v_div_fixup_f32 v26, v21, v20, 1.0
	v_pk_mul_f32 v[46:47], v[24:25], v[26:27] op_sel_hi:[1,0]
	s_waitcnt lgkmcnt(0)
	v_pk_mul_f32 v[20:21], v[16:17], v[12:13] op_sel:[1,1] op_sel_hi:[1,0] neg_lo:[0,1]
	s_nop 0
	v_pk_fma_f32 v[20:21], v[12:13], v[16:17], v[20:21] op_sel_hi:[1,0,1]
	s_nop 0
	v_pk_add_f32 v[28:29], v[18:19], v[20:21] neg_lo:[0,1] neg_hi:[0,1]
	v_pk_mul_f32 v[20:21], v[10:11], v[18:19] op_sel:[1,1] op_sel_hi:[1,0] neg_lo:[0,1]
	v_xor_b32_e32 v30, 0x80000000, v29
	v_pk_fma_f32 v[18:19], v[18:19], v[10:11], v[20:21] op_sel_hi:[1,0,1]
	v_mov_b32_e32 v31, v28
	v_pk_add_f32 v[32:33], v[16:17], v[18:19] neg_lo:[0,1] neg_hi:[0,1]
	ds_read2_b64 v[16:19], v48 offset0:15 offset1:31
	ds_read2_b64 v[20:23], v3 offset1:16
	ds_read_b64 v[38:39], v3 offset:10488
	v_pk_mul_f32 v[24:25], v[46:47], v[30:31] op_sel:[1,0]
	v_xor_b32_e32 v34, 0x80000000, v33
	v_mov_b32_e32 v35, v32
	s_waitcnt lgkmcnt(1)
	v_mul_f32_e64 v44, v23, -v13
	v_fmac_f32_e32 v44, v12, v22
	v_mul_f32_e32 v12, v23, v12
	v_fmac_f32_e32 v12, v13, v22
	v_add_u32_e32 v13, 0x1880, v3
	v_pk_fma_f32 v[28:29], v[28:29], v[46:47], v[24:25] op_sel_hi:[1,0,1]
	ds_read2_b64 v[24:27], v13 offset0:15 offset1:240
	v_pk_mul_f32 v[30:31], v[46:47], v[34:35] op_sel:[1,0]
	v_xor_b32_e32 v42, 0x80000000, v19
	v_pk_fma_f32 v[30:31], v[32:33], v[46:47], v[30:31] op_sel_hi:[1,0,1]
	v_mov_b32_e32 v43, v18
	v_pk_mul_f32 v[32:33], v[30:31], v[40:41] op_sel:[1,0]
	v_add_u32_e32 v13, 0x2000, v3
	v_pk_fma_f32 v[32:33], v[36:37], v[30:31], v[32:33] op_sel_hi:[1,0,1]
	s_waitcnt lgkmcnt(0)
	v_pk_add_f32 v[26:27], v[26:27], v[32:33] neg_lo:[0,1] neg_hi:[0,1]
	ds_write2_b64 v13, v[26:27], v[30:31] offset1:16
	v_pk_mul_f32 v[26:27], v[28:29], v[42:43] op_sel:[1,0]
	v_add_u32_e32 v13, 0x2800, v3
	v_pk_fma_f32 v[18:19], v[18:19], v[28:29], v[26:27] op_sel_hi:[1,0,1]
	s_nop 0
	v_pk_add_f32 v[18:19], v[38:39], v[18:19] neg_lo:[0,1] neg_hi:[0,1]
	ds_write2_b64 v13, v[28:29], v[18:19] offset0:15 offset1:31
	v_pk_add_f32 v[18:19], v[46:47], 0 neg_lo:[1,1] neg_hi:[1,1]
	v_mul_f32_e32 v28, v11, v16
	v_pk_mov_b32 v[26:27], v[46:47], v[18:19] op_sel:[1,0]
	v_pk_mov_b32 v[18:19], v[18:19], v[46:47] op_sel:[1,0]
	v_fmac_f32_e32 v28, v17, v10
	v_pk_mul_f32 v[18:19], v[22:23], v[18:19] op_sel:[1,0]
	v_pk_mul_f32 v[12:13], v[26:27], v[12:13] op_sel_hi:[1,0]
	v_pk_fma_f32 v[18:19], v[46:47], v[22:23], v[18:19] op_sel_hi:[1,0,1]
	v_mul_f32_e64 v22, v11, -v17
	v_fmac_f32_e32 v22, v16, v10
	v_pk_mul_f32 v[26:27], v[26:27], v[28:29] op_sel_hi:[1,0]
	v_xor_b32_e32 v10, 0x80000000, v47
	v_pk_fma_f32 v[22:23], v[46:47], v[22:23], v[26:27] op_sel_hi:[1,0,1] neg_lo:[1,0,0] neg_hi:[1,0,0]
	v_mov_b32_e32 v11, v46
	v_pk_mul_f32 v[26:27], v[22:23], v[20:21] op_sel:[1,1] op_sel_hi:[1,0] neg_lo:[0,1]
	v_pk_mul_f32 v[10:11], v[16:17], v[10:11] op_sel:[1,0]
	v_pk_fma_f32 v[26:27], v[20:21], v[22:23], v[26:27] op_sel_hi:[1,0,1]
	v_pk_fma_f32 v[10:11], v[46:47], v[16:17], v[10:11] op_sel_hi:[1,0,1]
	v_pk_add_f32 v[16:17], v[20:21], 0 neg_lo:[1,1] neg_hi:[1,1]
	v_pk_add_f32 v[8:9], v[8:9], v[26:27] neg_lo:[0,1] neg_hi:[0,1]
	ds_write2_b64 v7, v[8:9], v[22:23] offset1:16
	v_pk_mov_b32 v[8:9], v[20:21], v[16:17] op_sel:[1,0]
	v_pk_fma_f32 v[12:13], v[46:47], v[44:45], v[12:13] op_sel_hi:[1,0,1] neg_lo:[1,0,0] neg_hi:[1,0,0]
	v_pk_mul_f32 v[8:9], v[18:19], v[8:9] op_sel:[1,0]
	s_nop 0
	v_pk_fma_f32 v[8:9], v[20:21], v[18:19], v[8:9] op_sel_hi:[1,0,1] neg_lo:[1,0,0] neg_hi:[1,0,0]
	ds_write2_b64 v3, v[8:9], v[18:19] offset1:16
	v_xor_b32_e32 v8, 0x80000000, v13
	v_mov_b32_e32 v9, v12
	v_pk_mul_f32 v[8:9], v[24:25], v[8:9] op_sel:[1,0]
	s_nop 0
	v_pk_fma_f32 v[8:9], v[12:13], v[24:25], v[8:9] op_sel_hi:[1,0,1]
	s_nop 0
	v_pk_add_f32 v[8:9], v[14:15], v[8:9] neg_lo:[0,1] neg_hi:[0,1]
	ds_write2_b64 v45, v[12:13], v[8:9] offset0:15 offset1:31
	v_pk_add_f32 v[8:9], v[24:25], 0 neg_lo:[1,1] neg_hi:[1,1]
	s_nop 0
	v_pk_mov_b32 v[8:9], v[24:25], v[8:9] op_sel:[1,0]
	s_nop 0
	v_pk_mul_f32 v[8:9], v[10:11], v[8:9] op_sel:[1,0]
	s_nop 0
	v_pk_fma_f32 v[8:9], v[24:25], v[10:11], v[8:9] op_sel_hi:[1,0,1] neg_lo:[1,0,0] neg_hi:[1,0,0]
	ds_write2_b64 v48, v[10:11], v[8:9] offset0:15 offset1:31
.LBB233_22:
	s_or_b64 exec, exec, s[6:7]
	v_cmp_gt_u32_e32 vcc, 4, v0
	s_waitcnt lgkmcnt(0)
	s_barrier
	s_and_saveexec_b64 s[6:7], vcc
	s_cbranch_execz .LBB233_24
; %bb.23:
	v_lshlrev_b32_e32 v3, 9, v0
	v_add_u32_e32 v7, 0x1000, v3
	ds_read2_b64 v[8:11], v7 offset1:32
	v_add_u32_e32 v45, 0x800, v3
	ds_read2_b64 v[12:15], v45 offset0:31 offset1:63
	s_mov_b64 s[8:9], 0x3f800000
	v_add_u32_e32 v48, 0x1800, v3
	s_waitcnt lgkmcnt(1)
	v_xor_b32_e32 v16, 0x80000000, v11
	v_mov_b32_e32 v17, v10
	s_waitcnt lgkmcnt(0)
	v_pk_mul_f32 v[16:17], v[12:13], v[16:17] op_sel:[1,0]
	ds_read_b64 v[36:37], v3
	v_pk_fma_f32 v[16:17], v[10:11], v[12:13], v[16:17] op_sel_hi:[1,0,1]
	s_waitcnt lgkmcnt(0)
	v_xor_b32_e32 v40, 0x80000000, v37
	v_pk_add_f32 v[24:25], v[16:17], s[8:9] neg_lo:[1,0] neg_hi:[1,0]
	v_mov_b32_e32 v41, v36
	v_mul_f32_e32 v20, v25, v25
	v_fmac_f32_e32 v20, v24, v24
	v_div_scale_f32 v16, s[8:9], v20, v20, 1.0
	v_rcp_f32_e32 v21, v16
	v_fma_f32 v27, v24, 0, -v25
	v_fmac_f32_e32 v24, 0, v25
	v_mov_b32_e32 v25, v27
	v_fma_f32 v17, -v16, v21, 1.0
	v_fmac_f32_e32 v21, v17, v21
	v_div_scale_f32 v17, vcc, 1.0, v20, 1.0
	v_mul_f32_e32 v22, v17, v21
	v_fma_f32 v18, -v16, v22, v17
	v_fmac_f32_e32 v22, v18, v21
	v_fma_f32 v23, -v16, v22, v17
	v_add_u32_e32 v16, 0x2100, v3
	ds_read2_b64 v[16:19], v16 offset1:255
	v_div_fmas_f32 v21, v23, v21, v22
	v_div_fixup_f32 v26, v21, v20, 1.0
	v_pk_mul_f32 v[46:47], v[24:25], v[26:27] op_sel_hi:[1,0]
	s_waitcnt lgkmcnt(0)
	v_pk_mul_f32 v[20:21], v[16:17], v[12:13] op_sel:[1,1] op_sel_hi:[1,0] neg_lo:[0,1]
	s_nop 0
	v_pk_fma_f32 v[20:21], v[12:13], v[16:17], v[20:21] op_sel_hi:[1,0,1]
	s_nop 0
	v_pk_add_f32 v[28:29], v[18:19], v[20:21] neg_lo:[0,1] neg_hi:[0,1]
	v_pk_mul_f32 v[20:21], v[10:11], v[18:19] op_sel:[1,1] op_sel_hi:[1,0] neg_lo:[0,1]
	v_xor_b32_e32 v30, 0x80000000, v29
	v_pk_fma_f32 v[18:19], v[18:19], v[10:11], v[20:21] op_sel_hi:[1,0,1]
	v_mov_b32_e32 v31, v28
	v_pk_add_f32 v[32:33], v[16:17], v[18:19] neg_lo:[0,1] neg_hi:[0,1]
	ds_read2_b64 v[16:19], v48 offset0:31 offset1:63
	ds_read2_b64 v[20:23], v3 offset1:32
	ds_read_b64 v[38:39], v3 offset:10744
	v_pk_mul_f32 v[24:25], v[46:47], v[30:31] op_sel:[1,0]
	v_xor_b32_e32 v34, 0x80000000, v33
	v_mov_b32_e32 v35, v32
	s_waitcnt lgkmcnt(1)
	v_mul_f32_e64 v44, v23, -v13
	v_fmac_f32_e32 v44, v12, v22
	v_mul_f32_e32 v12, v23, v12
	v_fmac_f32_e32 v12, v13, v22
	v_add_u32_e32 v13, 0x1900, v3
	v_pk_fma_f32 v[28:29], v[28:29], v[46:47], v[24:25] op_sel_hi:[1,0,1]
	ds_read2_b64 v[24:27], v13 offset0:31 offset1:224
	v_pk_mul_f32 v[30:31], v[46:47], v[34:35] op_sel:[1,0]
	v_xor_b32_e32 v42, 0x80000000, v19
	v_pk_fma_f32 v[30:31], v[32:33], v[46:47], v[30:31] op_sel_hi:[1,0,1]
	v_mov_b32_e32 v43, v18
	v_pk_mul_f32 v[32:33], v[30:31], v[40:41] op_sel:[1,0]
	v_add_u32_e32 v13, 0x2000, v3
	v_pk_fma_f32 v[32:33], v[36:37], v[30:31], v[32:33] op_sel_hi:[1,0,1]
	s_waitcnt lgkmcnt(0)
	v_pk_add_f32 v[26:27], v[26:27], v[32:33] neg_lo:[0,1] neg_hi:[0,1]
	ds_write2_b64 v13, v[26:27], v[30:31] offset1:32
	v_pk_mul_f32 v[26:27], v[28:29], v[42:43] op_sel:[1,0]
	v_add_u32_e32 v13, 0x2800, v3
	v_pk_fma_f32 v[18:19], v[18:19], v[28:29], v[26:27] op_sel_hi:[1,0,1]
	s_nop 0
	v_pk_add_f32 v[18:19], v[38:39], v[18:19] neg_lo:[0,1] neg_hi:[0,1]
	ds_write2_b64 v13, v[28:29], v[18:19] offset0:31 offset1:63
	v_pk_add_f32 v[18:19], v[46:47], 0 neg_lo:[1,1] neg_hi:[1,1]
	v_mul_f32_e32 v28, v11, v16
	v_pk_mov_b32 v[26:27], v[46:47], v[18:19] op_sel:[1,0]
	v_pk_mov_b32 v[18:19], v[18:19], v[46:47] op_sel:[1,0]
	v_fmac_f32_e32 v28, v17, v10
	v_pk_mul_f32 v[18:19], v[22:23], v[18:19] op_sel:[1,0]
	v_pk_mul_f32 v[12:13], v[26:27], v[12:13] op_sel_hi:[1,0]
	v_pk_fma_f32 v[18:19], v[46:47], v[22:23], v[18:19] op_sel_hi:[1,0,1]
	v_mul_f32_e64 v22, v11, -v17
	v_fmac_f32_e32 v22, v16, v10
	v_pk_mul_f32 v[26:27], v[26:27], v[28:29] op_sel_hi:[1,0]
	v_xor_b32_e32 v10, 0x80000000, v47
	v_pk_fma_f32 v[22:23], v[46:47], v[22:23], v[26:27] op_sel_hi:[1,0,1] neg_lo:[1,0,0] neg_hi:[1,0,0]
	v_mov_b32_e32 v11, v46
	v_pk_mul_f32 v[26:27], v[22:23], v[20:21] op_sel:[1,1] op_sel_hi:[1,0] neg_lo:[0,1]
	v_pk_mul_f32 v[10:11], v[16:17], v[10:11] op_sel:[1,0]
	v_pk_fma_f32 v[26:27], v[20:21], v[22:23], v[26:27] op_sel_hi:[1,0,1]
	v_pk_fma_f32 v[10:11], v[46:47], v[16:17], v[10:11] op_sel_hi:[1,0,1]
	v_pk_add_f32 v[16:17], v[20:21], 0 neg_lo:[1,1] neg_hi:[1,1]
	v_pk_add_f32 v[8:9], v[8:9], v[26:27] neg_lo:[0,1] neg_hi:[0,1]
	ds_write2_b64 v7, v[8:9], v[22:23] offset1:32
	v_pk_mov_b32 v[8:9], v[20:21], v[16:17] op_sel:[1,0]
	v_pk_fma_f32 v[12:13], v[46:47], v[44:45], v[12:13] op_sel_hi:[1,0,1] neg_lo:[1,0,0] neg_hi:[1,0,0]
	v_pk_mul_f32 v[8:9], v[18:19], v[8:9] op_sel:[1,0]
	s_nop 0
	v_pk_fma_f32 v[8:9], v[20:21], v[18:19], v[8:9] op_sel_hi:[1,0,1] neg_lo:[1,0,0] neg_hi:[1,0,0]
	ds_write2_b64 v3, v[8:9], v[18:19] offset1:32
	v_xor_b32_e32 v8, 0x80000000, v13
	v_mov_b32_e32 v9, v12
	v_pk_mul_f32 v[8:9], v[24:25], v[8:9] op_sel:[1,0]
	s_nop 0
	v_pk_fma_f32 v[8:9], v[12:13], v[24:25], v[8:9] op_sel_hi:[1,0,1]
	s_nop 0
	v_pk_add_f32 v[8:9], v[14:15], v[8:9] neg_lo:[0,1] neg_hi:[0,1]
	ds_write2_b64 v45, v[12:13], v[8:9] offset0:31 offset1:63
	v_pk_add_f32 v[8:9], v[24:25], 0 neg_lo:[1,1] neg_hi:[1,1]
	s_nop 0
	v_pk_mov_b32 v[8:9], v[24:25], v[8:9] op_sel:[1,0]
	s_nop 0
	v_pk_mul_f32 v[8:9], v[10:11], v[8:9] op_sel:[1,0]
	s_nop 0
	v_pk_fma_f32 v[8:9], v[24:25], v[10:11], v[8:9] op_sel_hi:[1,0,1] neg_lo:[1,0,0] neg_hi:[1,0,0]
	ds_write2_b64 v48, v[10:11], v[8:9] offset0:31 offset1:63
.LBB233_24:
	s_or_b64 exec, exec, s[6:7]
	v_cmp_gt_u32_e32 vcc, 2, v0
	s_waitcnt lgkmcnt(0)
	s_barrier
	s_and_saveexec_b64 s[6:7], vcc
	s_cbranch_execz .LBB233_26
; %bb.25:
	v_lshlrev_b32_e32 v3, 10, v0
	ds_read2st64_b64 v[8:11], v3 offset0:8 offset1:9
	v_add_u32_e32 v7, 0x1f8, v3
	ds_read2st64_b64 v[12:15], v7 offset0:4 offset1:5
	ds_read_b64 v[28:29], v3 offset:11256
	s_mov_b64 s[8:9], 0x3f800000
	ds_read2st64_b64 v[16:19], v7 offset0:12 offset1:13
	s_waitcnt lgkmcnt(3)
	v_xor_b32_e32 v20, 0x80000000, v11
	v_mov_b32_e32 v21, v10
	s_waitcnt lgkmcnt(2)
	v_pk_mul_f32 v[20:21], v[12:13], v[20:21] op_sel:[1,0]
	s_waitcnt lgkmcnt(0)
	v_xor_b32_e32 v42, 0x80000000, v19
	v_pk_fma_f32 v[20:21], v[10:11], v[12:13], v[20:21] op_sel_hi:[1,0,1]
	v_mov_b32_e32 v43, v18
	v_pk_add_f32 v[24:25], v[20:21], s[8:9] neg_lo:[1,0] neg_hi:[1,0]
	s_nop 0
	v_mul_f32_e32 v26, v25, v25
	v_fmac_f32_e32 v26, v24, v24
	v_div_scale_f32 v20, s[8:9], v26, v26, 1.0
	v_rcp_f32_e32 v27, v20
	s_nop 0
	v_fma_f32 v21, -v20, v27, 1.0
	v_fmac_f32_e32 v27, v21, v27
	v_div_scale_f32 v21, vcc, 1.0, v26, 1.0
	v_mul_f32_e32 v30, v21, v27
	v_fma_f32 v22, -v20, v30, v21
	v_fmac_f32_e32 v30, v22, v27
	v_fma_f32 v31, -v20, v30, v21
	v_add_u32_e32 v20, 0x2200, v3
	ds_read2_b64 v[20:23], v20 offset1:255
	v_div_fmas_f32 v27, v31, v27, v30
	v_div_fixup_f32 v26, v27, v26, 1.0
	v_fma_f32 v27, v24, 0, -v25
	v_fmac_f32_e32 v24, 0, v25
	s_waitcnt lgkmcnt(0)
	v_pk_mul_f32 v[30:31], v[20:21], v[12:13] op_sel:[1,1] op_sel_hi:[1,0] neg_lo:[0,1]
	v_pk_mul_f32 v[34:35], v[10:11], v[22:23] op_sel:[1,1] op_sel_hi:[1,0] neg_lo:[0,1]
	v_pk_fma_f32 v[30:31], v[12:13], v[20:21], v[30:31] op_sel_hi:[1,0,1]
	v_mov_b32_e32 v25, v27
	v_pk_add_f32 v[30:31], v[22:23], v[30:31] neg_lo:[0,1] neg_hi:[0,1]
	v_pk_fma_f32 v[22:23], v[22:23], v[10:11], v[34:35] op_sel_hi:[1,0,1]
	ds_read_b64 v[34:35], v3
	v_pk_add_f32 v[36:37], v[20:21], v[22:23] neg_lo:[0,1] neg_hi:[0,1]
	ds_read2st64_b64 v[20:23], v3 offset1:1
	v_xor_b32_e32 v32, 0x80000000, v31
	v_mov_b32_e32 v33, v30
	v_pk_mul_f32 v[46:47], v[24:25], v[26:27] op_sel_hi:[1,0]
	v_xor_b32_e32 v38, 0x80000000, v37
	s_waitcnt lgkmcnt(0)
	v_mul_f32_e64 v44, v23, -v13
	v_fmac_f32_e32 v44, v12, v22
	v_mul_f32_e32 v12, v23, v12
	v_fmac_f32_e32 v12, v13, v22
	v_pk_mul_f32 v[24:25], v[46:47], v[32:33] op_sel:[1,0]
	v_add_u32_e32 v13, 0x1a00, v3
	v_mov_b32_e32 v39, v36
	v_pk_fma_f32 v[30:31], v[30:31], v[46:47], v[24:25] op_sel_hi:[1,0,1]
	ds_read2_b64 v[24:27], v13 offset0:63 offset1:192
	v_pk_mul_f32 v[32:33], v[46:47], v[38:39] op_sel:[1,0]
	v_xor_b32_e32 v40, 0x80000000, v35
	v_mov_b32_e32 v41, v34
	v_pk_fma_f32 v[32:33], v[36:37], v[46:47], v[32:33] op_sel_hi:[1,0,1]
	s_nop 0
	v_pk_mul_f32 v[36:37], v[32:33], v[40:41] op_sel:[1,0]
	s_nop 0
	v_pk_fma_f32 v[34:35], v[34:35], v[32:33], v[36:37] op_sel_hi:[1,0,1]
	s_waitcnt lgkmcnt(0)
	v_pk_add_f32 v[26:27], v[26:27], v[34:35] neg_lo:[0,1] neg_hi:[0,1]
	ds_write2st64_b64 v3, v[26:27], v[32:33] offset0:16 offset1:17
	v_pk_mul_f32 v[26:27], v[30:31], v[42:43] op_sel:[1,0]
	s_nop 0
	v_pk_fma_f32 v[18:19], v[18:19], v[30:31], v[26:27] op_sel_hi:[1,0,1]
	s_nop 0
	v_pk_add_f32 v[18:19], v[28:29], v[18:19] neg_lo:[0,1] neg_hi:[0,1]
	ds_write2st64_b64 v7, v[30:31], v[18:19] offset0:20 offset1:21
	v_pk_add_f32 v[18:19], v[46:47], 0 neg_lo:[1,1] neg_hi:[1,1]
	v_mul_f32_e32 v28, v11, v16
	v_pk_mov_b32 v[26:27], v[46:47], v[18:19] op_sel:[1,0]
	v_pk_mov_b32 v[18:19], v[18:19], v[46:47] op_sel:[1,0]
	v_fmac_f32_e32 v28, v17, v10
	v_pk_mul_f32 v[18:19], v[22:23], v[18:19] op_sel:[1,0]
	v_pk_mul_f32 v[12:13], v[26:27], v[12:13] op_sel_hi:[1,0]
	v_pk_fma_f32 v[18:19], v[46:47], v[22:23], v[18:19] op_sel_hi:[1,0,1]
	v_mul_f32_e64 v22, v11, -v17
	v_fmac_f32_e32 v22, v16, v10
	v_pk_mul_f32 v[26:27], v[26:27], v[28:29] op_sel_hi:[1,0]
	v_xor_b32_e32 v10, 0x80000000, v47
	v_pk_fma_f32 v[22:23], v[46:47], v[22:23], v[26:27] op_sel_hi:[1,0,1] neg_lo:[1,0,0] neg_hi:[1,0,0]
	v_mov_b32_e32 v11, v46
	v_pk_mul_f32 v[26:27], v[22:23], v[20:21] op_sel:[1,1] op_sel_hi:[1,0] neg_lo:[0,1]
	v_pk_mul_f32 v[10:11], v[16:17], v[10:11] op_sel:[1,0]
	v_pk_fma_f32 v[26:27], v[20:21], v[22:23], v[26:27] op_sel_hi:[1,0,1]
	v_pk_fma_f32 v[10:11], v[46:47], v[16:17], v[10:11] op_sel_hi:[1,0,1]
	v_pk_add_f32 v[16:17], v[20:21], 0 neg_lo:[1,1] neg_hi:[1,1]
	v_pk_add_f32 v[8:9], v[8:9], v[26:27] neg_lo:[0,1] neg_hi:[0,1]
	ds_write2st64_b64 v3, v[8:9], v[22:23] offset0:8 offset1:9
	v_pk_mov_b32 v[8:9], v[20:21], v[16:17] op_sel:[1,0]
	v_pk_fma_f32 v[12:13], v[46:47], v[44:45], v[12:13] op_sel_hi:[1,0,1] neg_lo:[1,0,0] neg_hi:[1,0,0]
	v_pk_mul_f32 v[8:9], v[18:19], v[8:9] op_sel:[1,0]
	s_nop 0
	v_pk_fma_f32 v[8:9], v[20:21], v[18:19], v[8:9] op_sel_hi:[1,0,1] neg_lo:[1,0,0] neg_hi:[1,0,0]
	ds_write2st64_b64 v3, v[8:9], v[18:19] offset1:1
	v_xor_b32_e32 v8, 0x80000000, v13
	v_mov_b32_e32 v9, v12
	v_pk_mul_f32 v[8:9], v[24:25], v[8:9] op_sel:[1,0]
	s_nop 0
	v_pk_fma_f32 v[8:9], v[12:13], v[24:25], v[8:9] op_sel_hi:[1,0,1]
	s_nop 0
	v_pk_add_f32 v[8:9], v[14:15], v[8:9] neg_lo:[0,1] neg_hi:[0,1]
	ds_write2st64_b64 v7, v[12:13], v[8:9] offset0:4 offset1:5
	v_pk_add_f32 v[8:9], v[24:25], 0 neg_lo:[1,1] neg_hi:[1,1]
	s_nop 0
	v_pk_mov_b32 v[8:9], v[24:25], v[8:9] op_sel:[1,0]
	s_nop 0
	v_pk_mul_f32 v[8:9], v[10:11], v[8:9] op_sel:[1,0]
	s_nop 0
	v_pk_fma_f32 v[8:9], v[24:25], v[10:11], v[8:9] op_sel_hi:[1,0,1] neg_lo:[1,0,0] neg_hi:[1,0,0]
	ds_write2st64_b64 v7, v[10:11], v[8:9] offset0:12 offset1:13
.LBB233_26:
	s_or_b64 exec, exec, s[6:7]
	s_mov_b32 s11, 0
	v_cmp_eq_u32_e64 s[6:7], 0, v0
	s_waitcnt lgkmcnt(0)
	s_barrier
	s_and_saveexec_b64 s[8:9], s[6:7]
	s_cbranch_execz .LBB233_28
; %bb.27:
	v_mov_b32_e32 v3, 0
	s_movk_i32 s10, 0x1f8
	ds_read2st64_b64 v[8:11], v3 offset0:8 offset1:10
	v_add_u32_e64 v7, s10, 0
	ds_read2st64_b64 v[12:15], v7 offset0:5 offset1:7
	s_mov_b32 s10, 1.0
	s_waitcnt lgkmcnt(1)
	v_xor_b32_e32 v16, 0x80000000, v11
	v_mov_b32_e32 v17, v10
	s_waitcnt lgkmcnt(0)
	v_pk_mul_f32 v[16:17], v[12:13], v[16:17] op_sel:[1,0]
	s_nop 0
	v_pk_fma_f32 v[16:17], v[10:11], v[12:13], v[16:17] op_sel_hi:[1,0,1]
	s_nop 0
	v_pk_add_f32 v[26:27], v[16:17], s[10:11] neg_lo:[1,0] neg_hi:[1,0]
	s_nop 0
	v_mul_f32_e32 v0, v27, v27
	v_fmac_f32_e32 v0, v26, v26
	v_div_scale_f32 v16, s[10:11], v0, v0, 1.0
	v_rcp_f32_e32 v20, v16
	s_movk_i32 s10, 0x2400
	v_add_u32_e64 v39, s10, 0
	v_fma_f32 v40, v26, 0, -v27
	v_fma_f32 v17, -v16, v20, 1.0
	v_fmac_f32_e32 v20, v17, v20
	v_div_scale_f32 v17, vcc, 1.0, v0, 1.0
	v_mul_f32_e32 v21, v17, v20
	v_fma_f32 v18, -v16, v21, v17
	v_fmac_f32_e32 v21, v18, v20
	v_fma_f32 v22, -v16, v21, v17
	ds_read2_b64 v[16:19], v39 offset1:255
	v_div_fmas_f32 v20, v22, v20, v21
	v_div_fixup_f32 v0, v20, v0, 1.0
	v_fmac_f32_e32 v26, 0, v27
	v_mov_b32_e32 v27, v40
	s_waitcnt lgkmcnt(0)
	v_pk_mul_f32 v[20:21], v[16:17], v[12:13] op_sel:[1,1] op_sel_hi:[1,0] neg_lo:[0,1]
	v_pk_mul_f32 v[40:41], v[26:27], v[0:1] op_sel_hi:[1,0]
	v_pk_fma_f32 v[20:21], v[12:13], v[16:17], v[20:21] op_sel_hi:[1,0,1]
	s_movk_i32 s10, 0x1400
	v_pk_add_f32 v[28:29], v[18:19], v[20:21] neg_lo:[0,1] neg_hi:[0,1]
	v_pk_mul_f32 v[20:21], v[10:11], v[18:19] op_sel:[1,1] op_sel_hi:[1,0] neg_lo:[0,1]
	v_xor_b32_e32 v30, 0x80000000, v29
	v_pk_fma_f32 v[22:23], v[18:19], v[10:11], v[20:21] op_sel_hi:[1,0,1]
	ds_read2st64_b64 v[18:21], v3 offset1:2
	v_mov_b32_e32 v31, v28
	v_pk_add_f32 v[16:17], v[16:17], v[22:23] neg_lo:[0,1] neg_hi:[0,1]
	v_pk_mul_f32 v[26:27], v[40:41], v[30:31] op_sel:[1,0]
	v_xor_b32_e32 v32, 0x80000000, v17
	v_mov_b32_e32 v33, v16
	ds_read2st64_b64 v[22:25], v7 offset0:13 offset1:15
	v_pk_fma_f32 v[30:31], v[28:29], v[40:41], v[26:27] op_sel_hi:[1,0,1]
	v_pk_mul_f32 v[26:27], v[40:41], v[32:33] op_sel:[1,0]
	v_mov_b32_e32 v7, 0x1ff8
	v_pk_fma_f32 v[16:17], v[16:17], v[40:41], v[26:27] op_sel_hi:[1,0,1]
	ds_read2_b64 v[26:29], v7 offset1:1
	s_waitcnt lgkmcnt(2)
	v_xor_b32_e32 v34, 0x80000000, v19
	v_mov_b32_e32 v35, v18
	v_pk_mul_f32 v[32:33], v[16:17], v[34:35] op_sel:[1,0]
	ds_read_b64 v[34:35], v3 offset:12280
	s_waitcnt lgkmcnt(2)
	v_xor_b32_e32 v36, 0x80000000, v25
	v_mov_b32_e32 v37, v24
	ds_write2_b64 v39, v[16:17], v[30:31] offset1:255
	v_pk_fma_f32 v[16:17], v[18:19], v[16:17], v[32:33] op_sel_hi:[1,0,1]
	v_mul_f32_e64 v38, v21, -v13
	s_waitcnt lgkmcnt(2)
	v_pk_add_f32 v[16:17], v[28:29], v[16:17] neg_lo:[0,1] neg_hi:[0,1]
	v_pk_mul_f32 v[28:29], v[30:31], v[36:37] op_sel:[1,0]
	v_fmac_f32_e32 v38, v12, v20
	v_pk_fma_f32 v[24:25], v[24:25], v[30:31], v[28:29] op_sel_hi:[1,0,1]
	v_mul_f32_e32 v12, v21, v12
	s_waitcnt lgkmcnt(1)
	v_pk_add_f32 v[24:25], v[34:35], v[24:25] neg_lo:[0,1] neg_hi:[0,1]
	ds_write_b64 v3, v[24:25] offset:12280
	v_xor_b32_e32 v24, 0x80000000, v41
	v_mov_b32_e32 v25, v40
	v_pk_mul_f32 v[30:31], v[20:21], v[24:25] op_sel:[1,0]
	v_fmac_f32_e32 v12, v13, v20
	v_pk_fma_f32 v[20:21], v[40:41], v[20:21], v[30:31] op_sel_hi:[1,0,1]
	v_mul_f32_e32 v30, v11, v22
	v_xor_b32_e32 v29, 0x80000000, v40
	v_mov_b32_e32 v28, v41
	v_mul_f32_e64 v0, v11, -v23
	v_fmac_f32_e32 v30, v23, v10
	v_fmac_f32_e32 v0, v22, v10
	v_pk_mul_f32 v[10:11], v[28:29], v[30:31] op_sel_hi:[1,0]
	v_pk_mul_f32 v[24:25], v[22:23], v[24:25] op_sel:[1,0]
	v_pk_fma_f32 v[10:11], v[40:41], v[0:1], v[10:11] op_sel_hi:[1,0,1] neg_lo:[1,0,0] neg_hi:[1,0,0]
	v_pk_mul_f32 v[12:13], v[28:29], v[12:13] op_sel_hi:[1,0]
	v_pk_fma_f32 v[22:23], v[40:41], v[22:23], v[24:25] op_sel_hi:[1,0,1]
	v_add_u32_e64 v0, s10, 0
	v_pk_mul_f32 v[28:29], v[10:11], v[18:19] op_sel:[1,1] op_sel_hi:[1,0] neg_lo:[0,1]
	ds_write2_b64 v0, v[10:11], v[22:23] offset1:255
	v_xor_b32_e32 v25, 0x80000000, v18
	v_pk_fma_f32 v[10:11], v[18:19], v[10:11], v[28:29] op_sel_hi:[1,0,1]
	v_mov_b32_e32 v24, v19
	v_pk_add_f32 v[8:9], v[8:9], v[10:11] neg_lo:[0,1] neg_hi:[0,1]
	v_pk_mul_f32 v[10:11], v[20:21], v[24:25] op_sel:[1,0]
	v_pk_fma_f32 v[12:13], v[40:41], v[38:39], v[12:13] op_sel_hi:[1,0,1] neg_lo:[1,0,0] neg_hi:[1,0,0]
	v_pk_fma_f32 v[10:11], v[18:19], v[20:21], v[10:11] op_sel_hi:[1,0,1] neg_lo:[1,0,0] neg_hi:[1,0,0]
	ds_write2st64_b64 v3, v[10:11], v[20:21] offset1:2
	v_xor_b32_e32 v10, 0x80000000, v13
	v_mov_b32_e32 v11, v12
	v_pk_mul_f32 v[10:11], v[26:27], v[10:11] op_sel:[1,0]
	v_mov_b32_e32 v0, 0xff8
	v_pk_fma_f32 v[10:11], v[12:13], v[26:27], v[10:11] op_sel_hi:[1,0,1]
	ds_write_b64 v3, v[12:13] offset:3064
	v_pk_add_f32 v[10:11], v[14:15], v[10:11] neg_lo:[0,1] neg_hi:[0,1]
	ds_write2_b64 v0, v[10:11], v[8:9] offset1:1
	v_xor_b32_e32 v9, 0x80000000, v26
	v_mov_b32_e32 v8, v27
	v_pk_mul_f32 v[8:9], v[22:23], v[8:9] op_sel:[1,0]
	s_nop 0
	v_pk_fma_f32 v[8:9], v[26:27], v[22:23], v[8:9] op_sel_hi:[1,0,1] neg_lo:[1,0,0] neg_hi:[1,0,0]
	ds_write2_b64 v7, v[8:9], v[16:17] offset1:1
.LBB233_28:
	s_or_b64 exec, exec, s[8:9]
	s_load_dwordx2 s[14:15], s[0:1], 0x48
	s_load_dwordx4 s[8:11], s[0:1], 0x38
	s_waitcnt lgkmcnt(0)
	s_barrier
	s_and_saveexec_b64 s[16:17], s[4:5]
	s_cbranch_execnz .LBB233_31
; %bb.29:
	s_or_b64 exec, exec, s[16:17]
	s_and_saveexec_b64 s[4:5], s[6:7]
	s_cbranch_execnz .LBB233_35
.LBB233_30:
	s_endpgm
.LBB233_31:
	s_cmp_eq_u32 s3, 0
	s_cbranch_scc1 .LBB233_39
; %bb.32:
	s_mul_i32 s18, s18, 31
	s_cbranch_execnz .LBB233_34
.LBB233_33:
	s_load_dwordx4 s[20:23], s[0:1], 0x28
	ds_read2st64_b64 v[6:9], v6 offset1:4
	v_ashrrev_i32_e32 v3, 31, v2
	v_lshlrev_b64 v[12:13], 3, v[2:3]
	v_add_u32_e32 v10, s19, v2
	s_waitcnt lgkmcnt(0)
	v_lshl_add_u64 v[2:3], s[20:21], 0, v[12:13]
	global_store_dwordx2 v[2:3], v[6:7], off
	ds_read2st64_b64 v[0:3], v1 offset1:4
	v_mov_b32_e32 v11, 0
	v_lshlrev_b64 v[6:7], 3, v[10:11]
	v_lshl_add_u64 v[10:11], s[20:21], 0, v[6:7]
	global_store_dwordx2 v[10:11], v[8:9], off
	v_lshl_add_u64 v[8:9], s[22:23], 0, v[12:13]
	s_waitcnt lgkmcnt(0)
	global_store_dwordx2 v[8:9], v[0:1], off
	v_lshl_add_u64 v[0:1], s[22:23], 0, v[6:7]
	s_mov_b32 s18, s19
	global_store_dwordx2 v[0:1], v[2:3], off
.LBB233_34:
	ds_read2st64_b64 v[0:3], v5 offset1:4
	v_ashrrev_i32_e32 v5, 31, v4
	v_add_u32_e32 v6, s18, v4
	v_mov_b32_e32 v7, 0
	v_lshl_add_u64 v[4:5], v[4:5], 3, s[12:13]
	s_waitcnt lgkmcnt(0)
	global_store_dwordx2 v[4:5], v[0:1], off
	v_lshl_add_u64 v[0:1], v[6:7], 3, s[12:13]
	global_store_dwordx2 v[0:1], v[2:3], off
	s_or_b64 exec, exec, s[16:17]
	s_and_saveexec_b64 s[4:5], s[6:7]
	s_cbranch_execz .LBB233_30
.LBB233_35:
	s_cmp_eq_u32 s3, 0
	s_cbranch_scc1 .LBB233_40
; %bb.36:
	s_load_dword s6, s[0:1], 0x50
	s_cbranch_execnz .LBB233_38
.LBB233_37:
	s_waitcnt lgkmcnt(0)
	s_load_dword s6, s[0:1], 0x50
	v_mov_b32_e32 v0, 0xff8
	s_mov_b32 s4, s3
	s_ashr_i32 s3, s2, 31
	ds_read2_b64 v[6:9], v0 offset1:1
	s_lshl_b64 s[12:13], s[2:3], 3
	v_mov_b32_e32 v4, 0
	s_mov_b32 s3, s4
	s_add_u32 s4, s10, s12
	ds_read_b64 v[2:3], v4 offset:8184
	s_addc_u32 s5, s11, s13
	s_waitcnt lgkmcnt(0)
	s_add_i32 s0, s6, s2
	s_mov_b32 s1, 0
	s_lshl_b64 s[0:1], s[0:1], 3
	global_store_dwordx2 v4, v[8:9], s[4:5]
	s_add_u32 s4, s10, s0
	ds_read_b64 v[0:1], v4
	s_addc_u32 s5, s11, s1
	global_store_dwordx2 v4, v[2:3], s[4:5]
	s_add_u32 s4, s14, s12
	s_addc_u32 s5, s15, s13
	s_add_u32 s0, s14, s0
	s_addc_u32 s1, s15, s1
	s_waitcnt lgkmcnt(0)
	global_store_dwordx2 v4, v[0:1], s[4:5]
	global_store_dwordx2 v4, v[6:7], s[0:1]
.LBB233_38:
	s_waitcnt lgkmcnt(0)
	s_mul_i32 s0, s6, s3
	s_lshl_b32 s0, s0, 1
	s_add_i32 s0, s0, s2
	s_mov_b32 s1, 0
	v_mov_b32_e32 v4, 0
	s_lshl_b64 s[2:3], s[0:1], 3
	ds_read_b64 v[0:1], v4 offset:8192
	ds_read_b64 v[2:3], v4 offset:12280
	s_add_u32 s2, s8, s2
	s_addc_u32 s3, s9, s3
	s_add_i32 s0, s0, s6
	s_lshl_b64 s[0:1], s[0:1], 3
	s_add_u32 s0, s8, s0
	s_addc_u32 s1, s9, s1
	s_waitcnt lgkmcnt(1)
	global_store_dwordx2 v4, v[0:1], s[2:3]
	s_waitcnt lgkmcnt(0)
	global_store_dwordx2 v4, v[2:3], s[0:1]
	s_endpgm
.LBB233_39:
                                        ; implicit-def: $sgpr18
	s_branch .LBB233_33
.LBB233_40:
                                        ; implicit-def: $sgpr6
	s_branch .LBB233_37
	.section	.rodata,"a",@progbits
	.p2align	6, 0x0
	.amdhsa_kernel _ZN9rocsparseL29gtsv_spike_block_level_kernelILj256ELj32E21rocsparse_complex_numIfEEEviiiPT1_PKS3_S6_S4_S4_S4_S4_S4_
		.amdhsa_group_segment_fixed_size 12288
		.amdhsa_private_segment_fixed_size 0
		.amdhsa_kernarg_size 336
		.amdhsa_user_sgpr_count 2
		.amdhsa_user_sgpr_dispatch_ptr 0
		.amdhsa_user_sgpr_queue_ptr 0
		.amdhsa_user_sgpr_kernarg_segment_ptr 1
		.amdhsa_user_sgpr_dispatch_id 0
		.amdhsa_user_sgpr_kernarg_preload_length 0
		.amdhsa_user_sgpr_kernarg_preload_offset 0
		.amdhsa_user_sgpr_private_segment_size 0
		.amdhsa_uses_dynamic_stack 0
		.amdhsa_enable_private_segment 0
		.amdhsa_system_sgpr_workgroup_id_x 1
		.amdhsa_system_sgpr_workgroup_id_y 1
		.amdhsa_system_sgpr_workgroup_id_z 0
		.amdhsa_system_sgpr_workgroup_info 0
		.amdhsa_system_vgpr_workitem_id 0
		.amdhsa_next_free_vgpr 50
		.amdhsa_next_free_sgpr 24
		.amdhsa_accum_offset 52
		.amdhsa_reserve_vcc 1
		.amdhsa_float_round_mode_32 0
		.amdhsa_float_round_mode_16_64 0
		.amdhsa_float_denorm_mode_32 3
		.amdhsa_float_denorm_mode_16_64 3
		.amdhsa_dx10_clamp 1
		.amdhsa_ieee_mode 1
		.amdhsa_fp16_overflow 0
		.amdhsa_tg_split 0
		.amdhsa_exception_fp_ieee_invalid_op 0
		.amdhsa_exception_fp_denorm_src 0
		.amdhsa_exception_fp_ieee_div_zero 0
		.amdhsa_exception_fp_ieee_overflow 0
		.amdhsa_exception_fp_ieee_underflow 0
		.amdhsa_exception_fp_ieee_inexact 0
		.amdhsa_exception_int_div_zero 0
	.end_amdhsa_kernel
	.section	.text._ZN9rocsparseL29gtsv_spike_block_level_kernelILj256ELj32E21rocsparse_complex_numIfEEEviiiPT1_PKS3_S6_S4_S4_S4_S4_S4_,"axG",@progbits,_ZN9rocsparseL29gtsv_spike_block_level_kernelILj256ELj32E21rocsparse_complex_numIfEEEviiiPT1_PKS3_S6_S4_S4_S4_S4_S4_,comdat
.Lfunc_end233:
	.size	_ZN9rocsparseL29gtsv_spike_block_level_kernelILj256ELj32E21rocsparse_complex_numIfEEEviiiPT1_PKS3_S6_S4_S4_S4_S4_S4_, .Lfunc_end233-_ZN9rocsparseL29gtsv_spike_block_level_kernelILj256ELj32E21rocsparse_complex_numIfEEEviiiPT1_PKS3_S6_S4_S4_S4_S4_S4_
                                        ; -- End function
	.set _ZN9rocsparseL29gtsv_spike_block_level_kernelILj256ELj32E21rocsparse_complex_numIfEEEviiiPT1_PKS3_S6_S4_S4_S4_S4_S4_.num_vgpr, 50
	.set _ZN9rocsparseL29gtsv_spike_block_level_kernelILj256ELj32E21rocsparse_complex_numIfEEEviiiPT1_PKS3_S6_S4_S4_S4_S4_S4_.num_agpr, 0
	.set _ZN9rocsparseL29gtsv_spike_block_level_kernelILj256ELj32E21rocsparse_complex_numIfEEEviiiPT1_PKS3_S6_S4_S4_S4_S4_S4_.numbered_sgpr, 24
	.set _ZN9rocsparseL29gtsv_spike_block_level_kernelILj256ELj32E21rocsparse_complex_numIfEEEviiiPT1_PKS3_S6_S4_S4_S4_S4_S4_.num_named_barrier, 0
	.set _ZN9rocsparseL29gtsv_spike_block_level_kernelILj256ELj32E21rocsparse_complex_numIfEEEviiiPT1_PKS3_S6_S4_S4_S4_S4_S4_.private_seg_size, 0
	.set _ZN9rocsparseL29gtsv_spike_block_level_kernelILj256ELj32E21rocsparse_complex_numIfEEEviiiPT1_PKS3_S6_S4_S4_S4_S4_S4_.uses_vcc, 1
	.set _ZN9rocsparseL29gtsv_spike_block_level_kernelILj256ELj32E21rocsparse_complex_numIfEEEviiiPT1_PKS3_S6_S4_S4_S4_S4_S4_.uses_flat_scratch, 0
	.set _ZN9rocsparseL29gtsv_spike_block_level_kernelILj256ELj32E21rocsparse_complex_numIfEEEviiiPT1_PKS3_S6_S4_S4_S4_S4_S4_.has_dyn_sized_stack, 0
	.set _ZN9rocsparseL29gtsv_spike_block_level_kernelILj256ELj32E21rocsparse_complex_numIfEEEviiiPT1_PKS3_S6_S4_S4_S4_S4_S4_.has_recursion, 0
	.set _ZN9rocsparseL29gtsv_spike_block_level_kernelILj256ELj32E21rocsparse_complex_numIfEEEviiiPT1_PKS3_S6_S4_S4_S4_S4_S4_.has_indirect_call, 0
	.section	.AMDGPU.csdata,"",@progbits
; Kernel info:
; codeLenInByte = 7624
; TotalNumSgprs: 30
; NumVgprs: 50
; NumAgprs: 0
; TotalNumVgprs: 50
; ScratchSize: 0
; MemoryBound: 0
; FloatMode: 240
; IeeeMode: 1
; LDSByteSize: 12288 bytes/workgroup (compile time only)
; SGPRBlocks: 3
; VGPRBlocks: 6
; NumSGPRsForWavesPerEU: 30
; NumVGPRsForWavesPerEU: 50
; AccumOffset: 52
; Occupancy: 8
; WaveLimiterHint : 0
; COMPUTE_PGM_RSRC2:SCRATCH_EN: 0
; COMPUTE_PGM_RSRC2:USER_SGPR: 2
; COMPUTE_PGM_RSRC2:TRAP_HANDLER: 0
; COMPUTE_PGM_RSRC2:TGID_X_EN: 1
; COMPUTE_PGM_RSRC2:TGID_Y_EN: 1
; COMPUTE_PGM_RSRC2:TGID_Z_EN: 0
; COMPUTE_PGM_RSRC2:TIDIG_COMP_CNT: 0
; COMPUTE_PGM_RSRC3_GFX90A:ACCUM_OFFSET: 12
; COMPUTE_PGM_RSRC3_GFX90A:TG_SPLIT: 0
	.section	.text._ZN9rocsparseL33gtsv_solve_spike_propagate_kernelILj256ELj32E21rocsparse_complex_numIfEEEviiiPT1_PKS3_S6_S6_,"axG",@progbits,_ZN9rocsparseL33gtsv_solve_spike_propagate_kernelILj256ELj32E21rocsparse_complex_numIfEEEviiiPT1_PKS3_S6_S6_,comdat
	.globl	_ZN9rocsparseL33gtsv_solve_spike_propagate_kernelILj256ELj32E21rocsparse_complex_numIfEEEviiiPT1_PKS3_S6_S6_ ; -- Begin function _ZN9rocsparseL33gtsv_solve_spike_propagate_kernelILj256ELj32E21rocsparse_complex_numIfEEEviiiPT1_PKS3_S6_S6_
	.p2align	8
	.type	_ZN9rocsparseL33gtsv_solve_spike_propagate_kernelILj256ELj32E21rocsparse_complex_numIfEEEviiiPT1_PKS3_S6_S6_,@function
_ZN9rocsparseL33gtsv_solve_spike_propagate_kernelILj256ELj32E21rocsparse_complex_numIfEEEviiiPT1_PKS3_S6_S6_: ; @_ZN9rocsparseL33gtsv_solve_spike_propagate_kernelILj256ELj32E21rocsparse_complex_numIfEEEviiiPT1_PKS3_S6_S6_
; %bb.0:
	s_load_dword s8, s[0:1], 0x0
	v_lshl_or_b32 v2, s2, 8, v0
	v_lshlrev_b32_e32 v1, 3, v0
	s_waitcnt lgkmcnt(0)
	s_lshr_b32 s14, s8, 5
	v_cmp_gt_i32_e32 vcc, s14, v2
	v_cmp_le_i32_e64 s[4:5], s14, v2
	s_and_saveexec_b64 s[6:7], s[4:5]
	s_xor_b64 s[6:7], exec, s[6:7]
; %bb.1:
	v_mov_b32_e32 v4, 0
	v_mov_b32_e32 v5, v4
	ds_write_b64 v1, v[4:5] offset:8208
; %bb.2:
	s_or_saveexec_b64 s[6:7], s[6:7]
	v_mov_b32_e32 v4, 0
	v_ashrrev_i32_e32 v3, 31, v2
	v_mov_b32_e32 v5, 0
	s_xor_b64 exec, exec, s[6:7]
	s_cbranch_execz .LBB234_4
; %bb.3:
	s_load_dwordx2 s[10:11], s[0:1], 0x18
	v_mad_u64_u32 v[4:5], s[12:13], s14, 31, v[2:3]
	v_mov_b32_e32 v5, 0
	s_waitcnt lgkmcnt(0)
	v_lshl_add_u64 v[6:7], v[2:3], 3, s[10:11]
	v_lshl_add_u64 v[8:9], v[4:5], 3, s[10:11]
	global_load_dwordx2 v[10:11], v[6:7], off
	global_load_dwordx2 v[4:5], v[8:9], off
	s_waitcnt vmcnt(1)
	ds_write_b64 v1, v[10:11] offset:8208
.LBB234_4:
	s_or_b64 exec, exec, s[6:7]
	s_load_dwordx2 s[6:7], s[0:1], 0x10
	s_waitcnt vmcnt(0)
	ds_write_b64 v1, v[4:5] offset:10256
	s_and_saveexec_b64 s[10:11], s[4:5]
	s_xor_b64 s[4:5], exec, s[10:11]
; %bb.5:
	s_mov_b32 s10, 0
	s_mov_b32 s11, s10
	v_mov_b64_e32 v[4:5], s[10:11]
	v_add_u32_e32 v3, 16, v1
	ds_write2st64_b64 v3, v[4:5], v[4:5] offset0:8 offset1:12
; %bb.6:
	s_or_saveexec_b64 s[4:5], s[4:5]
	v_mov_b32_e32 v4, 0
	s_mul_i32 s8, s8, s3
	v_mov_b32_e32 v6, 0
	v_mov_b32_e32 v7, 0
	s_xor_b64 exec, exec, s[4:5]
	s_cbranch_execz .LBB234_8
; %bb.7:
	s_load_dwordx2 s[10:11], s[0:1], 0x20
	v_mad_u64_u32 v[6:7], s[12:13], s14, 31, v[2:3]
	v_mov_b32_e32 v7, 0
	s_waitcnt lgkmcnt(0)
	v_lshl_add_u64 v[10:11], v[6:7], 3, s[10:11]
	v_add_u32_e32 v6, s8, v6
	v_lshl_add_u64 v[8:9], v[2:3], 3, s[10:11]
	v_lshl_add_u64 v[6:7], v[6:7], 3, s[6:7]
	global_load_dwordx2 v[12:13], v[8:9], off
	global_load_dwordx2 v[14:15], v[10:11], off
	v_add_u32_e32 v3, 16, v1
	global_load_dwordx2 v[6:7], v[6:7], off
	s_waitcnt vmcnt(1)
	ds_write2st64_b64 v3, v[12:13], v[14:15] offset0:8 offset1:12
.LBB234_8:
	s_or_b64 exec, exec, s[4:5]
	v_add_u32_e32 v2, s8, v2
	v_mov_b32_e32 v5, 0
	s_waitcnt vmcnt(0)
	ds_write_b64 v1, v[6:7] offset:8
	s_and_saveexec_b64 s[4:5], vcc
	s_cbranch_execz .LBB234_10
; %bb.9:
	v_ashrrev_i32_e32 v3, 31, v2
	s_waitcnt lgkmcnt(0)
	v_lshl_add_u64 v[4:5], v[2:3], 3, s[6:7]
	global_load_dwordx2 v[4:5], v[4:5], off
.LBB234_10:
	s_or_b64 exec, exec, s[4:5]
	s_mov_b32 s12, 0
	v_cmp_eq_u32_e64 s[4:5], 0, v0
	s_waitcnt vmcnt(0)
	ds_write_b64 v1, v[4:5] offset:2056
	s_waitcnt lgkmcnt(0)
	s_barrier
	s_and_saveexec_b64 s[8:9], s[4:5]
	s_cbranch_execz .LBB234_16
; %bb.11:
	s_load_dword s15, s[0:1], 0x30
	s_load_dwordx2 s[10:11], s[0:1], 0x28
	s_cmp_lt_i32 s2, 1
	s_mov_b32 s13, 0
	s_waitcnt lgkmcnt(0)
	s_mul_i32 s3, s3, s15
	s_cbranch_scc1 .LBB234_13
; %bb.12:
	s_lshl_b32 s0, s3, 1
	s_add_i32 s1, s2, s15
	s_add_i32 s0, s1, s0
	s_add_i32 s0, s0, -1
	s_mov_b32 s1, 0
	s_lshl_b64 s[0:1], s[0:1], 3
	s_add_u32 s0, s10, s0
	s_addc_u32 s1, s11, s1
	s_load_dwordx2 s[12:13], s[0:1], 0x0
.LBB234_13:
	s_add_i32 s0, s15, -1
	s_waitcnt lgkmcnt(0)
	v_mov_b32_e32 v4, s12
	v_mov_b32_e32 v5, s13
	;; [unrolled: 1-line block ×3, first 2 shown]
	s_mov_b32 s1, 0
	s_cmp_ge_u32 s2, s0
	s_mov_b32 s12, 0
	s_mov_b32 s13, 0
	ds_write_b64 v3, v[4:5]
	s_cbranch_scc1 .LBB234_15
; %bb.14:
	s_lshl_b32 s0, s3, 1
	s_add_i32 s0, s2, s0
	s_add_i32 s12, s0, 1
	s_lshl_b64 s[12:13], s[12:13], 3
	s_add_u32 s16, s10, s12
	s_addc_u32 s17, s11, s13
	s_load_dwordx2 s[12:13], s[16:17], 0x0
.LBB234_15:
	s_lshl_b32 s0, s3, 1
	s_add_i32 s0, s0, s2
	s_lshl_b64 s[2:3], s[0:1], 3
	s_add_u32 s2, s10, s2
	s_addc_u32 s3, s11, s3
	s_add_i32 s0, s0, s15
	s_lshl_b64 s[0:1], s[0:1], 3
	s_add_u32 s0, s10, s0
	s_addc_u32 s1, s11, s1
	s_load_dwordx2 s[10:11], s[0:1], 0x0
	s_load_dwordx2 s[16:17], s[2:3], 0x0
	s_waitcnt lgkmcnt(0)
	v_mov_b32_e32 v4, s12
	v_mov_b32_e32 v5, s13
	ds_write_b64 v3, v[4:5] offset:4104
	v_mov_b32_e32 v4, s10
	v_mov_b32_e32 v5, s11
	;; [unrolled: 1-line block ×4, first 2 shown]
	ds_write_b128 v3, v[4:7] offset:2048
.LBB234_16:
	s_or_b64 exec, exec, s[8:9]
	s_waitcnt lgkmcnt(0)
	s_barrier
	s_and_saveexec_b64 s[0:1], s[4:5]
	s_cbranch_execz .LBB234_18
; %bb.17:
	s_movk_i32 s2, 0x1410
	v_add_u32_e64 v3, s2, 0
	ds_read2_b64 v[4:7], v3 offset1:255
	v_add_u32_e64 v8, 8, 0
	s_movk_i32 s2, 0x2410
	v_mov_b32_e32 v3, 0
	ds_read2st64_b64 v[8:11], v8 offset0:6 offset1:8
	ds_read2st64_b64 v[12:15], v3 offset1:2
	v_add_u32_e64 v16, s2, 0
	ds_read2_b64 v[16:19], v16 offset1:255
	s_waitcnt lgkmcnt(3)
	v_xor_b32_e32 v20, 0x80000000, v7
	v_mov_b32_e32 v21, v6
	s_waitcnt lgkmcnt(2)
	v_pk_mul_f32 v[20:21], v[10:11], v[20:21] op_sel:[1,0]
	s_nop 0
	v_pk_fma_f32 v[6:7], v[6:7], v[10:11], v[20:21] op_sel_hi:[1,0,1]
	s_waitcnt lgkmcnt(1)
	v_pk_add_f32 v[6:7], v[14:15], v[6:7] neg_lo:[0,1] neg_hi:[0,1]
	s_waitcnt lgkmcnt(0)
	v_xor_b32_e32 v14, 0x80000000, v19
	v_mov_b32_e32 v15, v18
	v_pk_mul_f32 v[14:15], v[12:13], v[14:15] op_sel:[1,0]
	s_nop 0
	v_pk_fma_f32 v[14:15], v[18:19], v[12:13], v[14:15] op_sel_hi:[1,0,1]
	s_nop 0
	v_pk_add_f32 v[6:7], v[6:7], v[14:15] neg_lo:[0,1] neg_hi:[0,1]
	ds_write_b64 v3, v[6:7] offset:1024
	v_xor_b32_e32 v6, 0x80000000, v5
	v_mov_b32_e32 v7, v4
	v_pk_mul_f32 v[6:7], v[10:11], v[6:7] op_sel:[1,0]
	s_nop 0
	v_pk_fma_f32 v[4:5], v[4:5], v[10:11], v[6:7] op_sel_hi:[1,0,1]
	v_xor_b32_e32 v6, 0x80000000, v17
	v_mov_b32_e32 v7, v16
	v_pk_mul_f32 v[6:7], v[12:13], v[6:7] op_sel:[1,0]
	v_pk_add_f32 v[4:5], v[8:9], v[4:5] neg_lo:[0,1] neg_hi:[0,1]
	v_pk_fma_f32 v[6:7], v[16:17], v[12:13], v[6:7] op_sel_hi:[1,0,1]
	s_nop 0
	v_pk_add_f32 v[4:5], v[4:5], v[6:7] neg_lo:[0,1] neg_hi:[0,1]
	ds_write_b64 v3, v[4:5] offset:3080
.LBB234_18:
	s_or_b64 exec, exec, s[0:1]
	v_cmp_gt_u32_e64 s[0:1], 2, v0
	s_waitcnt lgkmcnt(0)
	s_barrier
	s_and_saveexec_b64 s[2:3], s[0:1]
	s_cbranch_execz .LBB234_20
; %bb.19:
	v_lshlrev_b32_e32 v3, 10, v0
	v_add_u32_e32 v4, 0x1210, v3
	ds_read2_b64 v[4:7], v4 offset1:255
	v_add_u32_e32 v12, 8, v3
	ds_read2st64_b64 v[8:11], v3 offset1:1
	ds_read2st64_b64 v[12:15], v12 offset0:5 offset1:6
	v_add_u32_e32 v16, 0x2210, v3
	ds_read2_b64 v[16:19], v16 offset1:255
	s_waitcnt lgkmcnt(3)
	v_xor_b32_e32 v20, 0x80000000, v7
	v_mov_b32_e32 v21, v6
	s_waitcnt lgkmcnt(1)
	v_pk_mul_f32 v[20:21], v[14:15], v[20:21] op_sel:[1,0]
	s_nop 0
	v_pk_fma_f32 v[6:7], v[6:7], v[14:15], v[20:21] op_sel_hi:[1,0,1]
	s_nop 0
	v_pk_add_f32 v[6:7], v[10:11], v[6:7] neg_lo:[0,1] neg_hi:[0,1]
	s_waitcnt lgkmcnt(0)
	v_xor_b32_e32 v10, 0x80000000, v19
	v_mov_b32_e32 v11, v18
	v_pk_mul_f32 v[10:11], v[8:9], v[10:11] op_sel:[1,0]
	s_nop 0
	v_pk_fma_f32 v[10:11], v[18:19], v[8:9], v[10:11] op_sel_hi:[1,0,1]
	s_nop 0
	v_pk_add_f32 v[6:7], v[6:7], v[10:11] neg_lo:[0,1] neg_hi:[0,1]
	ds_write_b64 v3, v[6:7] offset:512
	v_xor_b32_e32 v6, 0x80000000, v5
	v_mov_b32_e32 v7, v4
	v_pk_mul_f32 v[6:7], v[14:15], v[6:7] op_sel:[1,0]
	s_nop 0
	v_pk_fma_f32 v[4:5], v[4:5], v[14:15], v[6:7] op_sel_hi:[1,0,1]
	v_xor_b32_e32 v6, 0x80000000, v17
	v_mov_b32_e32 v7, v16
	v_pk_mul_f32 v[6:7], v[8:9], v[6:7] op_sel:[1,0]
	v_pk_add_f32 v[4:5], v[12:13], v[4:5] neg_lo:[0,1] neg_hi:[0,1]
	v_pk_fma_f32 v[6:7], v[16:17], v[8:9], v[6:7] op_sel_hi:[1,0,1]
	s_nop 0
	v_pk_add_f32 v[4:5], v[4:5], v[6:7] neg_lo:[0,1] neg_hi:[0,1]
	ds_write_b64 v3, v[4:5] offset:2568
.LBB234_20:
	s_or_b64 exec, exec, s[2:3]
	v_cmp_gt_u32_e64 s[0:1], 4, v0
	s_waitcnt lgkmcnt(0)
	s_barrier
	s_and_saveexec_b64 s[2:3], s[0:1]
	s_cbranch_execz .LBB234_22
; %bb.21:
	v_lshlrev_b32_e32 v3, 9, v0
	v_add_u32_e32 v4, 0x1110, v3
	ds_read2_b64 v[4:7], v4 offset1:255
	v_add_u32_e32 v12, 0x800, v3
	ds_read2_b64 v[8:11], v3 offset1:32
	ds_read2_b64 v[12:15], v12 offset0:33 offset1:65
	v_add_u32_e32 v16, 0x2110, v3
	ds_read2_b64 v[16:19], v16 offset1:255
	s_waitcnt lgkmcnt(3)
	v_xor_b32_e32 v20, 0x80000000, v7
	v_mov_b32_e32 v21, v6
	s_waitcnt lgkmcnt(1)
	v_pk_mul_f32 v[20:21], v[14:15], v[20:21] op_sel:[1,0]
	s_nop 0
	v_pk_fma_f32 v[6:7], v[6:7], v[14:15], v[20:21] op_sel_hi:[1,0,1]
	s_nop 0
	v_pk_add_f32 v[6:7], v[10:11], v[6:7] neg_lo:[0,1] neg_hi:[0,1]
	s_waitcnt lgkmcnt(0)
	v_xor_b32_e32 v10, 0x80000000, v19
	v_mov_b32_e32 v11, v18
	v_pk_mul_f32 v[10:11], v[8:9], v[10:11] op_sel:[1,0]
	s_nop 0
	v_pk_fma_f32 v[10:11], v[18:19], v[8:9], v[10:11] op_sel_hi:[1,0,1]
	s_nop 0
	v_pk_add_f32 v[6:7], v[6:7], v[10:11] neg_lo:[0,1] neg_hi:[0,1]
	ds_write_b64 v3, v[6:7] offset:256
	v_xor_b32_e32 v6, 0x80000000, v5
	v_mov_b32_e32 v7, v4
	v_pk_mul_f32 v[6:7], v[14:15], v[6:7] op_sel:[1,0]
	s_nop 0
	v_pk_fma_f32 v[4:5], v[4:5], v[14:15], v[6:7] op_sel_hi:[1,0,1]
	v_xor_b32_e32 v6, 0x80000000, v17
	v_mov_b32_e32 v7, v16
	v_pk_mul_f32 v[6:7], v[8:9], v[6:7] op_sel:[1,0]
	v_pk_add_f32 v[4:5], v[12:13], v[4:5] neg_lo:[0,1] neg_hi:[0,1]
	v_pk_fma_f32 v[6:7], v[16:17], v[8:9], v[6:7] op_sel_hi:[1,0,1]
	s_nop 0
	v_pk_add_f32 v[4:5], v[4:5], v[6:7] neg_lo:[0,1] neg_hi:[0,1]
	ds_write_b64 v3, v[4:5] offset:2312
.LBB234_22:
	s_or_b64 exec, exec, s[2:3]
	v_cmp_gt_u32_e64 s[0:1], 8, v0
	s_waitcnt lgkmcnt(0)
	s_barrier
	s_and_saveexec_b64 s[2:3], s[0:1]
	s_cbranch_execz .LBB234_24
; %bb.23:
	v_lshlrev_b32_e32 v3, 8, v0
	v_add_u32_e32 v4, 0x1090, v3
	ds_read2_b64 v[4:7], v4 offset1:255
	v_add_u32_e32 v12, 0x800, v3
	ds_read2_b64 v[8:11], v3 offset1:16
	ds_read2_b64 v[12:15], v12 offset0:17 offset1:33
	v_add_u32_e32 v16, 0x2090, v3
	ds_read2_b64 v[16:19], v16 offset1:255
	s_waitcnt lgkmcnt(3)
	v_xor_b32_e32 v20, 0x80000000, v7
	v_mov_b32_e32 v21, v6
	s_waitcnt lgkmcnt(1)
	v_pk_mul_f32 v[20:21], v[14:15], v[20:21] op_sel:[1,0]
	s_nop 0
	v_pk_fma_f32 v[6:7], v[6:7], v[14:15], v[20:21] op_sel_hi:[1,0,1]
	s_nop 0
	v_pk_add_f32 v[6:7], v[10:11], v[6:7] neg_lo:[0,1] neg_hi:[0,1]
	s_waitcnt lgkmcnt(0)
	v_xor_b32_e32 v10, 0x80000000, v19
	v_mov_b32_e32 v11, v18
	v_pk_mul_f32 v[10:11], v[8:9], v[10:11] op_sel:[1,0]
	s_nop 0
	v_pk_fma_f32 v[10:11], v[18:19], v[8:9], v[10:11] op_sel_hi:[1,0,1]
	s_nop 0
	v_pk_add_f32 v[6:7], v[6:7], v[10:11] neg_lo:[0,1] neg_hi:[0,1]
	ds_write_b64 v3, v[6:7] offset:128
	v_xor_b32_e32 v6, 0x80000000, v5
	v_mov_b32_e32 v7, v4
	v_pk_mul_f32 v[6:7], v[14:15], v[6:7] op_sel:[1,0]
	s_nop 0
	v_pk_fma_f32 v[4:5], v[4:5], v[14:15], v[6:7] op_sel_hi:[1,0,1]
	v_xor_b32_e32 v6, 0x80000000, v17
	v_mov_b32_e32 v7, v16
	v_pk_mul_f32 v[6:7], v[8:9], v[6:7] op_sel:[1,0]
	v_pk_add_f32 v[4:5], v[12:13], v[4:5] neg_lo:[0,1] neg_hi:[0,1]
	v_pk_fma_f32 v[6:7], v[16:17], v[8:9], v[6:7] op_sel_hi:[1,0,1]
	s_nop 0
	v_pk_add_f32 v[4:5], v[4:5], v[6:7] neg_lo:[0,1] neg_hi:[0,1]
	ds_write_b64 v3, v[4:5] offset:2184
.LBB234_24:
	;; [unrolled: 47-line block ×5, first 2 shown]
	s_or_b64 exec, exec, s[2:3]
	s_movk_i32 s0, 0x80
	v_cmp_gt_u32_e64 s[0:1], s0, v0
	s_waitcnt lgkmcnt(0)
	s_barrier
	s_and_saveexec_b64 s[2:3], s[0:1]
	s_cbranch_execz .LBB234_32
; %bb.31:
	v_lshlrev_b32_e32 v3, 4, v0
	v_add_u32_e32 v0, 0x1018, v3
	ds_read_b128 v[4:7], v3 offset:2064
	ds_read2_b64 v[8:11], v0 offset1:255
	ds_read_b128 v[12:15], v3
	v_add_u32_e32 v16, 0x2018, v3
	ds_read2_b64 v[16:19], v16 offset1:255
	s_waitcnt lgkmcnt(3)
	v_mov_b32_e32 v0, v7
	s_waitcnt lgkmcnt(2)
	v_xor_b32_e32 v20, 0x80000000, v11
	v_mov_b32_e32 v21, v10
	v_pk_mul_f32 v[20:21], v[0:1], v[20:21] op_sel_hi:[0,1]
	v_pk_fma_f32 v[10:11], v[10:11], v[6:7], v[20:21] op_sel_hi:[1,0,1]
	s_waitcnt lgkmcnt(1)
	v_pk_add_f32 v[10:11], v[14:15], v[10:11] neg_lo:[0,1] neg_hi:[0,1]
	s_waitcnt lgkmcnt(0)
	v_xor_b32_e32 v14, 0x80000000, v19
	v_mov_b32_e32 v15, v18
	v_pk_mul_f32 v[14:15], v[12:13], v[14:15] op_sel:[1,0]
	s_nop 0
	v_pk_fma_f32 v[14:15], v[18:19], v[12:13], v[14:15] op_sel_hi:[1,0,1]
	s_nop 0
	v_pk_add_f32 v[10:11], v[10:11], v[14:15] neg_lo:[0,1] neg_hi:[0,1]
	ds_write_b64 v3, v[10:11] offset:8
	v_xor_b32_e32 v10, 0x80000000, v9
	v_mov_b32_e32 v11, v8
	v_pk_mul_f32 v[10:11], v[0:1], v[10:11] op_sel_hi:[0,1]
	v_pk_fma_f32 v[6:7], v[8:9], v[6:7], v[10:11] op_sel_hi:[1,0,1]
	s_nop 0
	v_pk_add_f32 v[4:5], v[4:5], v[6:7] neg_lo:[0,1] neg_hi:[0,1]
	v_xor_b32_e32 v6, 0x80000000, v17
	v_mov_b32_e32 v7, v16
	v_pk_mul_f32 v[6:7], v[12:13], v[6:7] op_sel:[1,0]
	s_nop 0
	v_pk_fma_f32 v[6:7], v[16:17], v[12:13], v[6:7] op_sel_hi:[1,0,1]
	s_nop 0
	v_pk_add_f32 v[4:5], v[4:5], v[6:7] neg_lo:[0,1] neg_hi:[0,1]
	ds_write_b64 v3, v[4:5] offset:2064
.LBB234_32:
	s_or_b64 exec, exec, s[2:3]
	s_waitcnt lgkmcnt(0)
	s_barrier
	s_and_saveexec_b64 s[0:1], vcc
	s_cbranch_execz .LBB234_34
; %bb.33:
	v_add_u32_e32 v0, 8, v1
	ds_read2st64_b64 v[4:7], v0 offset1:4
	v_ashrrev_i32_e32 v3, 31, v2
	v_lshl_add_u64 v[0:1], v[2:3], 3, s[6:7]
	v_mad_u64_u32 v[2:3], s[0:1], s14, 31, v[2:3]
	v_mov_b32_e32 v3, 0
	s_waitcnt lgkmcnt(0)
	global_store_dwordx2 v[0:1], v[6:7], off
	v_lshl_add_u64 v[0:1], v[2:3], 3, s[6:7]
	global_store_dwordx2 v[0:1], v[4:5], off
.LBB234_34:
	s_endpgm
	.section	.rodata,"a",@progbits
	.p2align	6, 0x0
	.amdhsa_kernel _ZN9rocsparseL33gtsv_solve_spike_propagate_kernelILj256ELj32E21rocsparse_complex_numIfEEEviiiPT1_PKS3_S6_S6_
		.amdhsa_group_segment_fixed_size 12304
		.amdhsa_private_segment_fixed_size 0
		.amdhsa_kernarg_size 304
		.amdhsa_user_sgpr_count 2
		.amdhsa_user_sgpr_dispatch_ptr 0
		.amdhsa_user_sgpr_queue_ptr 0
		.amdhsa_user_sgpr_kernarg_segment_ptr 1
		.amdhsa_user_sgpr_dispatch_id 0
		.amdhsa_user_sgpr_kernarg_preload_length 0
		.amdhsa_user_sgpr_kernarg_preload_offset 0
		.amdhsa_user_sgpr_private_segment_size 0
		.amdhsa_uses_dynamic_stack 0
		.amdhsa_enable_private_segment 0
		.amdhsa_system_sgpr_workgroup_id_x 1
		.amdhsa_system_sgpr_workgroup_id_y 1
		.amdhsa_system_sgpr_workgroup_id_z 0
		.amdhsa_system_sgpr_workgroup_info 0
		.amdhsa_system_vgpr_workitem_id 0
		.amdhsa_next_free_vgpr 22
		.amdhsa_next_free_sgpr 18
		.amdhsa_accum_offset 24
		.amdhsa_reserve_vcc 1
		.amdhsa_float_round_mode_32 0
		.amdhsa_float_round_mode_16_64 0
		.amdhsa_float_denorm_mode_32 3
		.amdhsa_float_denorm_mode_16_64 3
		.amdhsa_dx10_clamp 1
		.amdhsa_ieee_mode 1
		.amdhsa_fp16_overflow 0
		.amdhsa_tg_split 0
		.amdhsa_exception_fp_ieee_invalid_op 0
		.amdhsa_exception_fp_denorm_src 0
		.amdhsa_exception_fp_ieee_div_zero 0
		.amdhsa_exception_fp_ieee_overflow 0
		.amdhsa_exception_fp_ieee_underflow 0
		.amdhsa_exception_fp_ieee_inexact 0
		.amdhsa_exception_int_div_zero 0
	.end_amdhsa_kernel
	.section	.text._ZN9rocsparseL33gtsv_solve_spike_propagate_kernelILj256ELj32E21rocsparse_complex_numIfEEEviiiPT1_PKS3_S6_S6_,"axG",@progbits,_ZN9rocsparseL33gtsv_solve_spike_propagate_kernelILj256ELj32E21rocsparse_complex_numIfEEEviiiPT1_PKS3_S6_S6_,comdat
.Lfunc_end234:
	.size	_ZN9rocsparseL33gtsv_solve_spike_propagate_kernelILj256ELj32E21rocsparse_complex_numIfEEEviiiPT1_PKS3_S6_S6_, .Lfunc_end234-_ZN9rocsparseL33gtsv_solve_spike_propagate_kernelILj256ELj32E21rocsparse_complex_numIfEEEviiiPT1_PKS3_S6_S6_
                                        ; -- End function
	.set _ZN9rocsparseL33gtsv_solve_spike_propagate_kernelILj256ELj32E21rocsparse_complex_numIfEEEviiiPT1_PKS3_S6_S6_.num_vgpr, 22
	.set _ZN9rocsparseL33gtsv_solve_spike_propagate_kernelILj256ELj32E21rocsparse_complex_numIfEEEviiiPT1_PKS3_S6_S6_.num_agpr, 0
	.set _ZN9rocsparseL33gtsv_solve_spike_propagate_kernelILj256ELj32E21rocsparse_complex_numIfEEEviiiPT1_PKS3_S6_S6_.numbered_sgpr, 18
	.set _ZN9rocsparseL33gtsv_solve_spike_propagate_kernelILj256ELj32E21rocsparse_complex_numIfEEEviiiPT1_PKS3_S6_S6_.num_named_barrier, 0
	.set _ZN9rocsparseL33gtsv_solve_spike_propagate_kernelILj256ELj32E21rocsparse_complex_numIfEEEviiiPT1_PKS3_S6_S6_.private_seg_size, 0
	.set _ZN9rocsparseL33gtsv_solve_spike_propagate_kernelILj256ELj32E21rocsparse_complex_numIfEEEviiiPT1_PKS3_S6_S6_.uses_vcc, 1
	.set _ZN9rocsparseL33gtsv_solve_spike_propagate_kernelILj256ELj32E21rocsparse_complex_numIfEEEviiiPT1_PKS3_S6_S6_.uses_flat_scratch, 0
	.set _ZN9rocsparseL33gtsv_solve_spike_propagate_kernelILj256ELj32E21rocsparse_complex_numIfEEEviiiPT1_PKS3_S6_S6_.has_dyn_sized_stack, 0
	.set _ZN9rocsparseL33gtsv_solve_spike_propagate_kernelILj256ELj32E21rocsparse_complex_numIfEEEviiiPT1_PKS3_S6_S6_.has_recursion, 0
	.set _ZN9rocsparseL33gtsv_solve_spike_propagate_kernelILj256ELj32E21rocsparse_complex_numIfEEEviiiPT1_PKS3_S6_S6_.has_indirect_call, 0
	.section	.AMDGPU.csdata,"",@progbits
; Kernel info:
; codeLenInByte = 3040
; TotalNumSgprs: 24
; NumVgprs: 22
; NumAgprs: 0
; TotalNumVgprs: 22
; ScratchSize: 0
; MemoryBound: 0
; FloatMode: 240
; IeeeMode: 1
; LDSByteSize: 12304 bytes/workgroup (compile time only)
; SGPRBlocks: 2
; VGPRBlocks: 2
; NumSGPRsForWavesPerEU: 24
; NumVGPRsForWavesPerEU: 22
; AccumOffset: 24
; Occupancy: 8
; WaveLimiterHint : 0
; COMPUTE_PGM_RSRC2:SCRATCH_EN: 0
; COMPUTE_PGM_RSRC2:USER_SGPR: 2
; COMPUTE_PGM_RSRC2:TRAP_HANDLER: 0
; COMPUTE_PGM_RSRC2:TGID_X_EN: 1
; COMPUTE_PGM_RSRC2:TGID_Y_EN: 1
; COMPUTE_PGM_RSRC2:TGID_Z_EN: 0
; COMPUTE_PGM_RSRC2:TIDIG_COMP_CNT: 0
; COMPUTE_PGM_RSRC3_GFX90A:ACCUM_OFFSET: 5
; COMPUTE_PGM_RSRC3_GFX90A:TG_SPLIT: 0
	.section	.text._ZN9rocsparseL39gtsv_spike_backward_substitution_kernelILj256ELj32E21rocsparse_complex_numIfEEEviiiPT1_PKS3_S6_,"axG",@progbits,_ZN9rocsparseL39gtsv_spike_backward_substitution_kernelILj256ELj32E21rocsparse_complex_numIfEEEviiiPT1_PKS3_S6_,comdat
	.globl	_ZN9rocsparseL39gtsv_spike_backward_substitution_kernelILj256ELj32E21rocsparse_complex_numIfEEEviiiPT1_PKS3_S6_ ; -- Begin function _ZN9rocsparseL39gtsv_spike_backward_substitution_kernelILj256ELj32E21rocsparse_complex_numIfEEEviiiPT1_PKS3_S6_
	.p2align	8
	.type	_ZN9rocsparseL39gtsv_spike_backward_substitution_kernelILj256ELj32E21rocsparse_complex_numIfEEEviiiPT1_PKS3_S6_,@function
_ZN9rocsparseL39gtsv_spike_backward_substitution_kernelILj256ELj32E21rocsparse_complex_numIfEEEviiiPT1_PKS3_S6_: ; @_ZN9rocsparseL39gtsv_spike_backward_substitution_kernelILj256ELj32E21rocsparse_complex_numIfEEEviiiPT1_PKS3_S6_
; %bb.0:
	s_load_dword s6, s[0:1], 0x0
	s_lshl_b32 s10, s2, 8
	v_or_b32_e32 v10, s10, v0
	s_waitcnt lgkmcnt(0)
	s_lshr_b32 s11, s6, 5
	v_cmp_gt_i32_e32 vcc, s11, v10
	s_and_saveexec_b64 s[4:5], vcc
	s_cbranch_execz .LBB235_9
; %bb.1:
	s_load_dwordx2 s[8:9], s[0:1], 0x10
	v_cmp_lt_i32_e32 vcc, 0, v10
	v_mov_b32_e32 v2, 0
	s_mul_i32 s2, s6, s3
	v_mov_b32_e32 v4, 0
	s_and_saveexec_b64 s[4:5], vcc
	s_cbranch_execz .LBB235_3
; %bb.2:
	s_mul_i32 s7, s11, 31
	s_mul_i32 s3, s6, s3
	s_add_i32 s7, s7, s3
	v_add3_u32 v2, v10, s7, -1
	v_mov_b32_e32 v3, 0
	s_waitcnt lgkmcnt(0)
	v_lshl_add_u64 v[2:3], v[2:3], 3, s[8:9]
	global_load_dwordx2 v[2:3], v[2:3], off
	s_waitcnt vmcnt(0)
	v_mov_b32_e32 v4, v3
.LBB235_3:
	s_or_b64 exec, exec, s[4:5]
	v_add_u32_e32 v1, 32, v10
	v_cmp_le_u32_e32 vcc, s6, v1
	s_and_saveexec_b64 s[4:5], vcc
	s_xor_b64 s[4:5], exec, s[4:5]
; %bb.4:
                                        ; implicit-def: $vgpr10
; %bb.5:
	s_or_saveexec_b64 s[4:5], s[4:5]
	v_mov_b32_e32 v6, 0
	v_mov_b32_e32 v19, s2
	;; [unrolled: 1-line block ×3, first 2 shown]
	s_xor_b64 exec, exec, s[4:5]
	s_cbranch_execz .LBB235_7
; %bb.6:
	s_ashr_i32 s3, s2, 31
	v_ashrrev_i32_e32 v11, 31, v10
	v_lshl_add_u64 v[6:7], v[10:11], 0, s[2:3]
	s_waitcnt lgkmcnt(0)
	v_lshl_add_u64 v[6:7], v[6:7], 3, s[8:9]
	global_load_dwordx2 v[6:7], v[6:7], off offset:8
	v_mov_b32_e32 v19, s2
	s_waitcnt vmcnt(0)
	v_mov_b32_e32 v8, v7
.LBB235_7:
	s_or_b64 exec, exec, s[4:5]
	s_load_dwordx4 s[4:7], s[0:1], 0x18
	v_add_u32_e32 v17, v0, v19
	s_lshl_b32 s1, s11, 1
	v_add_u32_e32 v1, s1, v17
	v_add_u32_e32 v10, s1, v0
	s_mul_i32 s1, s11, 3
	v_add_u32_e32 v11, s1, v17
	v_add_u32_e32 v12, s1, v0
	s_lshl_b32 s1, s11, 2
	s_mul_i32 s0, s11, 6
	v_add_u32_e32 v13, s1, v17
	v_add_u32_e32 v14, s1, v0
	s_mul_i32 s1, s11, 5
	v_add_u32_e32 v16, s1, v0
	v_add_u32_e32 v18, s0, v0
	;; [unrolled: 1-line block ×3, first 2 shown]
	v_mov_b32_e32 v7, v6
	v_mov_b32_e32 v3, v2
	;; [unrolled: 1-line block ×4, first 2 shown]
	v_add_u32_e32 v15, s1, v17
	v_add_u32_e32 v17, s0, v17
	;; [unrolled: 1-line block ×3, first 2 shown]
	s_mov_b32 s1, 30
.LBB235_8:                              ; =>This Inner Loop Header: Depth=1
	v_add_u32_e32 v20, s10, v0
	v_ashrrev_i32_e32 v21, 31, v20
	v_add_u32_e32 v22, s10, v19
	v_lshlrev_b64 v[20:21], 3, v[20:21]
	v_ashrrev_i32_e32 v23, 31, v22
	s_waitcnt lgkmcnt(0)
	v_lshl_add_u64 v[24:25], s[4:5], 0, v[20:21]
	v_lshl_add_u64 v[22:23], v[22:23], 3, s[8:9]
	;; [unrolled: 1-line block ×3, first 2 shown]
	global_load_dwordx2 v[26:27], v[24:25], off
	global_load_dwordx2 v[28:29], v[20:21], off
	;; [unrolled: 1-line block ×3, first 2 shown]
	v_add_u32_e32 v20, s10, v10
	v_ashrrev_i32_e32 v21, 31, v20
	v_lshlrev_b64 v[20:21], 3, v[20:21]
	v_lshl_add_u64 v[32:33], s[4:5], 0, v[20:21]
	v_lshl_add_u64 v[20:21], s[6:7], 0, v[20:21]
	global_load_dwordx2 v[34:35], v[32:33], off
	global_load_dwordx2 v[36:37], v[20:21], off
	v_add_u32_e32 v24, s10, v1
	v_ashrrev_i32_e32 v25, 31, v24
	v_lshl_add_u64 v[24:25], v[24:25], 3, s[8:9]
	s_add_i32 s1, s1, -6
	v_add_u32_e32 v1, s0, v1
	v_add_u32_e32 v10, s0, v10
	;; [unrolled: 1-line block ×4, first 2 shown]
	s_cmp_lg_u32 s1, 0
	s_waitcnt vmcnt(4)
	v_xor_b32_e32 v20, 0x80000000, v27
	v_mov_b32_e32 v21, v26
	s_waitcnt vmcnt(3)
	v_xor_b32_e32 v32, 0x80000000, v29
	v_mov_b32_e32 v33, v28
	v_pk_mul_f32 v[20:21], v[4:5], v[20:21]
	v_pk_mul_f32 v[32:33], v[8:9], v[32:33]
	v_pk_fma_f32 v[20:21], v[26:27], v[2:3], v[20:21]
	v_pk_fma_f32 v[26:27], v[28:29], v[6:7], v[32:33]
	s_waitcnt vmcnt(2)
	v_pk_add_f32 v[20:21], v[30:31], v[20:21] neg_lo:[0,1] neg_hi:[0,1]
	s_nop 0
	v_pk_add_f32 v[20:21], v[20:21], v[26:27] neg_lo:[0,1] neg_hi:[0,1]
	global_store_dwordx2 v[22:23], v[20:21], off
	global_load_dwordx2 v[20:21], v[24:25], off
	v_add_u32_e32 v22, s10, v12
	v_ashrrev_i32_e32 v23, 31, v22
	v_lshlrev_b64 v[22:23], 3, v[22:23]
	v_lshl_add_u64 v[28:29], s[4:5], 0, v[22:23]
	v_lshl_add_u64 v[22:23], s[6:7], 0, v[22:23]
	global_load_dwordx2 v[30:31], v[28:29], off
	global_load_dwordx2 v[32:33], v[22:23], off
	s_waitcnt vmcnt(5)
	v_xor_b32_e32 v22, 0x80000000, v35
	v_mov_b32_e32 v23, v34
	s_waitcnt vmcnt(4)
	v_xor_b32_e32 v28, 0x80000000, v37
	v_mov_b32_e32 v29, v36
	v_pk_mul_f32 v[22:23], v[4:5], v[22:23]
	v_pk_mul_f32 v[28:29], v[8:9], v[28:29]
	v_pk_fma_f32 v[22:23], v[34:35], v[2:3], v[22:23]
	v_add_u32_e32 v26, s10, v11
	v_pk_fma_f32 v[28:29], v[36:37], v[6:7], v[28:29]
	v_ashrrev_i32_e32 v27, 31, v26
	v_lshl_add_u64 v[26:27], v[26:27], 3, s[8:9]
	v_add_u32_e32 v11, s0, v11
	v_add_u32_e32 v12, s0, v12
	s_waitcnt vmcnt(2)
	v_pk_add_f32 v[20:21], v[20:21], v[22:23] neg_lo:[0,1] neg_hi:[0,1]
	s_nop 0
	v_pk_add_f32 v[20:21], v[20:21], v[28:29] neg_lo:[0,1] neg_hi:[0,1]
	global_store_dwordx2 v[24:25], v[20:21], off
	global_load_dwordx2 v[20:21], v[26:27], off
	v_add_u32_e32 v22, s10, v14
	v_ashrrev_i32_e32 v23, 31, v22
	v_lshlrev_b64 v[22:23], 3, v[22:23]
	v_lshl_add_u64 v[28:29], s[4:5], 0, v[22:23]
	v_lshl_add_u64 v[22:23], s[6:7], 0, v[22:23]
	global_load_dwordx2 v[34:35], v[28:29], off
	global_load_dwordx2 v[36:37], v[22:23], off
	s_waitcnt vmcnt(5)
	v_xor_b32_e32 v22, 0x80000000, v31
	v_mov_b32_e32 v23, v30
	s_waitcnt vmcnt(4)
	v_xor_b32_e32 v28, 0x80000000, v33
	v_mov_b32_e32 v29, v32
	v_pk_mul_f32 v[22:23], v[4:5], v[22:23]
	v_pk_mul_f32 v[28:29], v[8:9], v[28:29]
	v_pk_fma_f32 v[22:23], v[30:31], v[2:3], v[22:23]
	v_add_u32_e32 v24, s10, v13
	v_pk_fma_f32 v[28:29], v[32:33], v[6:7], v[28:29]
	v_ashrrev_i32_e32 v25, 31, v24
	v_lshl_add_u64 v[24:25], v[24:25], 3, s[8:9]
	v_add_u32_e32 v13, s0, v13
	v_add_u32_e32 v14, s0, v14
	;; [unrolled: 28-line block ×4, first 2 shown]
	s_waitcnt vmcnt(2)
	v_pk_add_f32 v[20:21], v[20:21], v[22:23] neg_lo:[0,1] neg_hi:[0,1]
	global_store_dwordx2 v[26:27], v[20:21], off
	v_pk_add_f32 v[20:21], v[20:21], v[28:29] neg_lo:[0,1] neg_hi:[0,1]
	global_store_dwordx2 v[26:27], v[20:21], off
	global_load_dwordx2 v[20:21], v[24:25], off
	s_waitcnt vmcnt(4)
	v_xor_b32_e32 v22, 0x80000000, v35
	v_mov_b32_e32 v23, v34
	s_waitcnt vmcnt(3)
	v_xor_b32_e32 v26, 0x80000000, v37
	v_mov_b32_e32 v27, v36
	v_pk_mul_f32 v[22:23], v[4:5], v[22:23]
	v_pk_mul_f32 v[26:27], v[8:9], v[26:27]
	v_pk_fma_f32 v[22:23], v[34:35], v[2:3], v[22:23]
	v_pk_fma_f32 v[26:27], v[36:37], v[6:7], v[26:27]
	s_waitcnt vmcnt(0)
	v_pk_add_f32 v[20:21], v[20:21], v[22:23] neg_lo:[0,1] neg_hi:[0,1]
	global_store_dwordx2 v[24:25], v[20:21], off
	v_pk_add_f32 v[20:21], v[20:21], v[26:27] neg_lo:[0,1] neg_hi:[0,1]
	global_store_dwordx2 v[24:25], v[20:21], off
	s_cbranch_scc1 .LBB235_8
.LBB235_9:
	s_endpgm
	.section	.rodata,"a",@progbits
	.p2align	6, 0x0
	.amdhsa_kernel _ZN9rocsparseL39gtsv_spike_backward_substitution_kernelILj256ELj32E21rocsparse_complex_numIfEEEviiiPT1_PKS3_S6_
		.amdhsa_group_segment_fixed_size 0
		.amdhsa_private_segment_fixed_size 0
		.amdhsa_kernarg_size 40
		.amdhsa_user_sgpr_count 2
		.amdhsa_user_sgpr_dispatch_ptr 0
		.amdhsa_user_sgpr_queue_ptr 0
		.amdhsa_user_sgpr_kernarg_segment_ptr 1
		.amdhsa_user_sgpr_dispatch_id 0
		.amdhsa_user_sgpr_kernarg_preload_length 0
		.amdhsa_user_sgpr_kernarg_preload_offset 0
		.amdhsa_user_sgpr_private_segment_size 0
		.amdhsa_uses_dynamic_stack 0
		.amdhsa_enable_private_segment 0
		.amdhsa_system_sgpr_workgroup_id_x 1
		.amdhsa_system_sgpr_workgroup_id_y 1
		.amdhsa_system_sgpr_workgroup_id_z 0
		.amdhsa_system_sgpr_workgroup_info 0
		.amdhsa_system_vgpr_workitem_id 0
		.amdhsa_next_free_vgpr 38
		.amdhsa_next_free_sgpr 12
		.amdhsa_accum_offset 40
		.amdhsa_reserve_vcc 1
		.amdhsa_float_round_mode_32 0
		.amdhsa_float_round_mode_16_64 0
		.amdhsa_float_denorm_mode_32 3
		.amdhsa_float_denorm_mode_16_64 3
		.amdhsa_dx10_clamp 1
		.amdhsa_ieee_mode 1
		.amdhsa_fp16_overflow 0
		.amdhsa_tg_split 0
		.amdhsa_exception_fp_ieee_invalid_op 0
		.amdhsa_exception_fp_denorm_src 0
		.amdhsa_exception_fp_ieee_div_zero 0
		.amdhsa_exception_fp_ieee_overflow 0
		.amdhsa_exception_fp_ieee_underflow 0
		.amdhsa_exception_fp_ieee_inexact 0
		.amdhsa_exception_int_div_zero 0
	.end_amdhsa_kernel
	.section	.text._ZN9rocsparseL39gtsv_spike_backward_substitution_kernelILj256ELj32E21rocsparse_complex_numIfEEEviiiPT1_PKS3_S6_,"axG",@progbits,_ZN9rocsparseL39gtsv_spike_backward_substitution_kernelILj256ELj32E21rocsparse_complex_numIfEEEviiiPT1_PKS3_S6_,comdat
.Lfunc_end235:
	.size	_ZN9rocsparseL39gtsv_spike_backward_substitution_kernelILj256ELj32E21rocsparse_complex_numIfEEEviiiPT1_PKS3_S6_, .Lfunc_end235-_ZN9rocsparseL39gtsv_spike_backward_substitution_kernelILj256ELj32E21rocsparse_complex_numIfEEEviiiPT1_PKS3_S6_
                                        ; -- End function
	.set _ZN9rocsparseL39gtsv_spike_backward_substitution_kernelILj256ELj32E21rocsparse_complex_numIfEEEviiiPT1_PKS3_S6_.num_vgpr, 38
	.set _ZN9rocsparseL39gtsv_spike_backward_substitution_kernelILj256ELj32E21rocsparse_complex_numIfEEEviiiPT1_PKS3_S6_.num_agpr, 0
	.set _ZN9rocsparseL39gtsv_spike_backward_substitution_kernelILj256ELj32E21rocsparse_complex_numIfEEEviiiPT1_PKS3_S6_.numbered_sgpr, 12
	.set _ZN9rocsparseL39gtsv_spike_backward_substitution_kernelILj256ELj32E21rocsparse_complex_numIfEEEviiiPT1_PKS3_S6_.num_named_barrier, 0
	.set _ZN9rocsparseL39gtsv_spike_backward_substitution_kernelILj256ELj32E21rocsparse_complex_numIfEEEviiiPT1_PKS3_S6_.private_seg_size, 0
	.set _ZN9rocsparseL39gtsv_spike_backward_substitution_kernelILj256ELj32E21rocsparse_complex_numIfEEEviiiPT1_PKS3_S6_.uses_vcc, 1
	.set _ZN9rocsparseL39gtsv_spike_backward_substitution_kernelILj256ELj32E21rocsparse_complex_numIfEEEviiiPT1_PKS3_S6_.uses_flat_scratch, 0
	.set _ZN9rocsparseL39gtsv_spike_backward_substitution_kernelILj256ELj32E21rocsparse_complex_numIfEEEviiiPT1_PKS3_S6_.has_dyn_sized_stack, 0
	.set _ZN9rocsparseL39gtsv_spike_backward_substitution_kernelILj256ELj32E21rocsparse_complex_numIfEEEviiiPT1_PKS3_S6_.has_recursion, 0
	.set _ZN9rocsparseL39gtsv_spike_backward_substitution_kernelILj256ELj32E21rocsparse_complex_numIfEEEviiiPT1_PKS3_S6_.has_indirect_call, 0
	.section	.AMDGPU.csdata,"",@progbits
; Kernel info:
; codeLenInByte = 1400
; TotalNumSgprs: 18
; NumVgprs: 38
; NumAgprs: 0
; TotalNumVgprs: 38
; ScratchSize: 0
; MemoryBound: 0
; FloatMode: 240
; IeeeMode: 1
; LDSByteSize: 0 bytes/workgroup (compile time only)
; SGPRBlocks: 2
; VGPRBlocks: 4
; NumSGPRsForWavesPerEU: 18
; NumVGPRsForWavesPerEU: 38
; AccumOffset: 40
; Occupancy: 8
; WaveLimiterHint : 0
; COMPUTE_PGM_RSRC2:SCRATCH_EN: 0
; COMPUTE_PGM_RSRC2:USER_SGPR: 2
; COMPUTE_PGM_RSRC2:TRAP_HANDLER: 0
; COMPUTE_PGM_RSRC2:TGID_X_EN: 1
; COMPUTE_PGM_RSRC2:TGID_Y_EN: 1
; COMPUTE_PGM_RSRC2:TGID_Z_EN: 0
; COMPUTE_PGM_RSRC2:TIDIG_COMP_CNT: 0
; COMPUTE_PGM_RSRC3_GFX90A:ACCUM_OFFSET: 9
; COMPUTE_PGM_RSRC3_GFX90A:TG_SPLIT: 0
	.section	.text._ZN9rocsparseL32gtsv_transpose_back_array_kernelILj256ELj32E21rocsparse_complex_numIfEEEviiiPKT1_PS3_,"axG",@progbits,_ZN9rocsparseL32gtsv_transpose_back_array_kernelILj256ELj32E21rocsparse_complex_numIfEEEviiiPKT1_PS3_,comdat
	.globl	_ZN9rocsparseL32gtsv_transpose_back_array_kernelILj256ELj32E21rocsparse_complex_numIfEEEviiiPKT1_PS3_ ; -- Begin function _ZN9rocsparseL32gtsv_transpose_back_array_kernelILj256ELj32E21rocsparse_complex_numIfEEEviiiPKT1_PS3_
	.p2align	8
	.type	_ZN9rocsparseL32gtsv_transpose_back_array_kernelILj256ELj32E21rocsparse_complex_numIfEEEviiiPKT1_PS3_,@function
_ZN9rocsparseL32gtsv_transpose_back_array_kernelILj256ELj32E21rocsparse_complex_numIfEEEviiiPKT1_PS3_: ; @_ZN9rocsparseL32gtsv_transpose_back_array_kernelILj256ELj32E21rocsparse_complex_numIfEEEviiiPKT1_PS3_
; %bb.0:
	s_load_dwordx4 s[4:7], s[0:1], 0x0
	v_lshl_or_b32 v0, s2, 8, v0
	v_lshlrev_b32_e32 v2, 5, v0
	s_waitcnt lgkmcnt(0)
	v_cvt_f32_u32_e32 v1, s5
	s_sub_i32 s2, 0, s5
	v_rcp_iflag_f32_e32 v1, v1
	s_nop 0
	v_mul_f32_e32 v1, 0x4f7ffffe, v1
	v_cvt_u32_f32_e32 v1, v1
	v_mul_lo_u32 v3, s2, v1
	v_mul_hi_u32 v3, v1, v3
	v_add_u32_e32 v1, v1, v3
	v_mul_hi_u32 v1, v2, v1
	v_mul_lo_u32 v3, v1, s5
	v_sub_u32_e32 v3, v2, v3
	v_add_u32_e32 v4, 1, v1
	v_cmp_le_u32_e32 vcc, s5, v3
	s_nop 1
	v_cndmask_b32_e32 v1, v1, v4, vcc
	v_subrev_u32_e32 v4, s5, v3
	v_cndmask_b32_e32 v3, v3, v4, vcc
	v_add_u32_e32 v4, 1, v1
	v_cmp_le_u32_e32 vcc, s5, v3
	s_nop 1
	v_cndmask_b32_e32 v1, v1, v4, vcc
	v_mul_lo_u32 v3, v1, s5
	v_sub_u32_e32 v2, v2, v3
	v_add_u32_e32 v1, v1, v2
	v_cmp_gt_i32_e32 vcc, s4, v1
	s_and_saveexec_b64 s[8:9], vcc
	s_cbranch_execz .LBB236_2
; %bb.1:
	s_load_dwordx4 s[8:11], s[0:1], 0x10
	s_mul_i32 s0, s5, s3
	v_add_u32_e32 v2, s0, v0
	v_ashrrev_i32_e32 v3, 31, v2
	s_mul_i32 s0, s6, s3
	s_waitcnt lgkmcnt(0)
	v_lshl_add_u64 v[2:3], v[2:3], 3, s[8:9]
	global_load_dwordx2 v[2:3], v[2:3], off
	v_add_u32_e32 v0, s0, v1
	v_ashrrev_i32_e32 v1, 31, v0
	v_lshl_add_u64 v[0:1], v[0:1], 3, s[10:11]
	s_waitcnt vmcnt(0)
	global_store_dwordx2 v[0:1], v[2:3], off
.LBB236_2:
	s_endpgm
	.section	.rodata,"a",@progbits
	.p2align	6, 0x0
	.amdhsa_kernel _ZN9rocsparseL32gtsv_transpose_back_array_kernelILj256ELj32E21rocsparse_complex_numIfEEEviiiPKT1_PS3_
		.amdhsa_group_segment_fixed_size 0
		.amdhsa_private_segment_fixed_size 0
		.amdhsa_kernarg_size 32
		.amdhsa_user_sgpr_count 2
		.amdhsa_user_sgpr_dispatch_ptr 0
		.amdhsa_user_sgpr_queue_ptr 0
		.amdhsa_user_sgpr_kernarg_segment_ptr 1
		.amdhsa_user_sgpr_dispatch_id 0
		.amdhsa_user_sgpr_kernarg_preload_length 0
		.amdhsa_user_sgpr_kernarg_preload_offset 0
		.amdhsa_user_sgpr_private_segment_size 0
		.amdhsa_uses_dynamic_stack 0
		.amdhsa_enable_private_segment 0
		.amdhsa_system_sgpr_workgroup_id_x 1
		.amdhsa_system_sgpr_workgroup_id_y 1
		.amdhsa_system_sgpr_workgroup_id_z 0
		.amdhsa_system_sgpr_workgroup_info 0
		.amdhsa_system_vgpr_workitem_id 0
		.amdhsa_next_free_vgpr 5
		.amdhsa_next_free_sgpr 12
		.amdhsa_accum_offset 8
		.amdhsa_reserve_vcc 1
		.amdhsa_float_round_mode_32 0
		.amdhsa_float_round_mode_16_64 0
		.amdhsa_float_denorm_mode_32 3
		.amdhsa_float_denorm_mode_16_64 3
		.amdhsa_dx10_clamp 1
		.amdhsa_ieee_mode 1
		.amdhsa_fp16_overflow 0
		.amdhsa_tg_split 0
		.amdhsa_exception_fp_ieee_invalid_op 0
		.amdhsa_exception_fp_denorm_src 0
		.amdhsa_exception_fp_ieee_div_zero 0
		.amdhsa_exception_fp_ieee_overflow 0
		.amdhsa_exception_fp_ieee_underflow 0
		.amdhsa_exception_fp_ieee_inexact 0
		.amdhsa_exception_int_div_zero 0
	.end_amdhsa_kernel
	.section	.text._ZN9rocsparseL32gtsv_transpose_back_array_kernelILj256ELj32E21rocsparse_complex_numIfEEEviiiPKT1_PS3_,"axG",@progbits,_ZN9rocsparseL32gtsv_transpose_back_array_kernelILj256ELj32E21rocsparse_complex_numIfEEEviiiPKT1_PS3_,comdat
.Lfunc_end236:
	.size	_ZN9rocsparseL32gtsv_transpose_back_array_kernelILj256ELj32E21rocsparse_complex_numIfEEEviiiPKT1_PS3_, .Lfunc_end236-_ZN9rocsparseL32gtsv_transpose_back_array_kernelILj256ELj32E21rocsparse_complex_numIfEEEviiiPKT1_PS3_
                                        ; -- End function
	.set _ZN9rocsparseL32gtsv_transpose_back_array_kernelILj256ELj32E21rocsparse_complex_numIfEEEviiiPKT1_PS3_.num_vgpr, 5
	.set _ZN9rocsparseL32gtsv_transpose_back_array_kernelILj256ELj32E21rocsparse_complex_numIfEEEviiiPKT1_PS3_.num_agpr, 0
	.set _ZN9rocsparseL32gtsv_transpose_back_array_kernelILj256ELj32E21rocsparse_complex_numIfEEEviiiPKT1_PS3_.numbered_sgpr, 12
	.set _ZN9rocsparseL32gtsv_transpose_back_array_kernelILj256ELj32E21rocsparse_complex_numIfEEEviiiPKT1_PS3_.num_named_barrier, 0
	.set _ZN9rocsparseL32gtsv_transpose_back_array_kernelILj256ELj32E21rocsparse_complex_numIfEEEviiiPKT1_PS3_.private_seg_size, 0
	.set _ZN9rocsparseL32gtsv_transpose_back_array_kernelILj256ELj32E21rocsparse_complex_numIfEEEviiiPKT1_PS3_.uses_vcc, 1
	.set _ZN9rocsparseL32gtsv_transpose_back_array_kernelILj256ELj32E21rocsparse_complex_numIfEEEviiiPKT1_PS3_.uses_flat_scratch, 0
	.set _ZN9rocsparseL32gtsv_transpose_back_array_kernelILj256ELj32E21rocsparse_complex_numIfEEEviiiPKT1_PS3_.has_dyn_sized_stack, 0
	.set _ZN9rocsparseL32gtsv_transpose_back_array_kernelILj256ELj32E21rocsparse_complex_numIfEEEviiiPKT1_PS3_.has_recursion, 0
	.set _ZN9rocsparseL32gtsv_transpose_back_array_kernelILj256ELj32E21rocsparse_complex_numIfEEEviiiPKT1_PS3_.has_indirect_call, 0
	.section	.AMDGPU.csdata,"",@progbits
; Kernel info:
; codeLenInByte = 236
; TotalNumSgprs: 18
; NumVgprs: 5
; NumAgprs: 0
; TotalNumVgprs: 5
; ScratchSize: 0
; MemoryBound: 0
; FloatMode: 240
; IeeeMode: 1
; LDSByteSize: 0 bytes/workgroup (compile time only)
; SGPRBlocks: 2
; VGPRBlocks: 0
; NumSGPRsForWavesPerEU: 18
; NumVGPRsForWavesPerEU: 5
; AccumOffset: 8
; Occupancy: 8
; WaveLimiterHint : 0
; COMPUTE_PGM_RSRC2:SCRATCH_EN: 0
; COMPUTE_PGM_RSRC2:USER_SGPR: 2
; COMPUTE_PGM_RSRC2:TRAP_HANDLER: 0
; COMPUTE_PGM_RSRC2:TGID_X_EN: 1
; COMPUTE_PGM_RSRC2:TGID_Y_EN: 1
; COMPUTE_PGM_RSRC2:TGID_Z_EN: 0
; COMPUTE_PGM_RSRC2:TIDIG_COMP_CNT: 0
; COMPUTE_PGM_RSRC3_GFX90A:ACCUM_OFFSET: 1
; COMPUTE_PGM_RSRC3_GFX90A:TG_SPLIT: 0
	.section	.text._ZN9rocsparseL42gtsv_transpose_and_pad_array_shared_kernelILj256ELj64E21rocsparse_complex_numIfEEEviiiPKT1_PS3_S3_,"axG",@progbits,_ZN9rocsparseL42gtsv_transpose_and_pad_array_shared_kernelILj256ELj64E21rocsparse_complex_numIfEEEviiiPKT1_PS3_S3_,comdat
	.globl	_ZN9rocsparseL42gtsv_transpose_and_pad_array_shared_kernelILj256ELj64E21rocsparse_complex_numIfEEEviiiPKT1_PS3_S3_ ; -- Begin function _ZN9rocsparseL42gtsv_transpose_and_pad_array_shared_kernelILj256ELj64E21rocsparse_complex_numIfEEEviiiPKT1_PS3_S3_
	.p2align	8
	.type	_ZN9rocsparseL42gtsv_transpose_and_pad_array_shared_kernelILj256ELj64E21rocsparse_complex_numIfEEEviiiPKT1_PS3_S3_,@function
_ZN9rocsparseL42gtsv_transpose_and_pad_array_shared_kernelILj256ELj64E21rocsparse_complex_numIfEEEviiiPKT1_PS3_S3_: ; @_ZN9rocsparseL42gtsv_transpose_and_pad_array_shared_kernelILj256ELj64E21rocsparse_complex_numIfEEEviiiPKT1_PS3_S3_
; %bb.0:
	s_load_dwordx4 s[4:7], s[0:1], 0x0
	v_lshl_or_b32 v1, s2, 8, v0
                                        ; implicit-def: $sgpr10_sgpr11
	s_waitcnt lgkmcnt(0)
	v_cmp_le_i32_e32 vcc, s4, v1
	s_and_saveexec_b64 s[8:9], vcc
	s_xor_b64 s[8:9], exec, s[8:9]
; %bb.1:
	s_load_dwordx2 s[10:11], s[0:1], 0x20
                                        ; implicit-def: $vgpr1
; %bb.2:
	s_or_saveexec_b64 s[8:9], s[8:9]
	s_waitcnt lgkmcnt(0)
	v_mov_b64_e32 v[4:5], s[10:11]
	s_xor_b64 exec, exec, s[8:9]
	s_cbranch_execz .LBB237_4
; %bb.3:
	s_load_dwordx2 s[10:11], s[0:1], 0x10
	s_mul_i32 s4, s6, s3
	v_add_u32_e32 v2, s4, v1
	v_ashrrev_i32_e32 v3, 31, v2
	s_waitcnt lgkmcnt(0)
	v_lshl_add_u64 v[2:3], v[2:3], 3, s[10:11]
	global_load_dwordx2 v[4:5], v[2:3], off
.LBB237_4:
	s_or_b64 exec, exec, s[8:9]
	v_lshrrev_b32_e32 v2, 2, v0
	v_and_b32_e32 v3, 3, v0
	v_lshlrev_b32_e32 v0, 3, v0
	s_waitcnt vmcnt(0)
	ds_write_b64 v0, v[4:5]
	s_lshr_b32 s4, s5, 6
	v_lshl_or_b32 v0, s2, 2, v3
	v_mad_u64_u32 v[0:1], s[6:7], s4, v2, v[0:1]
	v_cmp_gt_i32_e32 vcc, s5, v0
	s_waitcnt lgkmcnt(0)
	s_barrier
	s_and_saveexec_b64 s[6:7], vcc
	s_cbranch_execz .LBB237_6
; %bb.5:
	v_lshlrev_b32_e32 v1, 3, v2
	s_load_dwordx2 s[0:1], s[0:1], 0x18
	v_lshl_or_b32 v1, v3, 9, v1
	ds_read_b64 v[2:3], v1
	s_mul_i32 s2, s5, s3
	v_add_u32_e32 v0, s2, v0
	v_ashrrev_i32_e32 v1, 31, v0
	s_waitcnt lgkmcnt(0)
	v_lshl_add_u64 v[0:1], v[0:1], 3, s[0:1]
	global_store_dwordx2 v[0:1], v[2:3], off
.LBB237_6:
	s_endpgm
	.section	.rodata,"a",@progbits
	.p2align	6, 0x0
	.amdhsa_kernel _ZN9rocsparseL42gtsv_transpose_and_pad_array_shared_kernelILj256ELj64E21rocsparse_complex_numIfEEEviiiPKT1_PS3_S3_
		.amdhsa_group_segment_fixed_size 2048
		.amdhsa_private_segment_fixed_size 0
		.amdhsa_kernarg_size 40
		.amdhsa_user_sgpr_count 2
		.amdhsa_user_sgpr_dispatch_ptr 0
		.amdhsa_user_sgpr_queue_ptr 0
		.amdhsa_user_sgpr_kernarg_segment_ptr 1
		.amdhsa_user_sgpr_dispatch_id 0
		.amdhsa_user_sgpr_kernarg_preload_length 0
		.amdhsa_user_sgpr_kernarg_preload_offset 0
		.amdhsa_user_sgpr_private_segment_size 0
		.amdhsa_uses_dynamic_stack 0
		.amdhsa_enable_private_segment 0
		.amdhsa_system_sgpr_workgroup_id_x 1
		.amdhsa_system_sgpr_workgroup_id_y 1
		.amdhsa_system_sgpr_workgroup_id_z 0
		.amdhsa_system_sgpr_workgroup_info 0
		.amdhsa_system_vgpr_workitem_id 0
		.amdhsa_next_free_vgpr 6
		.amdhsa_next_free_sgpr 12
		.amdhsa_accum_offset 8
		.amdhsa_reserve_vcc 1
		.amdhsa_float_round_mode_32 0
		.amdhsa_float_round_mode_16_64 0
		.amdhsa_float_denorm_mode_32 3
		.amdhsa_float_denorm_mode_16_64 3
		.amdhsa_dx10_clamp 1
		.amdhsa_ieee_mode 1
		.amdhsa_fp16_overflow 0
		.amdhsa_tg_split 0
		.amdhsa_exception_fp_ieee_invalid_op 0
		.amdhsa_exception_fp_denorm_src 0
		.amdhsa_exception_fp_ieee_div_zero 0
		.amdhsa_exception_fp_ieee_overflow 0
		.amdhsa_exception_fp_ieee_underflow 0
		.amdhsa_exception_fp_ieee_inexact 0
		.amdhsa_exception_int_div_zero 0
	.end_amdhsa_kernel
	.section	.text._ZN9rocsparseL42gtsv_transpose_and_pad_array_shared_kernelILj256ELj64E21rocsparse_complex_numIfEEEviiiPKT1_PS3_S3_,"axG",@progbits,_ZN9rocsparseL42gtsv_transpose_and_pad_array_shared_kernelILj256ELj64E21rocsparse_complex_numIfEEEviiiPKT1_PS3_S3_,comdat
.Lfunc_end237:
	.size	_ZN9rocsparseL42gtsv_transpose_and_pad_array_shared_kernelILj256ELj64E21rocsparse_complex_numIfEEEviiiPKT1_PS3_S3_, .Lfunc_end237-_ZN9rocsparseL42gtsv_transpose_and_pad_array_shared_kernelILj256ELj64E21rocsparse_complex_numIfEEEviiiPKT1_PS3_S3_
                                        ; -- End function
	.set _ZN9rocsparseL42gtsv_transpose_and_pad_array_shared_kernelILj256ELj64E21rocsparse_complex_numIfEEEviiiPKT1_PS3_S3_.num_vgpr, 6
	.set _ZN9rocsparseL42gtsv_transpose_and_pad_array_shared_kernelILj256ELj64E21rocsparse_complex_numIfEEEviiiPKT1_PS3_S3_.num_agpr, 0
	.set _ZN9rocsparseL42gtsv_transpose_and_pad_array_shared_kernelILj256ELj64E21rocsparse_complex_numIfEEEviiiPKT1_PS3_S3_.numbered_sgpr, 12
	.set _ZN9rocsparseL42gtsv_transpose_and_pad_array_shared_kernelILj256ELj64E21rocsparse_complex_numIfEEEviiiPKT1_PS3_S3_.num_named_barrier, 0
	.set _ZN9rocsparseL42gtsv_transpose_and_pad_array_shared_kernelILj256ELj64E21rocsparse_complex_numIfEEEviiiPKT1_PS3_S3_.private_seg_size, 0
	.set _ZN9rocsparseL42gtsv_transpose_and_pad_array_shared_kernelILj256ELj64E21rocsparse_complex_numIfEEEviiiPKT1_PS3_S3_.uses_vcc, 1
	.set _ZN9rocsparseL42gtsv_transpose_and_pad_array_shared_kernelILj256ELj64E21rocsparse_complex_numIfEEEviiiPKT1_PS3_S3_.uses_flat_scratch, 0
	.set _ZN9rocsparseL42gtsv_transpose_and_pad_array_shared_kernelILj256ELj64E21rocsparse_complex_numIfEEEviiiPKT1_PS3_S3_.has_dyn_sized_stack, 0
	.set _ZN9rocsparseL42gtsv_transpose_and_pad_array_shared_kernelILj256ELj64E21rocsparse_complex_numIfEEEviiiPKT1_PS3_S3_.has_recursion, 0
	.set _ZN9rocsparseL42gtsv_transpose_and_pad_array_shared_kernelILj256ELj64E21rocsparse_complex_numIfEEEviiiPKT1_PS3_S3_.has_indirect_call, 0
	.section	.AMDGPU.csdata,"",@progbits
; Kernel info:
; codeLenInByte = 232
; TotalNumSgprs: 18
; NumVgprs: 6
; NumAgprs: 0
; TotalNumVgprs: 6
; ScratchSize: 0
; MemoryBound: 0
; FloatMode: 240
; IeeeMode: 1
; LDSByteSize: 2048 bytes/workgroup (compile time only)
; SGPRBlocks: 2
; VGPRBlocks: 0
; NumSGPRsForWavesPerEU: 18
; NumVGPRsForWavesPerEU: 6
; AccumOffset: 8
; Occupancy: 8
; WaveLimiterHint : 0
; COMPUTE_PGM_RSRC2:SCRATCH_EN: 0
; COMPUTE_PGM_RSRC2:USER_SGPR: 2
; COMPUTE_PGM_RSRC2:TRAP_HANDLER: 0
; COMPUTE_PGM_RSRC2:TGID_X_EN: 1
; COMPUTE_PGM_RSRC2:TGID_Y_EN: 1
; COMPUTE_PGM_RSRC2:TGID_Z_EN: 0
; COMPUTE_PGM_RSRC2:TIDIG_COMP_CNT: 0
; COMPUTE_PGM_RSRC3_GFX90A:ACCUM_OFFSET: 1
; COMPUTE_PGM_RSRC3_GFX90A:TG_SPLIT: 0
	.section	.text._ZN9rocsparseL18gtsv_LBM_wv_kernelILj256ELj64E21rocsparse_complex_numIfEEEviiiPKT1_S5_S5_PS3_S6_S6_Pi,"axG",@progbits,_ZN9rocsparseL18gtsv_LBM_wv_kernelILj256ELj64E21rocsparse_complex_numIfEEEviiiPKT1_S5_S5_PS3_S6_S6_Pi,comdat
	.globl	_ZN9rocsparseL18gtsv_LBM_wv_kernelILj256ELj64E21rocsparse_complex_numIfEEEviiiPKT1_S5_S5_PS3_S6_S6_Pi ; -- Begin function _ZN9rocsparseL18gtsv_LBM_wv_kernelILj256ELj64E21rocsparse_complex_numIfEEEviiiPKT1_S5_S5_PS3_S6_S6_Pi
	.p2align	8
	.type	_ZN9rocsparseL18gtsv_LBM_wv_kernelILj256ELj64E21rocsparse_complex_numIfEEEviiiPKT1_S5_S5_PS3_S6_S6_Pi,@function
_ZN9rocsparseL18gtsv_LBM_wv_kernelILj256ELj64E21rocsparse_complex_numIfEEEviiiPKT1_S5_S5_PS3_S6_S6_Pi: ; @_ZN9rocsparseL18gtsv_LBM_wv_kernelILj256ELj64E21rocsparse_complex_numIfEEEviiiPKT1_S5_S5_PS3_S6_S6_Pi
; %bb.0:
	s_load_dword s29, s[0:1], 0x0
	v_lshl_or_b32 v0, s2, 8, v0
	s_waitcnt lgkmcnt(0)
	s_lshr_b32 s28, s29, 6
	v_cmp_gt_i32_e32 vcc, s28, v0
	s_and_saveexec_b64 s[2:3], vcc
	s_cbranch_execz .LBB238_72
; %bb.1:
	s_load_dwordx2 s[16:17], s[0:1], 0x10
	s_load_dwordx8 s[8:15], s[0:1], 0x20
	v_ashrrev_i32_e32 v1, 31, v0
	s_mul_i32 s30, s28, 63
	v_lshlrev_b64 v[2:3], 3, v[0:1]
	v_add_u32_e32 v6, s30, v0
	v_mov_b32_e32 v7, 0
	s_waitcnt lgkmcnt(0)
	v_lshl_add_u64 v[4:5], s[16:17], 0, v[2:3]
	v_lshlrev_b64 v[8:9], 3, v[6:7]
	global_load_dwordx2 v[4:5], v[4:5], off
	v_lshl_add_u64 v[10:11], s[8:9], 0, v[8:9]
	global_load_dwordx2 v[10:11], v[10:11], off
	s_load_dwordx2 s[6:7], s[0:1], 0x40
	v_lshl_add_u64 v[2:3], s[10:11], 0, v[2:3]
	s_cmp_lt_i32 s29, 1
	v_add_u32_e32 v46, s28, v0
	v_lshl_add_u64 v[8:9], s[12:13], 0, v[8:9]
	s_waitcnt vmcnt(1)
	global_store_dwordx2 v[2:3], v[4:5], off
	s_waitcnt vmcnt(1)
	global_store_dwordx2 v[8:9], v[10:11], off
	v_mov_b32_e32 v4, v7
	s_cbranch_scc1 .LBB238_65
; %bb.2:
	s_load_dwordx2 s[18:19], s[0:1], 0x18
	s_mov_b32 s22, 0x372fe950
	s_mul_i32 s31, s28, 62
	s_lshl_b32 s33, s28, 1
	v_mov_b32_e32 v50, 0
	s_waitcnt lgkmcnt(0)
	v_lshl_add_u64 v[4:5], v[0:1], 3, s[18:19]
	global_load_dwordx2 v[6:7], v[4:5], off
	v_add_u32_e32 v1, s28, v46
	s_mov_b64 s[20:21], 0
	s_mov_b32 s34, 0xf800000
	v_mov_b32_e32 v47, 0x260
	s_mov_b32 s23, 0x3fe3c6ef
	v_mov_b32_e32 v48, 2
	v_mov_b32_e32 v49, 1
	;; [unrolled: 1-line block ×3, first 2 shown]
	s_branch .LBB238_5
.LBB238_3:                              ;   in Loop: Header=BB238_5 Depth=1
	s_or_b64 exec, exec, s[4:5]
	v_xor_b32_e32 v8, 0x80000000, v25
	v_mov_b32_e32 v9, v24
	v_pk_mul_f32 v[8:9], v[16:17], v[8:9] op_sel_hi:[0,1]
	v_pk_fma_f32 v[6:7], v[24:25], v[6:7], v[8:9] op_sel_hi:[1,0,1]
	v_mov_b32_e32 v5, s28
	v_pk_add_f32 v[6:7], v[12:13], v[6:7] neg_lo:[0,1] neg_hi:[0,1]
.LBB238_4:                              ;   in Loop: Header=BB238_5 Depth=1
	s_or_b64 exec, exec, s[2:3]
	v_add_u32_e32 v4, v5, v4
	v_cmp_le_i32_e32 vcc, s29, v4
	s_or_b64 s[20:21], vcc, s[20:21]
	s_andn2_b64 exec, exec, s[20:21]
	s_cbranch_execz .LBB238_64
.LBB238_5:                              ; =>This Inner Loop Header: Depth=1
	v_add_u32_e32 v20, v4, v0
	v_ashrrev_i32_e32 v21, 31, v20
	v_lshl_add_u64 v[8:9], v[20:21], 3, s[8:9]
	global_load_dwordx2 v[14:15], v[8:9], off
	v_cmp_gt_u32_e64 s[0:1], s30, v4
	v_mov_b32_e32 v8, 0
	v_mov_b32_e32 v9, 0
	s_and_saveexec_b64 s[2:3], s[0:1]
	s_cbranch_execz .LBB238_7
; %bb.6:                                ;   in Loop: Header=BB238_5 Depth=1
	v_add_u32_e32 v8, v46, v4
	v_ashrrev_i32_e32 v9, 31, v8
	v_lshl_add_u64 v[8:9], v[8:9], 3, s[16:17]
	global_load_dwordx2 v[8:9], v[8:9], off
.LBB238_7:                              ;   in Loop: Header=BB238_5 Depth=1
	s_or_b64 exec, exec, s[2:3]
	v_mov_b32_e32 v11, 0
	v_mov_b32_e32 v12, 0
	;; [unrolled: 1-line block ×3, first 2 shown]
	s_and_saveexec_b64 s[2:3], s[0:1]
	s_cbranch_execz .LBB238_9
; %bb.8:                                ;   in Loop: Header=BB238_5 Depth=1
	v_add_u32_e32 v12, v46, v4
	v_ashrrev_i32_e32 v13, 31, v12
	v_lshl_add_u64 v[12:13], v[12:13], 3, s[18:19]
	global_load_dwordx2 v[12:13], v[12:13], off
.LBB238_9:                              ;   in Loop: Header=BB238_5 Depth=1
	s_or_b64 exec, exec, s[2:3]
	v_mov_b32_e32 v16, 0
	s_and_saveexec_b64 s[2:3], s[0:1]
	s_cbranch_execz .LBB238_11
; %bb.10:                               ;   in Loop: Header=BB238_5 Depth=1
	v_add_u32_e32 v10, v46, v4
	v_ashrrev_i32_e32 v11, 31, v10
	v_lshl_add_u64 v[10:11], v[10:11], 3, s[8:9]
	global_load_dwordx2 v[16:17], v[10:11], off
	s_waitcnt vmcnt(0)
	v_mov_b32_e32 v11, v16
	v_mov_b32_e32 v16, v17
.LBB238_11:                             ;   in Loop: Header=BB238_5 Depth=1
	s_or_b64 exec, exec, s[2:3]
	v_cmp_gt_u32_e64 s[2:3], s31, v4
	v_mov_b32_e32 v18, 0
	v_mov_b32_e32 v19, 0
	s_and_saveexec_b64 s[4:5], s[2:3]
	s_cbranch_execz .LBB238_13
; %bb.12:                               ;   in Loop: Header=BB238_5 Depth=1
	v_add_u32_e32 v18, v1, v4
	v_ashrrev_i32_e32 v19, 31, v18
	v_lshl_add_u64 v[18:19], v[18:19], 3, s[16:17]
	global_load_dwordx2 v[18:19], v[18:19], off
.LBB238_13:                             ;   in Loop: Header=BB238_5 Depth=1
	s_or_b64 exec, exec, s[4:5]
	s_waitcnt vmcnt(0)
	v_cmp_gt_f32_e32 vcc, 0, v8
                                        ; implicit-def: $vgpr5
	s_nop 1
	v_cndmask_b32_e64 v10, v8, -v8, vcc
	v_cmp_gt_f32_e32 vcc, 0, v9
	s_nop 1
	v_cndmask_b32_e64 v17, v9, -v9, vcc
	v_cmp_ngt_f32_e32 vcc, v10, v17
	s_and_saveexec_b64 s[4:5], vcc
	s_xor_b64 s[24:25], exec, s[4:5]
	s_cbranch_execz .LBB238_17
; %bb.14:                               ;   in Loop: Header=BB238_5 Depth=1
	v_mov_b32_e32 v5, 0
	v_cmp_neq_f32_e32 vcc, 0, v9
	s_and_saveexec_b64 s[26:27], vcc
	s_cbranch_execz .LBB238_16
; %bb.15:                               ;   in Loop: Header=BB238_5 Depth=1
	v_div_scale_f32 v5, s[4:5], v17, v17, v10
	v_rcp_f32_e32 v22, v5
	v_div_scale_f32 v23, vcc, v10, v17, v10
	v_fma_f32 v24, -v5, v22, 1.0
	v_fmac_f32_e32 v22, v24, v22
	v_mul_f32_e32 v24, v23, v22
	v_fma_f32 v25, -v5, v24, v23
	v_fmac_f32_e32 v24, v25, v22
	v_fma_f32 v5, -v5, v24, v23
	v_div_fmas_f32 v5, v5, v22, v24
	v_div_fixup_f32 v5, v5, v17, v10
	v_fma_f32 v5, v5, v5, 1.0
	v_mul_f32_e32 v10, 0x4f800000, v5
	v_cmp_gt_f32_e32 vcc, s34, v5
	s_nop 1
	v_cndmask_b32_e32 v5, v5, v10, vcc
	v_sqrt_f32_e32 v10, v5
	s_nop 0
	v_add_u32_e32 v22, -1, v10
	v_fma_f32 v23, -v22, v10, v5
	v_cmp_ge_f32_e64 s[4:5], 0, v23
	v_add_u32_e32 v23, 1, v10
	s_nop 0
	v_cndmask_b32_e64 v22, v10, v22, s[4:5]
	v_fma_f32 v10, -v23, v10, v5
	v_cmp_lt_f32_e64 s[4:5], 0, v10
	s_nop 1
	v_cndmask_b32_e64 v10, v22, v23, s[4:5]
	v_mul_f32_e32 v22, 0x37800000, v10
	v_cndmask_b32_e32 v10, v10, v22, vcc
	v_cmp_class_f32_e32 vcc, v5, v47
	s_nop 1
	v_cndmask_b32_e32 v5, v10, v5, vcc
	v_mul_f32_e32 v5, v17, v5
.LBB238_16:                             ;   in Loop: Header=BB238_5 Depth=1
	s_or_b64 exec, exec, s[26:27]
                                        ; implicit-def: $vgpr10
                                        ; implicit-def: $vgpr17
.LBB238_17:                             ;   in Loop: Header=BB238_5 Depth=1
	s_andn2_saveexec_b64 s[24:25], s[24:25]
	s_cbranch_execz .LBB238_19
; %bb.18:                               ;   in Loop: Header=BB238_5 Depth=1
	v_div_scale_f32 v5, s[4:5], v10, v10, v17
	v_rcp_f32_e32 v22, v5
	v_div_scale_f32 v23, vcc, v17, v10, v17
	v_fma_f32 v24, -v5, v22, 1.0
	v_fmac_f32_e32 v22, v24, v22
	v_mul_f32_e32 v24, v23, v22
	v_fma_f32 v25, -v5, v24, v23
	v_fmac_f32_e32 v24, v25, v22
	v_fma_f32 v5, -v5, v24, v23
	v_div_fmas_f32 v5, v5, v22, v24
	v_div_fixup_f32 v5, v5, v10, v17
	v_fma_f32 v5, v5, v5, 1.0
	v_mul_f32_e32 v17, 0x4f800000, v5
	v_cmp_gt_f32_e32 vcc, s34, v5
	s_nop 1
	v_cndmask_b32_e32 v5, v5, v17, vcc
	v_sqrt_f32_e32 v17, v5
	s_nop 0
	v_add_u32_e32 v22, -1, v17
	v_fma_f32 v23, -v22, v17, v5
	v_cmp_ge_f32_e64 s[4:5], 0, v23
	v_add_u32_e32 v23, 1, v17
	s_nop 0
	v_cndmask_b32_e64 v22, v17, v22, s[4:5]
	v_fma_f32 v17, -v23, v17, v5
	v_cmp_lt_f32_e64 s[4:5], 0, v17
	s_nop 1
	v_cndmask_b32_e64 v17, v22, v23, s[4:5]
	v_mul_f32_e32 v22, 0x37800000, v17
	v_cndmask_b32_e32 v17, v17, v22, vcc
	v_cmp_class_f32_e32 vcc, v5, v47
	s_nop 1
	v_cndmask_b32_e32 v5, v17, v5, vcc
	v_mul_f32_e32 v5, v10, v5
.LBB238_19:                             ;   in Loop: Header=BB238_5 Depth=1
	s_or_b64 exec, exec, s[24:25]
	v_cmp_gt_f32_e32 vcc, 0, v18
                                        ; implicit-def: $vgpr10
	s_nop 1
	v_cndmask_b32_e64 v17, v18, -v18, vcc
	v_cmp_gt_f32_e32 vcc, 0, v19
	s_nop 1
	v_cndmask_b32_e64 v22, v19, -v19, vcc
	v_cmp_ngt_f32_e32 vcc, v17, v22
	s_and_saveexec_b64 s[4:5], vcc
	s_xor_b64 s[24:25], exec, s[4:5]
	s_cbranch_execz .LBB238_23
; %bb.20:                               ;   in Loop: Header=BB238_5 Depth=1
	v_mov_b32_e32 v10, 0
	v_cmp_neq_f32_e32 vcc, 0, v19
	s_and_saveexec_b64 s[26:27], vcc
	s_cbranch_execz .LBB238_22
; %bb.21:                               ;   in Loop: Header=BB238_5 Depth=1
	v_div_scale_f32 v10, s[4:5], v22, v22, v17
	v_rcp_f32_e32 v23, v10
	v_div_scale_f32 v24, vcc, v17, v22, v17
	v_fma_f32 v25, -v10, v23, 1.0
	v_fmac_f32_e32 v23, v25, v23
	v_mul_f32_e32 v25, v24, v23
	v_fma_f32 v26, -v10, v25, v24
	v_fmac_f32_e32 v25, v26, v23
	v_fma_f32 v10, -v10, v25, v24
	v_div_fmas_f32 v10, v10, v23, v25
	v_div_fixup_f32 v10, v10, v22, v17
	v_fma_f32 v10, v10, v10, 1.0
	v_mul_f32_e32 v17, 0x4f800000, v10
	v_cmp_gt_f32_e32 vcc, s34, v10
	s_nop 1
	v_cndmask_b32_e32 v10, v10, v17, vcc
	v_sqrt_f32_e32 v17, v10
	s_nop 0
	v_add_u32_e32 v23, -1, v17
	v_fma_f32 v24, -v23, v17, v10
	v_cmp_ge_f32_e64 s[4:5], 0, v24
	v_add_u32_e32 v24, 1, v17
	s_nop 0
	v_cndmask_b32_e64 v23, v17, v23, s[4:5]
	v_fma_f32 v17, -v24, v17, v10
	v_cmp_lt_f32_e64 s[4:5], 0, v17
	s_nop 1
	v_cndmask_b32_e64 v17, v23, v24, s[4:5]
	v_mul_f32_e32 v23, 0x37800000, v17
	v_cndmask_b32_e32 v17, v17, v23, vcc
	v_cmp_class_f32_e32 vcc, v10, v47
	s_nop 1
	v_cndmask_b32_e32 v10, v17, v10, vcc
	v_mul_f32_e32 v10, v22, v10
.LBB238_22:                             ;   in Loop: Header=BB238_5 Depth=1
	s_or_b64 exec, exec, s[26:27]
                                        ; implicit-def: $vgpr17
                                        ; implicit-def: $vgpr22
.LBB238_23:                             ;   in Loop: Header=BB238_5 Depth=1
	s_andn2_saveexec_b64 s[24:25], s[24:25]
	s_cbranch_execz .LBB238_25
; %bb.24:                               ;   in Loop: Header=BB238_5 Depth=1
	v_div_scale_f32 v10, s[4:5], v17, v17, v22
	v_rcp_f32_e32 v23, v10
	v_div_scale_f32 v24, vcc, v22, v17, v22
	v_fma_f32 v25, -v10, v23, 1.0
	v_fmac_f32_e32 v23, v25, v23
	v_mul_f32_e32 v25, v24, v23
	v_fma_f32 v26, -v10, v25, v24
	v_fmac_f32_e32 v25, v26, v23
	v_fma_f32 v10, -v10, v25, v24
	v_div_fmas_f32 v10, v10, v23, v25
	v_div_fixup_f32 v10, v10, v17, v22
	v_fma_f32 v10, v10, v10, 1.0
	v_mul_f32_e32 v22, 0x4f800000, v10
	v_cmp_gt_f32_e32 vcc, s34, v10
	s_nop 1
	v_cndmask_b32_e32 v10, v10, v22, vcc
	v_sqrt_f32_e32 v22, v10
	s_nop 0
	v_add_u32_e32 v23, -1, v22
	v_fma_f32 v24, -v23, v22, v10
	v_cmp_ge_f32_e64 s[4:5], 0, v24
	v_add_u32_e32 v24, 1, v22
	s_nop 0
	v_cndmask_b32_e64 v23, v22, v23, s[4:5]
	v_fma_f32 v22, -v24, v22, v10
	v_cmp_lt_f32_e64 s[4:5], 0, v22
	s_nop 1
	v_cndmask_b32_e64 v22, v23, v24, s[4:5]
	v_mul_f32_e32 v23, 0x37800000, v22
	v_cndmask_b32_e32 v22, v22, v23, vcc
	v_cmp_class_f32_e32 vcc, v10, v47
	s_nop 1
	v_cndmask_b32_e32 v10, v22, v10, vcc
	v_mul_f32_e32 v10, v17, v10
.LBB238_25:                             ;   in Loop: Header=BB238_5 Depth=1
	s_or_b64 exec, exec, s[24:25]
	v_cmp_gt_f32_e32 vcc, 0, v12
                                        ; implicit-def: $vgpr17
	s_nop 1
	v_cndmask_b32_e64 v22, v12, -v12, vcc
	v_cmp_gt_f32_e32 vcc, 0, v13
	s_nop 1
	v_cndmask_b32_e64 v23, v13, -v13, vcc
	v_cmp_ngt_f32_e32 vcc, v22, v23
	s_and_saveexec_b64 s[4:5], vcc
	s_xor_b64 s[24:25], exec, s[4:5]
	s_cbranch_execz .LBB238_29
; %bb.26:                               ;   in Loop: Header=BB238_5 Depth=1
	v_mov_b32_e32 v17, 0
	v_cmp_neq_f32_e32 vcc, 0, v13
	s_and_saveexec_b64 s[26:27], vcc
	s_cbranch_execz .LBB238_28
; %bb.27:                               ;   in Loop: Header=BB238_5 Depth=1
	v_div_scale_f32 v17, s[4:5], v23, v23, v22
	v_rcp_f32_e32 v24, v17
	v_div_scale_f32 v25, vcc, v22, v23, v22
	v_fma_f32 v26, -v17, v24, 1.0
	v_fmac_f32_e32 v24, v26, v24
	v_mul_f32_e32 v26, v25, v24
	v_fma_f32 v27, -v17, v26, v25
	v_fmac_f32_e32 v26, v27, v24
	v_fma_f32 v17, -v17, v26, v25
	v_div_fmas_f32 v17, v17, v24, v26
	v_div_fixup_f32 v17, v17, v23, v22
	v_fma_f32 v17, v17, v17, 1.0
	v_mul_f32_e32 v22, 0x4f800000, v17
	v_cmp_gt_f32_e32 vcc, s34, v17
	s_nop 1
	v_cndmask_b32_e32 v17, v17, v22, vcc
	v_sqrt_f32_e32 v22, v17
	s_nop 0
	v_add_u32_e32 v24, -1, v22
	v_fma_f32 v25, -v24, v22, v17
	v_cmp_ge_f32_e64 s[4:5], 0, v25
	v_add_u32_e32 v25, 1, v22
	s_nop 0
	v_cndmask_b32_e64 v24, v22, v24, s[4:5]
	v_fma_f32 v22, -v25, v22, v17
	v_cmp_lt_f32_e64 s[4:5], 0, v22
	s_nop 1
	v_cndmask_b32_e64 v22, v24, v25, s[4:5]
	v_mul_f32_e32 v24, 0x37800000, v22
	v_cndmask_b32_e32 v22, v22, v24, vcc
	v_cmp_class_f32_e32 vcc, v17, v47
	s_nop 1
	v_cndmask_b32_e32 v17, v22, v17, vcc
	v_mul_f32_e32 v17, v23, v17
.LBB238_28:                             ;   in Loop: Header=BB238_5 Depth=1
	s_or_b64 exec, exec, s[26:27]
                                        ; implicit-def: $vgpr22
                                        ; implicit-def: $vgpr23
.LBB238_29:                             ;   in Loop: Header=BB238_5 Depth=1
	s_andn2_saveexec_b64 s[24:25], s[24:25]
	s_cbranch_execz .LBB238_31
; %bb.30:                               ;   in Loop: Header=BB238_5 Depth=1
	v_div_scale_f32 v17, s[4:5], v22, v22, v23
	v_rcp_f32_e32 v24, v17
	v_div_scale_f32 v25, vcc, v23, v22, v23
	v_fma_f32 v26, -v17, v24, 1.0
	v_fmac_f32_e32 v24, v26, v24
	v_mul_f32_e32 v26, v25, v24
	v_fma_f32 v27, -v17, v26, v25
	v_fmac_f32_e32 v26, v27, v24
	v_fma_f32 v17, -v17, v26, v25
	v_div_fmas_f32 v17, v17, v24, v26
	v_div_fixup_f32 v17, v17, v22, v23
	v_fma_f32 v17, v17, v17, 1.0
	v_mul_f32_e32 v23, 0x4f800000, v17
	v_cmp_gt_f32_e32 vcc, s34, v17
	s_nop 1
	v_cndmask_b32_e32 v17, v17, v23, vcc
	v_sqrt_f32_e32 v23, v17
	s_nop 0
	v_add_u32_e32 v24, -1, v23
	v_fma_f32 v25, -v24, v23, v17
	v_cmp_ge_f32_e64 s[4:5], 0, v25
	v_add_u32_e32 v25, 1, v23
	s_nop 0
	v_cndmask_b32_e64 v24, v23, v24, s[4:5]
	v_fma_f32 v23, -v25, v23, v17
	v_cmp_lt_f32_e64 s[4:5], 0, v23
	s_nop 1
	v_cndmask_b32_e64 v23, v24, v25, s[4:5]
	v_mul_f32_e32 v24, 0x37800000, v23
	v_cndmask_b32_e32 v23, v23, v24, vcc
	v_cmp_class_f32_e32 vcc, v17, v47
	s_nop 1
	v_cndmask_b32_e32 v17, v23, v17, vcc
	v_mul_f32_e32 v17, v22, v17
.LBB238_31:                             ;   in Loop: Header=BB238_5 Depth=1
	s_or_b64 exec, exec, s[24:25]
	v_cmp_gt_f32_e32 vcc, 0, v14
                                        ; implicit-def: $vgpr28
	s_nop 1
	v_cndmask_b32_e64 v22, v14, -v14, vcc
	v_cmp_gt_f32_e32 vcc, 0, v15
	s_nop 1
	v_cndmask_b32_e64 v23, v15, -v15, vcc
	v_cmp_ngt_f32_e32 vcc, v22, v23
	s_and_saveexec_b64 s[4:5], vcc
	s_xor_b64 s[24:25], exec, s[4:5]
	s_cbranch_execz .LBB238_35
; %bb.32:                               ;   in Loop: Header=BB238_5 Depth=1
	v_mov_b32_e32 v28, 0
	v_cmp_neq_f32_e32 vcc, 0, v15
	s_and_saveexec_b64 s[26:27], vcc
	s_cbranch_execz .LBB238_34
; %bb.33:                               ;   in Loop: Header=BB238_5 Depth=1
	v_div_scale_f32 v24, s[4:5], v23, v23, v22
	v_rcp_f32_e32 v25, v24
	v_div_scale_f32 v26, vcc, v22, v23, v22
	v_fma_f32 v27, -v24, v25, 1.0
	v_fmac_f32_e32 v25, v27, v25
	v_mul_f32_e32 v27, v26, v25
	v_fma_f32 v28, -v24, v27, v26
	v_fmac_f32_e32 v27, v28, v25
	v_fma_f32 v24, -v24, v27, v26
	v_div_fmas_f32 v24, v24, v25, v27
	v_div_fixup_f32 v22, v24, v23, v22
	v_fma_f32 v22, v22, v22, 1.0
	v_mul_f32_e32 v24, 0x4f800000, v22
	v_cmp_gt_f32_e32 vcc, s34, v22
	s_nop 1
	v_cndmask_b32_e32 v22, v22, v24, vcc
	v_sqrt_f32_e32 v24, v22
	s_nop 0
	v_add_u32_e32 v25, -1, v24
	v_fma_f32 v26, -v25, v24, v22
	v_cmp_ge_f32_e64 s[4:5], 0, v26
	v_add_u32_e32 v26, 1, v24
	s_nop 0
	v_cndmask_b32_e64 v25, v24, v25, s[4:5]
	v_fma_f32 v24, -v26, v24, v22
	v_cmp_lt_f32_e64 s[4:5], 0, v24
	s_nop 1
	v_cndmask_b32_e64 v24, v25, v26, s[4:5]
	v_mul_f32_e32 v25, 0x37800000, v24
	v_cndmask_b32_e32 v24, v24, v25, vcc
	v_cmp_class_f32_e32 vcc, v22, v47
	s_nop 1
	v_cndmask_b32_e32 v22, v24, v22, vcc
	v_mul_f32_e32 v28, v23, v22
.LBB238_34:                             ;   in Loop: Header=BB238_5 Depth=1
	s_or_b64 exec, exec, s[26:27]
                                        ; implicit-def: $vgpr22
                                        ; implicit-def: $vgpr23
.LBB238_35:                             ;   in Loop: Header=BB238_5 Depth=1
	s_andn2_saveexec_b64 s[24:25], s[24:25]
	s_cbranch_execz .LBB238_37
; %bb.36:                               ;   in Loop: Header=BB238_5 Depth=1
	v_div_scale_f32 v24, s[4:5], v22, v22, v23
	v_rcp_f32_e32 v25, v24
	v_div_scale_f32 v26, vcc, v23, v22, v23
	v_fma_f32 v27, -v24, v25, 1.0
	v_fmac_f32_e32 v25, v27, v25
	v_mul_f32_e32 v27, v26, v25
	v_fma_f32 v28, -v24, v27, v26
	v_fmac_f32_e32 v27, v28, v25
	v_fma_f32 v24, -v24, v27, v26
	v_div_fmas_f32 v24, v24, v25, v27
	v_div_fixup_f32 v23, v24, v22, v23
	v_fma_f32 v23, v23, v23, 1.0
	v_mul_f32_e32 v24, 0x4f800000, v23
	v_cmp_gt_f32_e32 vcc, s34, v23
	s_nop 1
	v_cndmask_b32_e32 v23, v23, v24, vcc
	v_sqrt_f32_e32 v24, v23
	s_nop 0
	v_add_u32_e32 v25, -1, v24
	v_fma_f32 v26, -v25, v24, v23
	v_cmp_ge_f32_e64 s[4:5], 0, v26
	v_add_u32_e32 v26, 1, v24
	s_nop 0
	v_cndmask_b32_e64 v25, v24, v25, s[4:5]
	v_fma_f32 v24, -v26, v24, v23
	v_cmp_lt_f32_e64 s[4:5], 0, v24
	s_nop 1
	v_cndmask_b32_e64 v24, v25, v26, s[4:5]
	v_mul_f32_e32 v25, 0x37800000, v24
	v_cndmask_b32_e32 v24, v24, v25, vcc
	v_cmp_class_f32_e32 vcc, v23, v47
	s_nop 1
	v_cndmask_b32_e32 v23, v24, v23, vcc
	v_mul_f32_e32 v28, v22, v23
.LBB238_37:                             ;   in Loop: Header=BB238_5 Depth=1
	s_or_b64 exec, exec, s[24:25]
	v_cmp_gt_f32_e32 vcc, 0, v11
                                        ; implicit-def: $vgpr29
	s_nop 1
	v_cndmask_b32_e64 v22, v11, -v11, vcc
	v_cmp_gt_f32_e32 vcc, 0, v16
	s_nop 1
	v_cndmask_b32_e64 v23, v16, -v16, vcc
	v_cmp_ngt_f32_e32 vcc, v22, v23
	s_and_saveexec_b64 s[4:5], vcc
	s_xor_b64 s[24:25], exec, s[4:5]
	s_cbranch_execz .LBB238_41
; %bb.38:                               ;   in Loop: Header=BB238_5 Depth=1
	v_mov_b32_e32 v29, 0
	v_cmp_neq_f32_e32 vcc, 0, v16
	s_and_saveexec_b64 s[26:27], vcc
	s_cbranch_execz .LBB238_40
; %bb.39:                               ;   in Loop: Header=BB238_5 Depth=1
	v_div_scale_f32 v24, s[4:5], v23, v23, v22
	v_rcp_f32_e32 v25, v24
	v_div_scale_f32 v26, vcc, v22, v23, v22
	v_fma_f32 v27, -v24, v25, 1.0
	v_fmac_f32_e32 v25, v27, v25
	v_mul_f32_e32 v27, v26, v25
	v_fma_f32 v29, -v24, v27, v26
	v_fmac_f32_e32 v27, v29, v25
	v_fma_f32 v24, -v24, v27, v26
	v_div_fmas_f32 v24, v24, v25, v27
	v_div_fixup_f32 v22, v24, v23, v22
	v_fma_f32 v22, v22, v22, 1.0
	v_mul_f32_e32 v24, 0x4f800000, v22
	v_cmp_gt_f32_e32 vcc, s34, v22
	s_nop 1
	v_cndmask_b32_e32 v22, v22, v24, vcc
	v_sqrt_f32_e32 v24, v22
	s_nop 0
	v_add_u32_e32 v25, -1, v24
	v_fma_f32 v26, -v25, v24, v22
	v_cmp_ge_f32_e64 s[4:5], 0, v26
	v_add_u32_e32 v26, 1, v24
	s_nop 0
	v_cndmask_b32_e64 v25, v24, v25, s[4:5]
	v_fma_f32 v24, -v26, v24, v22
	v_cmp_lt_f32_e64 s[4:5], 0, v24
	s_nop 1
	v_cndmask_b32_e64 v24, v25, v26, s[4:5]
	v_mul_f32_e32 v25, 0x37800000, v24
	v_cndmask_b32_e32 v24, v24, v25, vcc
	v_cmp_class_f32_e32 vcc, v22, v47
	s_nop 1
	v_cndmask_b32_e32 v22, v24, v22, vcc
	v_mul_f32_e32 v29, v23, v22
.LBB238_40:                             ;   in Loop: Header=BB238_5 Depth=1
	s_or_b64 exec, exec, s[26:27]
                                        ; implicit-def: $vgpr22
                                        ; implicit-def: $vgpr23
.LBB238_41:                             ;   in Loop: Header=BB238_5 Depth=1
	s_andn2_saveexec_b64 s[24:25], s[24:25]
	s_cbranch_execz .LBB238_43
; %bb.42:                               ;   in Loop: Header=BB238_5 Depth=1
	v_div_scale_f32 v24, s[4:5], v22, v22, v23
	v_rcp_f32_e32 v25, v24
	v_div_scale_f32 v26, vcc, v23, v22, v23
	v_fma_f32 v27, -v24, v25, 1.0
	v_fmac_f32_e32 v25, v27, v25
	v_mul_f32_e32 v27, v26, v25
	v_fma_f32 v29, -v24, v27, v26
	v_fmac_f32_e32 v27, v29, v25
	v_fma_f32 v24, -v24, v27, v26
	v_div_fmas_f32 v24, v24, v25, v27
	v_div_fixup_f32 v23, v24, v22, v23
	v_fma_f32 v23, v23, v23, 1.0
	v_mul_f32_e32 v24, 0x4f800000, v23
	v_cmp_gt_f32_e32 vcc, s34, v23
	s_nop 1
	v_cndmask_b32_e32 v23, v23, v24, vcc
	v_sqrt_f32_e32 v24, v23
	s_nop 0
	v_add_u32_e32 v25, -1, v24
	v_fma_f32 v26, -v25, v24, v23
	v_cmp_ge_f32_e64 s[4:5], 0, v26
	v_add_u32_e32 v26, 1, v24
	s_nop 0
	v_cndmask_b32_e64 v25, v24, v25, s[4:5]
	v_fma_f32 v24, -v26, v24, v23
	v_cmp_lt_f32_e64 s[4:5], 0, v24
	s_nop 1
	v_cndmask_b32_e64 v24, v25, v26, s[4:5]
	v_mul_f32_e32 v25, 0x37800000, v24
	v_cndmask_b32_e32 v24, v24, v25, vcc
	v_cmp_class_f32_e32 vcc, v23, v47
	s_nop 1
	v_cndmask_b32_e32 v23, v24, v23, vcc
	v_mul_f32_e32 v29, v22, v23
.LBB238_43:                             ;   in Loop: Header=BB238_5 Depth=1
	s_or_b64 exec, exec, s[24:25]
	v_cmp_gt_f32_e32 vcc, 0, v6
                                        ; implicit-def: $vgpr30
	s_nop 1
	v_cndmask_b32_e64 v22, v6, -v6, vcc
	v_cmp_gt_f32_e32 vcc, 0, v7
	s_nop 1
	v_cndmask_b32_e64 v23, v7, -v7, vcc
	v_cmp_ngt_f32_e32 vcc, v22, v23
	s_and_saveexec_b64 s[4:5], vcc
	s_xor_b64 s[24:25], exec, s[4:5]
	s_cbranch_execz .LBB238_47
; %bb.44:                               ;   in Loop: Header=BB238_5 Depth=1
	v_mov_b32_e32 v30, 0
	v_cmp_neq_f32_e32 vcc, 0, v7
	s_and_saveexec_b64 s[26:27], vcc
	s_cbranch_execz .LBB238_46
; %bb.45:                               ;   in Loop: Header=BB238_5 Depth=1
	v_div_scale_f32 v24, s[4:5], v23, v23, v22
	v_rcp_f32_e32 v25, v24
	v_div_scale_f32 v26, vcc, v22, v23, v22
	v_fma_f32 v27, -v24, v25, 1.0
	v_fmac_f32_e32 v25, v27, v25
	v_mul_f32_e32 v27, v26, v25
	v_fma_f32 v30, -v24, v27, v26
	v_fmac_f32_e32 v27, v30, v25
	v_fma_f32 v24, -v24, v27, v26
	v_div_fmas_f32 v24, v24, v25, v27
	v_div_fixup_f32 v22, v24, v23, v22
	v_fma_f32 v22, v22, v22, 1.0
	v_mul_f32_e32 v24, 0x4f800000, v22
	v_cmp_gt_f32_e32 vcc, s34, v22
	s_nop 1
	v_cndmask_b32_e32 v22, v22, v24, vcc
	v_sqrt_f32_e32 v24, v22
	s_nop 0
	v_add_u32_e32 v25, -1, v24
	v_fma_f32 v26, -v25, v24, v22
	v_cmp_ge_f32_e64 s[4:5], 0, v26
	v_add_u32_e32 v26, 1, v24
	s_nop 0
	v_cndmask_b32_e64 v25, v24, v25, s[4:5]
	v_fma_f32 v24, -v26, v24, v22
	v_cmp_lt_f32_e64 s[4:5], 0, v24
	s_nop 1
	v_cndmask_b32_e64 v24, v25, v26, s[4:5]
	v_mul_f32_e32 v25, 0x37800000, v24
	v_cndmask_b32_e32 v24, v24, v25, vcc
	v_cmp_class_f32_e32 vcc, v22, v47
	s_nop 1
	v_cndmask_b32_e32 v22, v24, v22, vcc
	v_mul_f32_e32 v30, v23, v22
.LBB238_46:                             ;   in Loop: Header=BB238_5 Depth=1
	s_or_b64 exec, exec, s[26:27]
                                        ; implicit-def: $vgpr22
                                        ; implicit-def: $vgpr23
.LBB238_47:                             ;   in Loop: Header=BB238_5 Depth=1
	s_andn2_saveexec_b64 s[24:25], s[24:25]
	s_cbranch_execz .LBB238_49
; %bb.48:                               ;   in Loop: Header=BB238_5 Depth=1
	v_div_scale_f32 v24, s[4:5], v22, v22, v23
	v_rcp_f32_e32 v25, v24
	v_div_scale_f32 v26, vcc, v23, v22, v23
	v_fma_f32 v27, -v24, v25, 1.0
	v_fmac_f32_e32 v25, v27, v25
	v_mul_f32_e32 v27, v26, v25
	v_fma_f32 v30, -v24, v27, v26
	v_fmac_f32_e32 v27, v30, v25
	v_fma_f32 v24, -v24, v27, v26
	v_div_fmas_f32 v24, v24, v25, v27
	v_div_fixup_f32 v23, v24, v22, v23
	v_fma_f32 v23, v23, v23, 1.0
	v_mul_f32_e32 v24, 0x4f800000, v23
	v_cmp_gt_f32_e32 vcc, s34, v23
	s_nop 1
	v_cndmask_b32_e32 v23, v23, v24, vcc
	v_sqrt_f32_e32 v24, v23
	s_nop 0
	v_add_u32_e32 v25, -1, v24
	v_fma_f32 v26, -v25, v24, v23
	v_cmp_ge_f32_e64 s[4:5], 0, v26
	v_add_u32_e32 v26, 1, v24
	s_nop 0
	v_cndmask_b32_e64 v25, v24, v25, s[4:5]
	v_fma_f32 v24, -v26, v24, v23
	v_cmp_lt_f32_e64 s[4:5], 0, v24
	s_nop 1
	v_cndmask_b32_e64 v24, v25, v26, s[4:5]
	v_mul_f32_e32 v25, 0x37800000, v24
	v_cndmask_b32_e32 v24, v24, v25, vcc
	v_cmp_class_f32_e32 vcc, v23, v47
	s_nop 1
	v_cndmask_b32_e32 v23, v24, v23, vcc
	v_mul_f32_e32 v30, v22, v23
.LBB238_49:                             ;   in Loop: Header=BB238_5 Depth=1
	s_or_b64 exec, exec, s[24:25]
	v_pk_add_f32 v[22:23], v[8:9], 0 neg_lo:[1,1] neg_hi:[1,1]
                                        ; implicit-def: $vgpr33
	s_nop 0
	v_pk_mov_b32 v[26:27], v[22:23], v[8:9] op_sel:[1,0]
	s_nop 0
	v_pk_mul_f32 v[24:25], v[14:15], v[26:27] op_sel:[1,0]
	s_nop 0
	v_pk_fma_f32 v[24:25], v[8:9], v[14:15], v[24:25] op_sel_hi:[1,0,1]
	s_nop 0
	v_cmp_gt_f32_e32 vcc, 0, v24
	s_nop 1
	v_cndmask_b32_e64 v31, v24, -v24, vcc
	v_cmp_gt_f32_e32 vcc, 0, v25
	s_nop 1
	v_cndmask_b32_e64 v32, v25, -v25, vcc
	v_cmp_ngt_f32_e32 vcc, v31, v32
	s_and_saveexec_b64 s[4:5], vcc
	s_xor_b64 s[24:25], exec, s[4:5]
	s_cbranch_execz .LBB238_53
; %bb.50:                               ;   in Loop: Header=BB238_5 Depth=1
	v_mov_b32_e32 v33, 0
	v_cmp_neq_f32_e32 vcc, 0, v25
	s_and_saveexec_b64 s[26:27], vcc
	s_cbranch_execz .LBB238_52
; %bb.51:                               ;   in Loop: Header=BB238_5 Depth=1
	v_div_scale_f32 v33, s[4:5], v32, v32, v31
	v_rcp_f32_e32 v34, v33
	v_div_scale_f32 v35, vcc, v31, v32, v31
	v_fma_f32 v36, -v33, v34, 1.0
	v_fmac_f32_e32 v34, v36, v34
	v_mul_f32_e32 v36, v35, v34
	v_fma_f32 v37, -v33, v36, v35
	v_fmac_f32_e32 v36, v37, v34
	v_fma_f32 v33, -v33, v36, v35
	v_div_fmas_f32 v33, v33, v34, v36
	v_div_fixup_f32 v31, v33, v32, v31
	v_fma_f32 v31, v31, v31, 1.0
	v_mul_f32_e32 v33, 0x4f800000, v31
	v_cmp_gt_f32_e32 vcc, s34, v31
	s_nop 1
	v_cndmask_b32_e32 v31, v31, v33, vcc
	v_sqrt_f32_e32 v33, v31
	s_nop 0
	v_add_u32_e32 v34, -1, v33
	v_fma_f32 v35, -v34, v33, v31
	v_cmp_ge_f32_e64 s[4:5], 0, v35
	v_add_u32_e32 v35, 1, v33
	s_nop 0
	v_cndmask_b32_e64 v34, v33, v34, s[4:5]
	v_fma_f32 v33, -v35, v33, v31
	v_cmp_lt_f32_e64 s[4:5], 0, v33
	s_nop 1
	v_cndmask_b32_e64 v33, v34, v35, s[4:5]
	v_mul_f32_e32 v34, 0x37800000, v33
	v_cndmask_b32_e32 v33, v33, v34, vcc
	v_cmp_class_f32_e32 vcc, v31, v47
	s_nop 1
	v_cndmask_b32_e32 v31, v33, v31, vcc
	v_mul_f32_e32 v33, v32, v31
.LBB238_52:                             ;   in Loop: Header=BB238_5 Depth=1
	s_or_b64 exec, exec, s[26:27]
                                        ; implicit-def: $vgpr31
                                        ; implicit-def: $vgpr32
.LBB238_53:                             ;   in Loop: Header=BB238_5 Depth=1
	s_andn2_saveexec_b64 s[24:25], s[24:25]
	s_cbranch_execz .LBB238_55
; %bb.54:                               ;   in Loop: Header=BB238_5 Depth=1
	v_div_scale_f32 v33, s[4:5], v31, v31, v32
	v_rcp_f32_e32 v34, v33
	v_div_scale_f32 v35, vcc, v32, v31, v32
	v_fma_f32 v36, -v33, v34, 1.0
	v_fmac_f32_e32 v34, v36, v34
	v_mul_f32_e32 v36, v35, v34
	v_fma_f32 v37, -v33, v36, v35
	v_fmac_f32_e32 v36, v37, v34
	v_fma_f32 v33, -v33, v36, v35
	v_div_fmas_f32 v33, v33, v34, v36
	v_div_fixup_f32 v32, v33, v31, v32
	v_fma_f32 v32, v32, v32, 1.0
	v_mul_f32_e32 v33, 0x4f800000, v32
	v_cmp_gt_f32_e32 vcc, s34, v32
	s_nop 1
	v_cndmask_b32_e32 v32, v32, v33, vcc
	v_sqrt_f32_e32 v33, v32
	s_nop 0
	v_add_u32_e32 v34, -1, v33
	v_fma_f32 v35, -v34, v33, v32
	v_cmp_ge_f32_e64 s[4:5], 0, v35
	v_add_u32_e32 v35, 1, v33
	s_nop 0
	v_cndmask_b32_e64 v34, v33, v34, s[4:5]
	v_fma_f32 v33, -v35, v33, v32
	v_cmp_lt_f32_e64 s[4:5], 0, v33
	s_nop 1
	v_cndmask_b32_e64 v33, v34, v35, s[4:5]
	v_mul_f32_e32 v34, 0x37800000, v33
	v_cndmask_b32_e32 v33, v33, v34, vcc
	v_cmp_class_f32_e32 vcc, v32, v47
	s_nop 1
	v_cndmask_b32_e32 v32, v33, v32, vcc
	v_mul_f32_e32 v33, v31, v32
.LBB238_55:                             ;   in Loop: Header=BB238_5 Depth=1
	s_or_b64 exec, exec, s[24:25]
	v_cmp_lt_f32_e32 vcc, v5, v10
	v_cvt_f64_f32_e32 v[30:31], v30
	v_cmp_ne_u32_e64 s[4:5], s30, v4
	v_cndmask_b32_e32 v5, v5, v10, vcc
	v_cmp_lt_f32_e32 vcc, v17, v5
	s_nop 1
	v_cndmask_b32_e32 v5, v17, v5, vcc
	v_cmp_lt_f32_e32 vcc, v28, v5
	s_nop 1
	v_cndmask_b32_e32 v5, v28, v5, vcc
	v_cmp_lt_f32_e32 vcc, v29, v5
	s_nop 1
	v_cndmask_b32_e32 v5, v29, v5, vcc
	v_cvt_f64_f32_e32 v[28:29], v5
	v_mul_f64 v[28:29], v[28:29], v[30:31]
	v_cvt_f64_f32_e32 v[30:31], v33
	v_mul_f64 v[30:31], v[30:31], s[22:23]
	v_cmp_nge_f64_e32 vcc, v[28:29], v[30:31]
	s_and_b64 s[4:5], s[4:5], vcc
	s_and_saveexec_b64 s[24:25], s[4:5]
	s_xor_b64 s[4:5], exec, s[24:25]
	s_cbranch_execz .LBB238_61
; %bb.56:                               ;   in Loop: Header=BB238_5 Depth=1
	v_add_u32_e32 v30, v46, v4
	v_ashrrev_i32_e32 v31, 31, v30
	v_ashrrev_i32_e32 v5, 31, v4
	v_lshlrev_b64 v[34:35], 3, v[20:21]
	v_lshlrev_b64 v[26:27], 3, v[30:31]
	v_lshl_add_u64 v[52:53], v[4:5], 3, v[2:3]
	v_lshl_add_u64 v[54:55], s[12:13], 0, v[34:35]
	;; [unrolled: 1-line block ×3, first 2 shown]
	global_load_dwordx2 v[44:45], v[52:53], off
	global_load_dwordx2 v[56:57], v[42:43], off
	;; [unrolled: 1-line block ×3, first 2 shown]
	v_lshl_add_u64 v[32:33], s[12:13], 0, v[26:27]
	global_load_dwordx2 v[40:41], v[32:33], off
	v_xor_b32_e32 v28, 0x80000000, v7
	v_mov_b32_e32 v29, v6
	v_lshl_add_u64 v[62:63], v[20:21], 2, s[6:7]
	v_pk_mul_f32 v[20:21], v[12:13], v[28:29] op_sel:[1,0]
	v_pk_add_f32 v[60:61], v[14:15], 0 neg_lo:[1,1] neg_hi:[1,1]
	v_pk_fma_f32 v[20:21], v[6:7], v[12:13], v[20:21] op_sel_hi:[1,0,1]
	v_mov_b32_e32 v36, v11
	v_pk_add_f32 v[20:21], v[20:21], v[24:25] neg_lo:[0,1] neg_hi:[0,1]
	v_mov_b32_e32 v37, v16
	v_mul_f32_e32 v5, v21, v21
	v_fmac_f32_e32 v5, v20, v20
	v_fma_f32 v24, 0, v21, v20
	v_fma_f32 v21, v20, 0, -v21
	v_div_scale_f32 v20, s[24:25], v5, v5, 1.0
	v_rcp_f32_e32 v25, v20
	v_div_scale_f32 v51, vcc, 1.0, v5, 1.0
	v_pk_mov_b32 v[64:65], v[60:61], v[14:15] op_sel:[1,0]
	v_fma_f32 v66, -v20, v25, 1.0
	v_fmac_f32_e32 v25, v66, v25
	v_mul_f32_e32 v66, v51, v25
	v_fma_f32 v67, -v20, v66, v51
	v_fmac_f32_e32 v66, v67, v25
	v_fma_f32 v20, -v20, v66, v51
	v_pk_mov_b32 v[60:61], v[14:15], v[60:61] op_sel:[1,0]
	v_div_fmas_f32 v20, v20, v25, v66
	v_pk_mul_f32 v[60:61], v[36:37], v[60:61] op_sel:[1,0]
	v_div_fixup_f32 v5, v20, v5, 1.0
	v_pk_fma_f32 v[36:37], v[14:15], v[36:37], v[60:61] op_sel_hi:[1,0,1] neg_lo:[1,0,0] neg_hi:[1,0,0]
	v_mul_f32_e32 v20, v24, v5
	v_mul_f32_e32 v24, v21, v5
	v_xor_b32_e32 v60, 0x80000000, v37
	v_mov_b32_e32 v61, v36
	v_mov_b32_e32 v25, v24
	v_xor_b32_e32 v58, 0x80000000, v13
	v_mov_b32_e32 v59, v12
	v_mov_b32_e32 v21, v20
	v_pk_mul_f32 v[60:61], v[24:25], v[60:61] op_sel_hi:[0,1]
	v_lshl_add_u64 v[34:35], s[14:15], 0, v[34:35]
	v_pk_fma_f32 v[36:37], v[36:37], v[20:21], v[60:61] op_sel_hi:[1,0,1]
	global_store_dwordx2 v[34:35], v[36:37], off
	v_mov_b32_e32 v26, v6
	v_mov_b32_e32 v27, v6
	v_mov_b32_e32 v17, v16
	v_mov_b32_e32 v10, v11
	s_waitcnt vmcnt(4)
	v_pk_mul_f32 v[60:61], v[44:45], v[58:59] op_sel:[1,0]
	s_waitcnt vmcnt(3)
	v_pk_mul_f32 v[66:67], v[56:57], v[64:65] op_sel:[1,0]
	;; [unrolled: 2-line block ×3, first 2 shown]
	v_mov_b32_e32 v36, v45
	v_mov_b32_e32 v37, v45
	;; [unrolled: 1-line block ×4, first 2 shown]
	v_pk_fma_f32 v[60:61], v[12:13], v[44:45], v[60:61] op_sel_hi:[1,0,1]
	v_pk_fma_f32 v[58:59], v[12:13], v[38:39], v[58:59] op_sel_hi:[1,0,1]
	v_mov_b32_e32 v44, v57
	v_mov_b32_e32 v45, v57
	v_mov_b32_e32 v12, v56
	v_mov_b32_e32 v13, v56
	s_waitcnt vmcnt(1)
	v_pk_mul_f32 v[64:65], v[40:41], v[64:65] op_sel:[1,0]
	v_pk_fma_f32 v[56:57], v[14:15], v[56:57], v[66:67] op_sel_hi:[1,0,1]
	v_pk_fma_f32 v[14:15], v[14:15], v[40:41], v[64:65] op_sel_hi:[1,0,1]
	v_pk_add_f32 v[56:57], v[60:61], v[56:57] neg_lo:[0,1] neg_hi:[0,1]
	v_pk_add_f32 v[14:15], v[58:59], v[14:15] neg_lo:[0,1] neg_hi:[0,1]
	v_xor_b32_e32 v58, 0x80000000, v57
	v_mov_b32_e32 v59, v56
	v_xor_b32_e32 v60, 0x80000000, v15
	v_mov_b32_e32 v61, v14
	v_pk_mul_f32 v[58:59], v[24:25], v[58:59] op_sel_hi:[0,1]
	v_pk_mul_f32 v[60:61], v[24:25], v[60:61] op_sel_hi:[0,1]
	v_pk_fma_f32 v[56:57], v[56:57], v[20:21], v[58:59] op_sel_hi:[1,0,1]
	v_pk_fma_f32 v[14:15], v[14:15], v[20:21], v[60:61] op_sel_hi:[1,0,1]
	global_store_dwordx2 v[52:53], v[56:57], off
	global_store_dwordx2 v[54:55], v[14:15], off
	global_store_dword v[62:63], v48, off
	s_and_saveexec_b64 s[24:25], s[0:1]
	s_cbranch_execz .LBB238_58
; %bb.57:                               ;   in Loop: Header=BB238_5 Depth=1
	v_mov_b32_e32 v14, v39
	v_mov_b32_e32 v15, v39
	v_pk_mov_b32 v[54:55], v[8:9], v[22:23] op_sel:[1,0]
	v_mov_b32_e32 v39, v38
	v_mov_b32_e32 v52, v41
	;; [unrolled: 1-line block ×3, first 2 shown]
	v_pk_mul_f32 v[14:15], v[54:55], v[14:15]
	v_mov_b32_e32 v41, v40
	v_pk_fma_f32 v[14:15], v[8:9], v[38:39], v[14:15] neg_lo:[1,0,0] neg_hi:[1,0,0]
	v_pk_mul_f32 v[38:39], v[52:53], v[28:29]
	v_pk_mul_f32 v[56:57], v[54:55], v[36:37]
	v_pk_fma_f32 v[38:39], v[6:7], v[40:41], v[38:39]
	v_pk_mul_f32 v[58:59], v[44:45], v[28:29]
	v_pk_add_f32 v[14:15], v[14:15], v[38:39]
	v_pk_fma_f32 v[56:57], v[8:9], v[34:35], v[56:57] neg_lo:[1,0,0] neg_hi:[1,0,0]
	v_xor_b32_e32 v38, 0x80000000, v15
	v_mov_b32_e32 v39, v14
	v_pk_mul_f32 v[38:39], v[24:25], v[38:39]
	v_pk_fma_f32 v[58:59], v[6:7], v[12:13], v[58:59]
	v_pk_fma_f32 v[14:15], v[14:15], v[20:21], v[38:39]
	global_store_dwordx2 v[32:33], v[14:15], off
	v_pk_mul_f32 v[32:33], v[16:17], v[28:29]
	v_pk_add_f32 v[56:57], v[56:57], v[58:59]
	v_pk_fma_f32 v[32:33], v[6:7], v[10:11], v[32:33]
	v_xor_b32_e32 v58, 0x80000000, v57
	v_xor_b32_e32 v38, 0x80000000, v33
	v_mov_b32_e32 v39, v32
	v_mov_b32_e32 v59, v56
	v_pk_mul_f32 v[38:39], v[24:25], v[38:39]
	v_pk_mul_f32 v[58:59], v[24:25], v[58:59]
	v_lshl_add_u64 v[14:15], v[30:31], 3, s[14:15]
	v_pk_fma_f32 v[32:33], v[32:33], v[20:21], v[38:39]
	v_pk_fma_f32 v[56:57], v[56:57], v[20:21], v[58:59]
	global_store_dwordx2 v[14:15], v[32:33], off
	v_lshl_add_u64 v[14:15], v[30:31], 2, s[6:7]
	global_store_dwordx2 v[42:43], v[56:57], off
	global_store_dword v[14:15], v48, off
.LBB238_58:                             ;   in Loop: Header=BB238_5 Depth=1
	s_or_b64 exec, exec, s[24:25]
	v_mov_b32_e32 v51, v50
	v_mov_b64_e32 v[14:15], v[50:51]
	s_and_saveexec_b64 s[24:25], s[2:3]
	s_cbranch_execz .LBB238_60
; %bb.59:                               ;   in Loop: Header=BB238_5 Depth=1
	v_add_u32_e32 v14, v1, v4
	v_ashrrev_i32_e32 v15, 31, v14
	v_lshlrev_b64 v[14:15], 3, v[14:15]
	v_lshl_add_u64 v[30:31], s[10:11], 0, v[14:15]
	v_lshl_add_u64 v[14:15], s[18:19], 0, v[14:15]
	global_load_dwordx2 v[32:33], v[30:31], off
	v_mov_b32_e32 v38, v19
	global_load_dwordx2 v[14:15], v[14:15], off
	v_pk_mov_b32 v[22:23], v[8:9], v[22:23] op_sel:[1,0]
	v_xor_b32_e32 v40, 0x80000000, v19
	v_mov_b32_e32 v41, v18
	v_pk_mul_f32 v[22:23], v[38:39], v[22:23] op_sel_hi:[0,1]
	v_pk_mul_f32 v[28:29], v[38:39], v[28:29] op_sel_hi:[0,1]
	v_pk_mul_f32 v[38:39], v[6:7], v[40:41] op_sel:[1,0]
	v_pk_fma_f32 v[8:9], v[8:9], v[18:19], v[22:23] op_sel_hi:[1,0,1] neg_lo:[1,0,0] neg_hi:[1,0,0]
	v_pk_fma_f32 v[6:7], v[6:7], v[18:19], v[28:29] op_sel_hi:[1,0,1]
	v_pk_fma_f32 v[18:19], v[18:19], v[26:27], v[38:39]
	v_xor_b32_e32 v22, 0x80000000, v9
	v_mov_b32_e32 v23, v8
	v_xor_b32_e32 v26, 0x80000000, v7
	v_mov_b32_e32 v27, v6
	;; [unrolled: 2-line block ×3, first 2 shown]
	v_pk_mul_f32 v[22:23], v[24:25], v[22:23]
	v_pk_mul_f32 v[26:27], v[24:25], v[26:27]
	;; [unrolled: 1-line block ×3, first 2 shown]
	v_pk_fma_f32 v[8:9], v[8:9], v[20:21], v[22:23]
	v_pk_fma_f32 v[6:7], v[6:7], v[20:21], v[26:27]
	;; [unrolled: 1-line block ×3, first 2 shown]
	v_pk_add_f32 v[16:17], v[8:9], 0 neg_lo:[1,1] neg_hi:[1,1]
	v_xor_b32_e32 v18, 0x80000000, v7
	v_mov_b32_e32 v19, v6
	v_pk_mov_b32 v[16:17], v[8:9], v[16:17] op_sel:[1,0]
	v_xor_b32_e32 v22, 0x80000000, v11
	v_mov_b32_e32 v23, v10
	v_pk_mul_f32 v[18:19], v[44:45], v[18:19]
	v_pk_mul_f32 v[16:17], v[16:17], v[36:37]
	v_pk_mul_f32 v[22:23], v[24:25], v[22:23]
	v_pk_fma_f32 v[6:7], v[6:7], v[12:13], v[18:19]
	v_pk_fma_f32 v[8:9], v[8:9], v[34:35], v[16:17] neg_lo:[1,0,0] neg_hi:[1,0,0]
	v_pk_fma_f32 v[10:11], v[10:11], v[20:21], v[22:23]
	v_pk_add_f32 v[6:7], v[8:9], v[6:7] neg_lo:[0,1] neg_hi:[0,1]
	s_waitcnt vmcnt(0)
	v_pk_add_f32 v[14:15], v[14:15], v[10:11] neg_lo:[0,1] neg_hi:[0,1]
	v_pk_add_f32 v[6:7], v[6:7], v[32:33]
	global_store_dwordx2 v[30:31], v[6:7], off
.LBB238_60:                             ;   in Loop: Header=BB238_5 Depth=1
	s_or_b64 exec, exec, s[24:25]
	v_mov_b64_e32 v[6:7], v[14:15]
                                        ; implicit-def: $vgpr24_vgpr25
                                        ; implicit-def: $vgpr12_vgpr13
                                        ; implicit-def: $vgpr20_vgpr21
                                        ; implicit-def: $vgpr14_vgpr15
                                        ; implicit-def: $vgpr26_vgpr27
                                        ; implicit-def: $vgpr8_vgpr9
.LBB238_61:                             ;   in Loop: Header=BB238_5 Depth=1
	s_or_saveexec_b64 s[2:3], s[4:5]
	v_mov_b32_e32 v5, s33
	s_xor_b64 exec, exec, s[2:3]
	s_cbranch_execz .LBB238_4
; %bb.62:                               ;   in Loop: Header=BB238_5 Depth=1
	v_ashrrev_i32_e32 v5, 31, v4
	v_lshlrev_b64 v[16:17], 3, v[20:21]
	v_lshl_add_u64 v[18:19], v[4:5], 3, v[2:3]
	v_lshl_add_u64 v[22:23], s[12:13], 0, v[16:17]
	global_load_dwordx2 v[10:11], v[18:19], off
	global_load_dwordx2 v[28:29], v[22:23], off
	v_mul_f32_e32 v5, v7, v7
	v_fmac_f32_e32 v5, v6, v6
	v_fma_f32 v34, 0, v7, v6
	v_fma_f32 v7, v6, 0, -v7
	v_div_scale_f32 v6, s[4:5], v5, v5, 1.0
	v_lshl_add_u64 v[32:33], s[14:15], 0, v[16:17]
	v_rcp_f32_e32 v16, v6
	v_div_scale_f32 v17, vcc, 1.0, v5, 1.0
	v_pk_add_f32 v[30:31], v[14:15], 0 neg_lo:[1,1] neg_hi:[1,1]
	v_fma_f32 v35, -v6, v16, 1.0
	v_fmac_f32_e32 v16, v35, v16
	v_mul_f32_e32 v35, v17, v16
	v_fma_f32 v36, -v6, v35, v17
	v_fmac_f32_e32 v35, v36, v16
	v_fma_f32 v6, -v6, v35, v17
	v_div_fmas_f32 v6, v6, v16, v35
	v_div_fixup_f32 v5, v6, v5, 1.0
	v_pk_mov_b32 v[30:31], v[30:31], v[14:15] op_sel:[1,0]
	v_mul_f32_e32 v16, v7, v5
	v_mul_f32_e32 v6, v34, v5
	v_pk_mul_f32 v[30:31], v[16:17], v[30:31] op_sel_hi:[0,1]
	v_pk_fma_f32 v[14:15], v[14:15], v[6:7], v[30:31] op_sel_hi:[1,0,1]
	global_store_dwordx2 v[32:33], v[14:15], off
	v_lshl_add_u64 v[20:21], v[20:21], 2, s[6:7]
	s_waitcnt vmcnt(2)
	v_xor_b32_e32 v30, 0x80000000, v11
	v_mov_b32_e32 v31, v10
	s_waitcnt vmcnt(1)
	v_pk_mul_f32 v[32:33], v[16:17], v[28:29] op_sel:[0,1] op_sel_hi:[0,0] neg_lo:[0,1]
	v_mov_b32_e32 v14, v10
	v_mov_b32_e32 v15, v10
	v_pk_mul_f32 v[30:31], v[16:17], v[30:31] op_sel_hi:[0,1]
	v_pk_fma_f32 v[28:29], v[28:29], v[6:7], v[32:33] op_sel_hi:[1,0,1]
	v_pk_fma_f32 v[30:31], v[10:11], v[6:7], v[30:31] op_sel_hi:[1,0,1]
	global_store_dwordx2 v[22:23], v[28:29], off
	global_store_dwordx2 v[18:19], v[30:31], off
	global_store_dword v[20:21], v49, off
	s_and_saveexec_b64 s[4:5], s[0:1]
	s_cbranch_execz .LBB238_3
; %bb.63:                               ;   in Loop: Header=BB238_5 Depth=1
	v_add_u32_e32 v18, v46, v4
	v_ashrrev_i32_e32 v19, 31, v18
	v_lshl_add_u64 v[18:19], v[18:19], 3, s[10:11]
	global_load_dwordx2 v[20:21], v[18:19], off
	v_mov_b32_e32 v17, v16
	v_mov_b32_e32 v7, v6
	v_pk_mul_f32 v[22:23], v[16:17], v[26:27]
	s_nop 0
	v_pk_fma_f32 v[8:9], v[8:9], v[6:7], v[22:23]
	s_nop 0
	v_pk_add_f32 v[22:23], v[8:9], 0 neg_lo:[1,1] neg_hi:[1,1]
	s_nop 0
	v_pk_mov_b32 v[22:23], v[8:9], v[22:23] op_sel:[1,0]
	s_nop 0
	v_pk_mul_f32 v[10:11], v[22:23], v[10:11] op_sel:[0,1]
	s_nop 0
	v_pk_fma_f32 v[8:9], v[8:9], v[14:15], v[10:11] neg_lo:[1,0,0] neg_hi:[1,0,0]
	s_waitcnt vmcnt(0)
	v_pk_add_f32 v[8:9], v[8:9], v[20:21]
	global_store_dwordx2 v[18:19], v[8:9], off
	s_branch .LBB238_3
.LBB238_64:
	s_or_b64 exec, exec, s[20:21]
.LBB238_65:
	v_subrev_u32_e32 v1, s28, v4
	v_add_u32_e32 v4, v1, v0
	v_ashrrev_i32_e32 v5, 31, v4
	s_waitcnt lgkmcnt(0)
	v_lshl_add_u64 v[4:5], v[4:5], 2, s[6:7]
	buffer_wbl2 sc1
	s_waitcnt vmcnt(0)
	buffer_inv sc1
	global_load_dword v4, v[4:5], off
	s_waitcnt vmcnt(0)
	v_mul_lo_u32 v4, v4, s28
	v_sub_u32_e32 v4, v1, v4
	v_cmp_lt_i32_e32 vcc, -1, v4
	s_and_b64 exec, exec, vcc
	s_cbranch_execz .LBB238_72
; %bb.66:
	v_subrev_u32_e32 v1, s28, v0
	s_lshl_b32 s4, s28, 1
	s_mov_b64 s[0:1], 0
	s_branch .LBB238_68
.LBB238_67:                             ;   in Loop: Header=BB238_68 Depth=1
	s_or_b64 exec, exec, s[2:3]
	v_lshl_add_u64 v[6:7], v[6:7], 3, s[12:13]
	global_load_dwordx2 v[8:9], v[6:7], off
	v_sub_u32_e32 v4, v4, v5
	v_cmp_gt_i32_e32 vcc, 0, v4
	s_or_b64 s[0:1], vcc, s[0:1]
	s_waitcnt vmcnt(0)
	v_pk_add_f32 v[8:9], v[8:9], v[10:11]
	global_store_dwordx2 v[6:7], v[8:9], off
	s_andn2_b64 exec, exec, s[0:1]
	s_cbranch_execz .LBB238_72
.LBB238_68:                             ; =>This Inner Loop Header: Depth=1
	v_add_u32_e32 v6, v4, v0
	v_ashrrev_i32_e32 v7, 31, v6
	v_lshl_add_u64 v[8:9], v[6:7], 2, s[6:7]
	global_load_dword v5, v[8:9], off
	v_lshl_add_u64 v[8:9], v[6:7], 3, s[14:15]
	global_load_dwordx2 v[8:9], v[8:9], off
                                        ; implicit-def: $vgpr10_vgpr11
	s_waitcnt vmcnt(1)
	v_cmp_ne_u32_e32 vcc, 1, v5
	s_and_saveexec_b64 s[2:3], vcc
	s_xor_b64 s[2:3], exec, s[2:3]
	s_cbranch_execz .LBB238_70
; %bb.69:                               ;   in Loop: Header=BB238_68 Depth=1
	v_add_u32_e32 v10, v46, v4
	v_ashrrev_i32_e32 v11, 31, v10
	v_lshlrev_b64 v[10:11], 3, v[10:11]
	v_lshl_add_u64 v[12:13], s[10:11], 0, v[10:11]
	global_load_dwordx2 v[14:15], v[12:13], off
	v_ashrrev_i32_e32 v5, 31, v4
	v_lshl_add_u64 v[10:11], s[12:13], 0, v[10:11]
	global_load_dwordx2 v[16:17], v[10:11], off
	v_lshl_add_u64 v[18:19], v[4:5], 3, v[2:3]
	global_load_dwordx2 v[20:21], v[18:19], off
	;; [unrolled: 2-line block ×3, first 2 shown]
	v_add_u32_e32 v24, v1, v4
	s_waitcnt vmcnt(4)
	v_pk_add_f32 v[26:27], v[8:9], 0 neg_lo:[1,1] neg_hi:[1,1]
	v_ashrrev_i32_e32 v25, 31, v24
	v_pk_mov_b32 v[26:27], v[8:9], v[26:27] op_sel:[1,0]
	v_lshlrev_b64 v[28:29], 3, v[24:25]
	v_lshl_add_u64 v[30:31], s[14:15], 0, v[28:29]
	global_load_dwordx2 v[30:31], v[30:31], off
	s_waitcnt vmcnt(4)
	v_pk_mul_f32 v[32:33], v[26:27], v[14:15] op_sel:[0,1]
	s_nop 0
	v_pk_fma_f32 v[14:15], v[8:9], v[14:15], v[32:33] op_sel_hi:[1,0,1] neg_lo:[1,0,0] neg_hi:[1,0,0]
	s_waitcnt vmcnt(3)
	v_pk_mul_f32 v[26:27], v[26:27], v[16:17] op_sel:[0,1]
	s_nop 0
	v_pk_fma_f32 v[8:9], v[8:9], v[16:17], v[26:27] op_sel_hi:[1,0,1] neg_lo:[1,0,0] neg_hi:[1,0,0]
	s_waitcnt vmcnt(2)
	v_pk_add_f32 v[14:15], v[20:21], v[14:15]
	s_waitcnt vmcnt(1)
	v_pk_add_f32 v[8:9], v[22:23], v[8:9]
	global_store_dwordx2 v[18:19], v[14:15], off
	global_store_dwordx2 v[6:7], v[8:9], off
	global_load_dwordx2 v[6:7], v[12:13], off
	s_nop 0
	global_load_dwordx2 v[8:9], v[10:11], off
	v_lshl_add_u64 v[12:13], s[10:11], 0, v[28:29]
	global_load_dwordx2 v[14:15], v[12:13], off
	s_waitcnt vmcnt(5)
	v_pk_add_f32 v[10:11], v[30:31], 0 neg_lo:[1,1] neg_hi:[1,1]
	s_nop 0
	v_pk_mov_b32 v[10:11], v[30:31], v[10:11] op_sel:[1,0]
	s_waitcnt vmcnt(2)
	v_pk_mul_f32 v[16:17], v[10:11], v[6:7] op_sel:[0,1]
	s_nop 0
	v_pk_fma_f32 v[6:7], v[30:31], v[6:7], v[16:17] op_sel_hi:[1,0,1] neg_lo:[1,0,0] neg_hi:[1,0,0]
	s_waitcnt vmcnt(1)
	v_pk_mul_f32 v[10:11], v[8:9], v[10:11] op_sel:[1,0]
	s_waitcnt vmcnt(0)
	v_pk_add_f32 v[6:7], v[14:15], v[6:7]
	v_pk_fma_f32 v[10:11], v[30:31], v[8:9], v[10:11] op_sel_hi:[1,0,1] neg_lo:[1,0,0] neg_hi:[1,0,0]
	global_store_dwordx2 v[12:13], v[6:7], off
	v_mov_b64_e32 v[6:7], v[24:25]
                                        ; implicit-def: $vgpr8_vgpr9
.LBB238_70:                             ;   in Loop: Header=BB238_68 Depth=1
	s_or_saveexec_b64 s[2:3], s[2:3]
	v_mov_b32_e32 v5, s4
	s_xor_b64 exec, exec, s[2:3]
	s_cbranch_execz .LBB238_67
; %bb.71:                               ;   in Loop: Header=BB238_68 Depth=1
	v_add_u32_e32 v10, v46, v4
	v_ashrrev_i32_e32 v11, 31, v10
	v_lshlrev_b64 v[10:11], 3, v[10:11]
	v_lshl_add_u64 v[12:13], s[10:11], 0, v[10:11]
	global_load_dwordx2 v[12:13], v[12:13], off
	v_lshl_add_u64 v[10:11], s[12:13], 0, v[10:11]
	v_ashrrev_i32_e32 v5, 31, v4
	global_load_dwordx2 v[10:11], v[10:11], off
	v_lshl_add_u64 v[14:15], v[4:5], 3, v[2:3]
	global_load_dwordx2 v[16:17], v[14:15], off
	s_waitcnt vmcnt(3)
	v_pk_add_f32 v[18:19], v[8:9], 0 neg_lo:[1,1] neg_hi:[1,1]
	v_mov_b32_e32 v5, s28
	v_pk_mov_b32 v[18:19], v[8:9], v[18:19] op_sel:[1,0]
	s_waitcnt vmcnt(2)
	v_pk_mul_f32 v[20:21], v[18:19], v[12:13] op_sel:[0,1]
	s_nop 0
	v_pk_fma_f32 v[12:13], v[8:9], v[12:13], v[20:21] op_sel_hi:[1,0,1] neg_lo:[1,0,0] neg_hi:[1,0,0]
	s_waitcnt vmcnt(1)
	v_pk_mul_f32 v[18:19], v[18:19], v[10:11] op_sel:[0,1]
	s_nop 0
	v_pk_fma_f32 v[10:11], v[8:9], v[10:11], v[18:19] op_sel_hi:[1,0,1] neg_lo:[1,0,0] neg_hi:[1,0,0]
	s_waitcnt vmcnt(0)
	v_pk_add_f32 v[8:9], v[16:17], v[12:13]
	global_store_dwordx2 v[14:15], v[8:9], off
	s_branch .LBB238_67
.LBB238_72:
	s_endpgm
	.section	.rodata,"a",@progbits
	.p2align	6, 0x0
	.amdhsa_kernel _ZN9rocsparseL18gtsv_LBM_wv_kernelILj256ELj64E21rocsparse_complex_numIfEEEviiiPKT1_S5_S5_PS3_S6_S6_Pi
		.amdhsa_group_segment_fixed_size 0
		.amdhsa_private_segment_fixed_size 0
		.amdhsa_kernarg_size 72
		.amdhsa_user_sgpr_count 2
		.amdhsa_user_sgpr_dispatch_ptr 0
		.amdhsa_user_sgpr_queue_ptr 0
		.amdhsa_user_sgpr_kernarg_segment_ptr 1
		.amdhsa_user_sgpr_dispatch_id 0
		.amdhsa_user_sgpr_kernarg_preload_length 0
		.amdhsa_user_sgpr_kernarg_preload_offset 0
		.amdhsa_user_sgpr_private_segment_size 0
		.amdhsa_uses_dynamic_stack 0
		.amdhsa_enable_private_segment 0
		.amdhsa_system_sgpr_workgroup_id_x 1
		.amdhsa_system_sgpr_workgroup_id_y 0
		.amdhsa_system_sgpr_workgroup_id_z 0
		.amdhsa_system_sgpr_workgroup_info 0
		.amdhsa_system_vgpr_workitem_id 0
		.amdhsa_next_free_vgpr 68
		.amdhsa_next_free_sgpr 35
		.amdhsa_accum_offset 68
		.amdhsa_reserve_vcc 1
		.amdhsa_float_round_mode_32 0
		.amdhsa_float_round_mode_16_64 0
		.amdhsa_float_denorm_mode_32 3
		.amdhsa_float_denorm_mode_16_64 3
		.amdhsa_dx10_clamp 1
		.amdhsa_ieee_mode 1
		.amdhsa_fp16_overflow 0
		.amdhsa_tg_split 0
		.amdhsa_exception_fp_ieee_invalid_op 0
		.amdhsa_exception_fp_denorm_src 0
		.amdhsa_exception_fp_ieee_div_zero 0
		.amdhsa_exception_fp_ieee_overflow 0
		.amdhsa_exception_fp_ieee_underflow 0
		.amdhsa_exception_fp_ieee_inexact 0
		.amdhsa_exception_int_div_zero 0
	.end_amdhsa_kernel
	.section	.text._ZN9rocsparseL18gtsv_LBM_wv_kernelILj256ELj64E21rocsparse_complex_numIfEEEviiiPKT1_S5_S5_PS3_S6_S6_Pi,"axG",@progbits,_ZN9rocsparseL18gtsv_LBM_wv_kernelILj256ELj64E21rocsparse_complex_numIfEEEviiiPKT1_S5_S5_PS3_S6_S6_Pi,comdat
.Lfunc_end238:
	.size	_ZN9rocsparseL18gtsv_LBM_wv_kernelILj256ELj64E21rocsparse_complex_numIfEEEviiiPKT1_S5_S5_PS3_S6_S6_Pi, .Lfunc_end238-_ZN9rocsparseL18gtsv_LBM_wv_kernelILj256ELj64E21rocsparse_complex_numIfEEEviiiPKT1_S5_S5_PS3_S6_S6_Pi
                                        ; -- End function
	.set _ZN9rocsparseL18gtsv_LBM_wv_kernelILj256ELj64E21rocsparse_complex_numIfEEEviiiPKT1_S5_S5_PS3_S6_S6_Pi.num_vgpr, 68
	.set _ZN9rocsparseL18gtsv_LBM_wv_kernelILj256ELj64E21rocsparse_complex_numIfEEEviiiPKT1_S5_S5_PS3_S6_S6_Pi.num_agpr, 0
	.set _ZN9rocsparseL18gtsv_LBM_wv_kernelILj256ELj64E21rocsparse_complex_numIfEEEviiiPKT1_S5_S5_PS3_S6_S6_Pi.numbered_sgpr, 35
	.set _ZN9rocsparseL18gtsv_LBM_wv_kernelILj256ELj64E21rocsparse_complex_numIfEEEviiiPKT1_S5_S5_PS3_S6_S6_Pi.num_named_barrier, 0
	.set _ZN9rocsparseL18gtsv_LBM_wv_kernelILj256ELj64E21rocsparse_complex_numIfEEEviiiPKT1_S5_S5_PS3_S6_S6_Pi.private_seg_size, 0
	.set _ZN9rocsparseL18gtsv_LBM_wv_kernelILj256ELj64E21rocsparse_complex_numIfEEEviiiPKT1_S5_S5_PS3_S6_S6_Pi.uses_vcc, 1
	.set _ZN9rocsparseL18gtsv_LBM_wv_kernelILj256ELj64E21rocsparse_complex_numIfEEEviiiPKT1_S5_S5_PS3_S6_S6_Pi.uses_flat_scratch, 0
	.set _ZN9rocsparseL18gtsv_LBM_wv_kernelILj256ELj64E21rocsparse_complex_numIfEEEviiiPKT1_S5_S5_PS3_S6_S6_Pi.has_dyn_sized_stack, 0
	.set _ZN9rocsparseL18gtsv_LBM_wv_kernelILj256ELj64E21rocsparse_complex_numIfEEEviiiPKT1_S5_S5_PS3_S6_S6_Pi.has_recursion, 0
	.set _ZN9rocsparseL18gtsv_LBM_wv_kernelILj256ELj64E21rocsparse_complex_numIfEEEviiiPKT1_S5_S5_PS3_S6_S6_Pi.has_indirect_call, 0
	.section	.AMDGPU.csdata,"",@progbits
; Kernel info:
; codeLenInByte = 6480
; TotalNumSgprs: 41
; NumVgprs: 68
; NumAgprs: 0
; TotalNumVgprs: 68
; ScratchSize: 0
; MemoryBound: 0
; FloatMode: 240
; IeeeMode: 1
; LDSByteSize: 0 bytes/workgroup (compile time only)
; SGPRBlocks: 5
; VGPRBlocks: 8
; NumSGPRsForWavesPerEU: 41
; NumVGPRsForWavesPerEU: 68
; AccumOffset: 68
; Occupancy: 7
; WaveLimiterHint : 0
; COMPUTE_PGM_RSRC2:SCRATCH_EN: 0
; COMPUTE_PGM_RSRC2:USER_SGPR: 2
; COMPUTE_PGM_RSRC2:TRAP_HANDLER: 0
; COMPUTE_PGM_RSRC2:TGID_X_EN: 1
; COMPUTE_PGM_RSRC2:TGID_Y_EN: 0
; COMPUTE_PGM_RSRC2:TGID_Z_EN: 0
; COMPUTE_PGM_RSRC2:TIDIG_COMP_CNT: 0
; COMPUTE_PGM_RSRC3_GFX90A:ACCUM_OFFSET: 16
; COMPUTE_PGM_RSRC3_GFX90A:TG_SPLIT: 0
	.section	.text._ZN9rocsparseL19gtsv_LBM_rhs_kernelILj256ELj64ELj8E21rocsparse_complex_numIfEEEviiiPKT2_S5_S5_PS3_S5_PKi,"axG",@progbits,_ZN9rocsparseL19gtsv_LBM_rhs_kernelILj256ELj64ELj8E21rocsparse_complex_numIfEEEviiiPKT2_S5_S5_PS3_S5_PKi,comdat
	.globl	_ZN9rocsparseL19gtsv_LBM_rhs_kernelILj256ELj64ELj8E21rocsparse_complex_numIfEEEviiiPKT2_S5_S5_PS3_S5_PKi ; -- Begin function _ZN9rocsparseL19gtsv_LBM_rhs_kernelILj256ELj64ELj8E21rocsparse_complex_numIfEEEviiiPKT2_S5_S5_PS3_S5_PKi
	.p2align	8
	.type	_ZN9rocsparseL19gtsv_LBM_rhs_kernelILj256ELj64ELj8E21rocsparse_complex_numIfEEEviiiPKT2_S5_S5_PS3_S5_PKi,@function
_ZN9rocsparseL19gtsv_LBM_rhs_kernelILj256ELj64ELj8E21rocsparse_complex_numIfEEEviiiPKT2_S5_S5_PS3_S5_PKi: ; @_ZN9rocsparseL19gtsv_LBM_rhs_kernelILj256ELj64ELj8E21rocsparse_complex_numIfEEEviiiPKT2_S5_S5_PS3_S5_PKi
; %bb.0:
	s_load_dword s23, s[0:1], 0x0
	v_lshl_or_b32 v0, s2, 8, v0
	s_waitcnt lgkmcnt(0)
	s_lshr_b32 s22, s23, 6
	v_cmp_gt_i32_e32 vcc, s22, v0
	s_and_saveexec_b64 s[4:5], vcc
	s_cbranch_execz .LBB239_29
; %bb.1:
	s_load_dwordx4 s[8:11], s[0:1], 0x28
	s_load_dwordx2 s[6:7], s[0:1], 0x38
	s_cmp_lt_i32 s23, 1
	v_add_u32_e32 v92, s22, v0
	s_mul_i32 s24, s3, s23
	s_cbranch_scc1 .LBB239_21
; %bb.2:
	s_load_dwordx4 s[12:15], s[0:1], 0x10
	s_load_dwordx2 s[16:17], s[0:1], 0x20
	v_ashrrev_i32_e32 v1, 31, v0
	s_lshl_b32 s28, s24, 3
	s_add_i32 s29, s28, s23
	s_waitcnt lgkmcnt(0)
	v_lshl_add_u64 v[2:3], v[0:1], 3, s[14:15]
	global_load_dwordx2 v[4:5], v[2:3], off
	s_add_i32 s30, s29, s23
	s_add_i32 s31, s30, s23
	;; [unrolled: 1-line block ×5, first 2 shown]
	s_mul_i32 s25, s22, 63
	s_mul_i32 s26, s22, 62
	s_lshl_b32 s27, s22, 1
	v_add_u32_e32 v1, s22, v92
	s_add_i32 s36, s35, s23
	v_mov_b32_e32 v3, 0
	s_mov_b64 s[18:19], 0
	v_mov_b32_e32 v93, 0
	s_branch .LBB239_5
.LBB239_3:                              ;   in Loop: Header=BB239_5 Depth=1
	s_or_b64 exec, exec, s[4:5]
	v_mov_b32_e32 v19, v6
	v_pk_mul_f32 v[10:11], v[12:13], v[18:19] op_sel:[1,0]
	s_nop 0
	v_pk_fma_f32 v[6:7], v[6:7], v[12:13], v[10:11] op_sel_hi:[1,0,1]
	s_nop 0
	v_xor_b32_e32 v10, 0x80000000, v7
	v_mov_b32_e32 v11, v6
	v_pk_mul_f32 v[8:9], v[8:9], v[10:11] op_sel_hi:[0,1]
	v_pk_fma_f32 v[4:5], v[6:7], v[4:5], v[8:9] op_sel_hi:[1,0,1]
	v_mov_b32_e32 v8, s22
	v_pk_add_f32 v[4:5], v[14:15], v[4:5] neg_lo:[0,1] neg_hi:[0,1]
.LBB239_4:                              ;   in Loop: Header=BB239_5 Depth=1
	s_or_b64 exec, exec, s[2:3]
	v_add_u32_e32 v93, v8, v93
	v_cmp_le_i32_e32 vcc, s23, v93
	s_or_b64 s[18:19], vcc, s[18:19]
	s_andn2_b64 exec, exec, s[18:19]
	s_cbranch_execz .LBB239_20
.LBB239_5:                              ; =>This Inner Loop Header: Depth=1
	v_add_u32_e32 v16, v93, v0
	v_ashrrev_i32_e32 v17, 31, v16
	v_lshl_add_u64 v[6:7], v[16:17], 3, s[16:17]
	global_load_dwordx2 v[12:13], v[6:7], off
	v_cmp_gt_u32_e64 s[0:1], s25, v93
	v_mov_b32_e32 v6, 0
	v_mov_b32_e32 v7, 0
	s_and_saveexec_b64 s[2:3], s[0:1]
	s_cbranch_execz .LBB239_7
; %bb.6:                                ;   in Loop: Header=BB239_5 Depth=1
	v_add_u32_e32 v6, v92, v93
	v_ashrrev_i32_e32 v7, 31, v6
	v_lshl_add_u64 v[6:7], v[6:7], 3, s[12:13]
	global_load_dwordx2 v[6:7], v[6:7], off
.LBB239_7:                              ;   in Loop: Header=BB239_5 Depth=1
	s_or_b64 exec, exec, s[2:3]
	v_mov_b32_e32 v8, 0
	v_mov_b32_e32 v14, 0
	;; [unrolled: 1-line block ×3, first 2 shown]
	s_and_saveexec_b64 s[2:3], s[0:1]
	s_cbranch_execz .LBB239_9
; %bb.8:                                ;   in Loop: Header=BB239_5 Depth=1
	v_add_u32_e32 v10, v92, v93
	v_ashrrev_i32_e32 v11, 31, v10
	v_lshl_add_u64 v[10:11], v[10:11], 3, s[14:15]
	global_load_dwordx2 v[14:15], v[10:11], off
.LBB239_9:                              ;   in Loop: Header=BB239_5 Depth=1
	s_or_b64 exec, exec, s[2:3]
	v_mov_b32_e32 v9, 0
	s_and_saveexec_b64 s[2:3], s[0:1]
	s_cbranch_execz .LBB239_11
; %bb.10:                               ;   in Loop: Header=BB239_5 Depth=1
	v_add_u32_e32 v8, v92, v93
	v_ashrrev_i32_e32 v9, 31, v8
	v_lshl_add_u64 v[8:9], v[8:9], 3, s[16:17]
	global_load_dwordx2 v[8:9], v[8:9], off
.LBB239_11:                             ;   in Loop: Header=BB239_5 Depth=1
	s_or_b64 exec, exec, s[2:3]
	v_cmp_gt_u32_e64 s[2:3], s26, v93
	v_mov_b32_e32 v10, 0
	v_mov_b32_e32 v11, 0
	s_and_saveexec_b64 s[4:5], s[2:3]
	s_cbranch_execz .LBB239_13
; %bb.12:                               ;   in Loop: Header=BB239_5 Depth=1
	v_add_u32_e32 v10, v1, v93
	v_ashrrev_i32_e32 v11, 31, v10
	v_lshl_add_u64 v[10:11], v[10:11], 3, s[12:13]
	global_load_dwordx2 v[10:11], v[10:11], off
.LBB239_13:                             ;   in Loop: Header=BB239_5 Depth=1
	s_or_b64 exec, exec, s[4:5]
	v_lshl_add_u64 v[18:19], v[16:17], 2, s[6:7]
	global_load_dword v17, v[18:19], off
	v_cmp_ne_u32_e32 vcc, s25, v93
	v_add_u32_e32 v2, s28, v16
	v_add_u32_e32 v38, s29, v16
	;; [unrolled: 1-line block ×8, first 2 shown]
	s_waitcnt vmcnt(1)
	v_xor_b32_e32 v18, 0x80000000, v7
	s_waitcnt vmcnt(0)
	v_cmp_ne_u32_e64 s[4:5], 1, v17
	s_and_b64 s[4:5], vcc, s[4:5]
	s_and_saveexec_b64 s[20:21], s[4:5]
	s_xor_b64 s[4:5], exec, s[20:21]
	s_cbranch_execz .LBB239_17
; %bb.14:                               ;   in Loop: Header=BB239_5 Depth=1
	v_add_u32_e32 v46, v92, v93
	v_lshl_add_u64 v[30:31], v[2:3], 3, s[8:9]
	v_add_u32_e32 v2, s28, v46
	v_mov_b32_e32 v39, v3
	v_mov_b32_e32 v35, v3
	v_lshl_add_u64 v[22:23], v[2:3], 3, s[8:9]
	v_lshl_add_u64 v[38:39], v[38:39], 3, s[8:9]
	;; [unrolled: 1-line block ×3, first 2 shown]
	global_load_dwordx2 v[36:37], v[30:31], off
	global_load_dwordx2 v[42:43], v[38:39], off
	;; [unrolled: 1-line block ×4, first 2 shown]
	v_add_u32_e32 v2, s29, v46
	v_lshl_add_u64 v[90:91], v[2:3], 3, s[8:9]
	v_xor_b32_e32 v16, 0x80000000, v5
	v_mov_b32_e32 v33, v3
	v_mov_b32_e32 v17, v4
	;; [unrolled: 1-line block ×3, first 2 shown]
	global_load_dwordx2 v[44:45], v[90:91], off
	v_mov_b32_e32 v21, v3
	v_lshl_add_u64 v[48:49], v[32:33], 3, s[8:9]
	v_pk_mul_f32 v[32:33], v[14:15], v[16:17] op_sel:[1,0]
	v_pk_mul_f32 v[18:19], v[12:13], v[18:19] op_sel:[1,0]
	v_add_u32_e32 v2, s30, v46
	v_lshl_add_u64 v[96:97], v[2:3], 3, s[8:9]
	v_lshl_add_u64 v[98:99], v[20:21], 3, s[8:9]
	v_pk_fma_f32 v[20:21], v[4:5], v[14:15], v[32:33] op_sel_hi:[1,0,1]
	v_pk_fma_f32 v[18:19], v[6:7], v[12:13], v[18:19] op_sel_hi:[1,0,1]
	global_load_dwordx2 v[54:55], v[96:97], off
	v_pk_add_f32 v[18:19], v[20:21], v[18:19] neg_lo:[0,1] neg_hi:[0,1]
	v_add_u32_e32 v2, s31, v46
	v_mul_f32_e32 v20, v19, v19
	v_mov_b32_e32 v29, v3
	v_mov_b32_e32 v27, v3
	;; [unrolled: 1-line block ×3, first 2 shown]
	v_lshl_add_u64 v[102:103], v[2:3], 3, s[8:9]
	v_fmac_f32_e32 v20, v18, v18
	v_lshl_add_u64 v[28:29], v[28:29], 3, s[8:9]
	v_lshl_add_u64 v[26:27], v[26:27], 3, s[8:9]
	;; [unrolled: 1-line block ×3, first 2 shown]
	global_load_dwordx2 v[56:57], v[48:49], off
	global_load_dwordx2 v[58:59], v[28:29], off
	global_load_dwordx2 v[62:63], v[26:27], off
	global_load_dwordx2 v[100:101], v[24:25], off
	global_load_dwordx2 v[66:67], v[102:103], off
	v_fma_f32 v21, 0, v19, v18
	v_fma_f32 v19, v18, 0, -v19
	v_add_u32_e32 v2, s33, v46
	v_div_scale_f32 v18, s[20:21], v20, v20, 1.0
	v_lshl_add_u64 v[104:105], v[2:3], 3, s[8:9]
	v_rcp_f32_e32 v33, v18
	global_load_dwordx2 v[80:81], v[104:105], off
	v_add_u32_e32 v2, s34, v46
	v_lshl_add_u64 v[106:107], v[2:3], 3, s[8:9]
	v_add_u32_e32 v2, s35, v46
	v_lshl_add_u64 v[108:109], v[2:3], 3, s[8:9]
	v_fma_f32 v2, -v18, v33, 1.0
	v_div_scale_f32 v32, vcc, 1.0, v20, 1.0
	global_load_dwordx2 v[110:111], v[106:107], off
	global_load_dwordx2 v[114:115], v[98:99], off
	v_fmac_f32_e32 v33, v2, v33
	v_mul_f32_e32 v2, v32, v33
	v_fma_f32 v47, -v18, v2, v32
	v_fmac_f32_e32 v2, v47, v33
	global_load_dwordx2 v[112:113], v[108:109], off
	v_fma_f32 v18, -v18, v2, v32
	v_div_fmas_f32 v2, v18, v33, v2
	v_div_fixup_f32 v2, v2, v20, 1.0
	v_mul_f32_e32 v18, v21, v2
	v_mul_f32_e32 v20, v19, v2
	v_add_u32_e32 v2, s36, v46
	v_lshl_add_u64 v[116:117], v[2:3], 3, s[8:9]
	global_load_dwordx2 v[118:119], v[116:117], off
	v_xor_b32_e32 v88, 0x80000000, v15
	v_mov_b32_e32 v89, v14
	v_xor_b32_e32 v94, 0x80000000, v13
	v_mov_b32_e32 v95, v12
	v_mov_b32_e32 v2, v3
	s_waitcnt vmcnt(15)
	v_mul_f32_e32 v78, v20, v36
	v_mul_f32_e64 v72, v20, -v37
	v_fmac_f32_e32 v78, v37, v18
	s_waitcnt vmcnt(12)
	v_mul_f32_e32 v86, v20, v40
	v_mul_f32_e64 v82, v20, -v41
	v_fmac_f32_e32 v86, v41, v18
	v_fmac_f32_e32 v72, v36, v18
	v_pk_mul_f32 v[32:33], v[78:79], v[88:89] op_sel_hi:[0,1]
	v_fmac_f32_e32 v82, v40, v18
	v_pk_mul_f32 v[36:37], v[86:87], v[94:95] op_sel_hi:[0,1]
	v_pk_fma_f32 v[32:33], v[14:15], v[72:73], v[32:33] op_sel_hi:[1,0,1]
	v_pk_fma_f32 v[36:37], v[12:13], v[82:83], v[36:37] op_sel_hi:[1,0,1]
	v_mul_f32_e32 v46, v20, v42
	s_waitcnt vmcnt(11)
	v_mul_f32_e32 v60, v20, v44
	v_pk_add_f32 v[32:33], v[32:33], v[36:37] neg_lo:[0,1] neg_hi:[0,1]
	v_mul_f32_e64 v36, v20, -v43
	v_fmac_f32_e32 v46, v43, v18
	v_mul_f32_e64 v50, v20, -v45
	v_fmac_f32_e32 v60, v45, v18
	global_store_dwordx2 v[30:31], v[32:33], off
	v_fmac_f32_e32 v36, v42, v18
	v_fmac_f32_e32 v50, v44, v18
	v_pk_mul_f32 v[30:31], v[46:47], v[88:89] op_sel_hi:[0,1]
	v_pk_mul_f32 v[32:33], v[60:61], v[94:95] op_sel_hi:[0,1]
	v_pk_fma_f32 v[30:31], v[14:15], v[36:37], v[30:31] op_sel_hi:[1,0,1]
	v_pk_fma_f32 v[32:33], v[12:13], v[50:51], v[32:33] op_sel_hi:[1,0,1]
	v_mul_f32_e32 v74, v20, v52
	s_waitcnt vmcnt(11)
	v_mul_f32_e32 v84, v20, v54
	v_pk_add_f32 v[30:31], v[30:31], v[32:33] neg_lo:[0,1] neg_hi:[0,1]
	v_mul_f32_e64 v64, v20, -v53
	v_fmac_f32_e32 v74, v53, v18
	v_mul_f32_e64 v76, v20, -v55
	v_fmac_f32_e32 v84, v55, v18
	global_store_dwordx2 v[38:39], v[30:31], off
	v_fmac_f32_e32 v64, v52, v18
	v_fmac_f32_e32 v76, v54, v18
	v_pk_mul_f32 v[30:31], v[74:75], v[88:89] op_sel_hi:[0,1]
	v_pk_mul_f32 v[32:33], v[84:85], v[94:95] op_sel_hi:[0,1]
	v_pk_fma_f32 v[30:31], v[14:15], v[64:65], v[30:31] op_sel_hi:[1,0,1]
	v_pk_fma_f32 v[32:33], v[12:13], v[76:77], v[32:33] op_sel_hi:[1,0,1]
	s_waitcnt vmcnt(11)
	v_mul_f32_e32 v42, v20, v56
	s_waitcnt vmcnt(7)
	v_mul_f32_e32 v52, v20, v66
	v_pk_add_f32 v[30:31], v[30:31], v[32:33] neg_lo:[0,1] neg_hi:[0,1]
	v_mul_f32_e64 v32, v20, -v57
	v_fmac_f32_e32 v42, v57, v18
	v_mul_f32_e64 v44, v20, -v67
	v_fmac_f32_e32 v52, v67, v18
	global_store_dwordx2 v[34:35], v[30:31], off
	v_fmac_f32_e32 v32, v56, v18
	v_fmac_f32_e32 v44, v66, v18
	v_pk_mul_f32 v[30:31], v[42:43], v[88:89] op_sel_hi:[0,1]
	v_pk_mul_f32 v[34:35], v[52:53], v[94:95] op_sel_hi:[0,1]
	s_waitcnt vmcnt(7)
	v_mul_f32_e64 v70, v20, -v81
	v_pk_fma_f32 v[30:31], v[14:15], v[32:33], v[30:31] op_sel_hi:[1,0,1]
	v_pk_fma_f32 v[34:35], v[12:13], v[44:45], v[34:35] op_sel_hi:[1,0,1]
	v_mul_f32_e32 v68, v20, v58
	v_fmac_f32_e32 v70, v80, v18
	v_mul_f32_e32 v80, v20, v80
	v_pk_add_f32 v[30:31], v[30:31], v[34:35] neg_lo:[0,1] neg_hi:[0,1]
	v_mul_f32_e64 v56, v20, -v59
	v_fmac_f32_e32 v68, v59, v18
	v_fmac_f32_e32 v80, v81, v18
	global_store_dwordx2 v[48:49], v[30:31], off
	v_fmac_f32_e32 v56, v58, v18
	v_pk_mul_f32 v[30:31], v[68:69], v[88:89] op_sel_hi:[0,1]
	v_pk_mul_f32 v[34:35], v[80:81], v[94:95] op_sel_hi:[0,1]
	v_pk_fma_f32 v[30:31], v[14:15], v[56:57], v[30:31] op_sel_hi:[1,0,1]
	v_pk_fma_f32 v[34:35], v[12:13], v[70:71], v[34:35] op_sel_hi:[1,0,1]
	v_mul_f32_e64 v54, v20, -v63
	v_mul_f32_e32 v58, v20, v62
	s_waitcnt vmcnt(7)
	v_mul_f32_e32 v66, v20, v110
	v_pk_add_f32 v[30:31], v[30:31], v[34:35] neg_lo:[0,1] neg_hi:[0,1]
	v_fmac_f32_e32 v54, v62, v18
	v_fmac_f32_e32 v58, v63, v18
	v_mul_f32_e64 v62, v20, -v111
	v_fmac_f32_e32 v66, v111, v18
	global_store_dwordx2 v[28:29], v[30:31], off
	v_fmac_f32_e32 v62, v110, v18
	v_pk_mul_f32 v[28:29], v[58:59], v[88:89] op_sel_hi:[0,1]
	v_pk_mul_f32 v[30:31], v[66:67], v[94:95] op_sel_hi:[0,1]
	v_pk_fma_f32 v[28:29], v[14:15], v[54:55], v[28:29] op_sel_hi:[1,0,1]
	v_pk_fma_f32 v[30:31], v[12:13], v[62:63], v[30:31] op_sel_hi:[1,0,1]
	v_mul_f32_e32 v38, v20, v100
	s_waitcnt vmcnt(6)
	v_mul_f32_e32 v48, v20, v112
	v_pk_add_f32 v[28:29], v[28:29], v[30:31] neg_lo:[0,1] neg_hi:[0,1]
	v_mul_f32_e64 v34, v20, -v101
	v_fmac_f32_e32 v38, v101, v18
	v_mul_f32_e64 v40, v20, -v113
	v_fmac_f32_e32 v48, v113, v18
	global_store_dwordx2 v[26:27], v[28:29], off
	v_fmac_f32_e32 v34, v100, v18
	v_fmac_f32_e32 v40, v112, v18
	v_pk_mul_f32 v[26:27], v[38:39], v[88:89] op_sel_hi:[0,1]
	v_pk_mul_f32 v[28:29], v[48:49], v[94:95] op_sel_hi:[0,1]
	v_pk_fma_f32 v[26:27], v[14:15], v[34:35], v[26:27] op_sel_hi:[1,0,1]
	v_pk_fma_f32 v[28:29], v[12:13], v[40:41], v[28:29] op_sel_hi:[1,0,1]
	s_waitcnt vmcnt(6)
	v_mul_f32_e32 v30, v20, v118
	v_pk_add_f32 v[26:27], v[26:27], v[28:29] neg_lo:[0,1] neg_hi:[0,1]
	global_store_dwordx2 v[24:25], v[26:27], off
	v_mul_f32_e32 v26, v20, v114
	v_mul_f32_e64 v24, v20, -v115
	v_fmac_f32_e32 v26, v115, v18
	v_fmac_f32_e32 v24, v114, v18
	v_mul_f32_e64 v28, v20, -v119
	v_fmac_f32_e32 v30, v119, v18
	v_pk_mul_f32 v[88:89], v[26:27], v[88:89] op_sel_hi:[0,1]
	v_fmac_f32_e32 v28, v118, v18
	v_pk_fma_f32 v[14:15], v[14:15], v[24:25], v[88:89] op_sel_hi:[1,0,1]
	v_pk_mul_f32 v[88:89], v[30:31], v[94:95] op_sel_hi:[0,1]
	v_pk_fma_f32 v[12:13], v[12:13], v[28:29], v[88:89] op_sel_hi:[1,0,1]
	v_pk_mul_f32 v[88:89], v[86:87], v[16:17] op_sel_hi:[0,1]
	v_pk_add_f32 v[12:13], v[14:15], v[12:13] neg_lo:[0,1] neg_hi:[0,1]
	global_store_dwordx2 v[98:99], v[12:13], off
	v_pk_add_f32 v[12:13], v[6:7], 0 neg_lo:[1,1] neg_hi:[1,1]
	v_pk_fma_f32 v[88:89], v[4:5], v[82:83], v[88:89] op_sel_hi:[1,0,1]
	v_pk_mov_b32 v[14:15], v[6:7], v[12:13] op_sel:[1,0]
	s_nop 0
	v_pk_mul_f32 v[12:13], v[14:15], v[78:79] op_sel_hi:[1,0]
	s_nop 0
	v_pk_fma_f32 v[12:13], v[6:7], v[72:73], v[12:13] op_sel_hi:[1,0,1] neg_lo:[1,0,0] neg_hi:[1,0,0]
	s_nop 0
	v_pk_add_f32 v[12:13], v[12:13], v[88:89]
	global_store_dwordx2 v[22:23], v[12:13], off
	v_pk_mul_f32 v[12:13], v[14:15], v[46:47] op_sel_hi:[1,0]
	v_pk_mul_f32 v[22:23], v[60:61], v[16:17] op_sel_hi:[0,1]
	v_pk_fma_f32 v[12:13], v[6:7], v[36:37], v[12:13] op_sel_hi:[1,0,1] neg_lo:[1,0,0] neg_hi:[1,0,0]
	v_pk_fma_f32 v[22:23], v[4:5], v[50:51], v[22:23] op_sel_hi:[1,0,1]
	s_nop 0
	v_pk_add_f32 v[12:13], v[12:13], v[22:23]
	global_store_dwordx2 v[90:91], v[12:13], off
	v_pk_mul_f32 v[12:13], v[14:15], v[74:75] op_sel_hi:[1,0]
	v_pk_mul_f32 v[22:23], v[84:85], v[16:17] op_sel_hi:[0,1]
	v_pk_fma_f32 v[12:13], v[6:7], v[64:65], v[12:13] op_sel_hi:[1,0,1] neg_lo:[1,0,0] neg_hi:[1,0,0]
	v_pk_fma_f32 v[22:23], v[4:5], v[76:77], v[22:23] op_sel_hi:[1,0,1]
	;; [unrolled: 7-line block ×7, first 2 shown]
	s_nop 0
	v_pk_add_f32 v[12:13], v[12:13], v[22:23]
	global_store_dwordx2 v[116:117], v[12:13], off
	v_mov_b32_e32 v12, v4
	v_mov_b32_e32 v13, v4
	v_mov_b64_e32 v[22:23], v[2:3]
	s_and_saveexec_b64 s[20:21], s[2:3]
	s_cbranch_execz .LBB239_16
; %bb.15:                               ;   in Loop: Header=BB239_5 Depth=1
	v_add_u32_e32 v22, v1, v93
	v_add_u32_e32 v2, s28, v22
	v_lshl_add_u64 v[88:89], v[2:3], 3, s[8:9]
	global_load_dwordx2 v[90:91], v[88:89], off
	v_mov_b32_e32 v2, v11
	v_pk_mul_f32 v[14:15], v[2:3], v[14:15] op_sel_hi:[0,1]
	v_pk_mul_f32 v[16:17], v[2:3], v[16:17] op_sel_hi:[0,1]
	v_pk_fma_f32 v[6:7], v[6:7], v[10:11], v[14:15] op_sel_hi:[1,0,1] neg_lo:[1,0,0] neg_hi:[1,0,0]
	v_pk_fma_f32 v[14:15], v[4:5], v[10:11], v[16:17] op_sel_hi:[1,0,1]
	v_mov_b32_e32 v87, v86
	v_xor_b32_e32 v16, 0x80000000, v15
	v_mov_b32_e32 v17, v14
	v_mov_b32_e32 v83, v82
	v_pk_mul_f32 v[86:87], v[86:87], v[16:17]
	v_mov_b32_e32 v79, v78
	v_pk_fma_f32 v[82:83], v[14:15], v[82:83], v[86:87]
	v_pk_add_f32 v[86:87], v[6:7], 0 neg_lo:[1,1] neg_hi:[1,1]
	v_mov_b32_e32 v73, v72
	v_pk_mov_b32 v[86:87], v[6:7], v[86:87] op_sel:[1,0]
	v_add_u32_e32 v2, s29, v22
	v_pk_mul_f32 v[78:79], v[86:87], v[78:79]
	v_mov_b32_e32 v47, v46
	v_pk_fma_f32 v[72:73], v[6:7], v[72:73], v[78:79] neg_lo:[1,0,0] neg_hi:[1,0,0]
	v_lshl_add_u64 v[78:79], v[2:3], 3, s[8:9]
	v_pk_add_f32 v[72:73], v[72:73], v[82:83] neg_lo:[0,1] neg_hi:[0,1]
	v_add_u32_e32 v2, s30, v22
	global_load_dwordx2 v[82:83], v[78:79], off
	v_mov_b32_e32 v61, v60
	v_mov_b32_e32 v37, v36
	v_mov_b32_e32 v51, v50
	v_pk_mul_f32 v[60:61], v[60:61], v[16:17]
	v_pk_mul_f32 v[46:47], v[86:87], v[46:47]
	v_mov_b32_e32 v75, v74
	v_mov_b32_e32 v85, v84
	v_pk_fma_f32 v[50:51], v[14:15], v[50:51], v[60:61]
	v_pk_fma_f32 v[36:37], v[6:7], v[36:37], v[46:47] neg_lo:[1,0,0] neg_hi:[1,0,0]
	v_mov_b32_e32 v65, v64
	v_mov_b32_e32 v77, v76
	v_pk_mul_f32 v[84:85], v[84:85], v[16:17]
	v_pk_mul_f32 v[60:61], v[86:87], v[74:75]
	v_pk_add_f32 v[36:37], v[36:37], v[50:51] neg_lo:[0,1] neg_hi:[0,1]
	v_pk_fma_f32 v[74:75], v[14:15], v[76:77], v[84:85]
	v_pk_fma_f32 v[46:47], v[6:7], v[64:65], v[60:61] neg_lo:[1,0,0] neg_hi:[1,0,0]
	v_mov_b32_e32 v43, v42
	v_pk_add_f32 v[46:47], v[46:47], v[74:75] neg_lo:[0,1] neg_hi:[0,1]
	v_mov_b32_e32 v53, v52
	v_mov_b32_e32 v33, v32
	;; [unrolled: 1-line block ×5, first 2 shown]
	v_pk_mul_f32 v[50:51], v[52:53], v[16:17]
	v_pk_mul_f32 v[42:43], v[86:87], v[42:43]
	v_mov_b32_e32 v57, v56
	v_mov_b32_e32 v71, v70
	v_pk_mul_f32 v[52:53], v[80:81], v[16:17]
	v_pk_fma_f32 v[44:45], v[14:15], v[44:45], v[50:51]
	v_pk_mul_f32 v[50:51], v[86:87], v[68:69]
	v_pk_fma_f32 v[32:33], v[6:7], v[32:33], v[42:43] neg_lo:[1,0,0] neg_hi:[1,0,0]
	v_pk_fma_f32 v[52:53], v[14:15], v[70:71], v[52:53]
	v_pk_fma_f32 v[42:43], v[6:7], v[56:57], v[50:51] neg_lo:[1,0,0] neg_hi:[1,0,0]
	v_pk_add_f32 v[32:33], v[32:33], v[44:45] neg_lo:[0,1] neg_hi:[0,1]
	v_pk_add_f32 v[42:43], v[42:43], v[52:53] neg_lo:[0,1] neg_hi:[0,1]
	v_mov_b32_e32 v59, v58
	v_mov_b32_e32 v67, v66
	;; [unrolled: 1-line block ×8, first 2 shown]
	v_pk_mul_f32 v[38:39], v[86:87], v[38:39]
	v_ashrrev_i32_e32 v23, 31, v22
	v_pk_fma_f32 v[34:35], v[6:7], v[34:35], v[38:39] neg_lo:[1,0,0] neg_hi:[1,0,0]
	v_mov_b32_e32 v27, v26
	v_mov_b32_e32 v31, v30
	;; [unrolled: 1-line block ×4, first 2 shown]
	s_waitcnt vmcnt(1)
	v_pk_add_f32 v[72:73], v[72:73], v[90:91]
	v_lshl_add_u64 v[90:91], v[2:3], 3, s[8:9]
	global_store_dwordx2 v[88:89], v[72:73], off
	global_load_dwordx2 v[72:73], v[90:91], off
	v_add_u32_e32 v2, s31, v22
	v_lshl_add_u64 v[88:89], v[2:3], 3, s[8:9]
	v_add_u32_e32 v2, s33, v22
	v_lshl_add_u64 v[76:77], v[2:3], 3, s[8:9]
	;; [unrolled: 2-line block ×3, first 2 shown]
	v_add_u32_e32 v2, s35, v22
	s_waitcnt vmcnt(2)
	v_pk_add_f32 v[36:37], v[36:37], v[82:83]
	global_store_dwordx2 v[78:79], v[36:37], off
	global_load_dwordx2 v[36:37], v[88:89], off
	s_waitcnt vmcnt(2)
	v_pk_add_f32 v[46:47], v[46:47], v[72:73]
	global_store_dwordx2 v[90:91], v[46:47], off
	global_load_dwordx2 v[46:47], v[76:77], off
	s_waitcnt vmcnt(2)
	v_pk_add_f32 v[32:33], v[32:33], v[36:37]
	global_store_dwordx2 v[88:89], v[32:33], off
	v_pk_mul_f32 v[36:37], v[66:67], v[16:17]
	s_waitcnt vmcnt(1)
	v_pk_add_f32 v[32:33], v[42:43], v[46:47]
	global_store_dwordx2 v[76:77], v[32:33], off
	global_load_dwordx2 v[32:33], v[50:51], off
	v_pk_mul_f32 v[42:43], v[86:87], v[58:59]
	v_pk_fma_f32 v[36:37], v[14:15], v[62:63], v[36:37]
	v_pk_fma_f32 v[42:43], v[6:7], v[54:55], v[42:43] neg_lo:[1,0,0] neg_hi:[1,0,0]
	s_nop 0
	v_pk_add_f32 v[36:37], v[42:43], v[36:37] neg_lo:[0,1] neg_hi:[0,1]
	v_lshl_add_u64 v[42:43], v[2:3], 3, s[8:9]
	v_add_u32_e32 v2, s36, v22
	v_lshl_add_u64 v[22:23], v[22:23], 3, s[14:15]
	global_load_dwordx2 v[22:23], v[22:23], off
	s_waitcnt vmcnt(1)
	v_pk_add_f32 v[32:33], v[36:37], v[32:33]
	global_store_dwordx2 v[50:51], v[32:33], off
	global_load_dwordx2 v[32:33], v[42:43], off
	v_pk_mul_f32 v[36:37], v[48:49], v[16:17]
	s_nop 0
	v_pk_fma_f32 v[36:37], v[14:15], v[40:41], v[36:37]
	s_nop 0
	v_pk_add_f32 v[34:35], v[34:35], v[36:37] neg_lo:[0,1] neg_hi:[0,1]
	v_lshl_add_u64 v[36:37], v[2:3], 3, s[8:9]
	v_mov_b32_e32 v2, v9
	s_waitcnt vmcnt(0)
	v_pk_add_f32 v[32:33], v[34:35], v[32:33]
	global_store_dwordx2 v[42:43], v[32:33], off
	global_load_dwordx2 v[32:33], v[36:37], off
	v_xor_b32_e32 v34, 0x80000000, v11
	v_mov_b32_e32 v35, v10
	v_pk_mul_f32 v[4:5], v[4:5], v[34:35] op_sel:[1,0]
	s_nop 0
	v_pk_fma_f32 v[4:5], v[10:11], v[12:13], v[4:5]
	v_pk_mul_f32 v[12:13], v[30:31], v[16:17]
	v_xor_b32_e32 v10, 0x80000000, v5
	v_mov_b32_e32 v11, v4
	v_pk_mul_f32 v[10:11], v[2:3], v[10:11] op_sel_hi:[0,1]
	v_pk_fma_f32 v[4:5], v[4:5], v[8:9], v[10:11] op_sel_hi:[1,0,1]
	v_pk_mul_f32 v[16:17], v[86:87], v[26:27]
	v_xor_b32_e32 v8, 0x80000000, v5
	v_mov_b32_e32 v9, v4
	v_pk_fma_f32 v[12:13], v[14:15], v[28:29], v[12:13]
	v_pk_fma_f32 v[6:7], v[6:7], v[24:25], v[16:17] neg_lo:[1,0,0] neg_hi:[1,0,0]
	v_pk_mul_f32 v[8:9], v[20:21], v[8:9] op_sel_hi:[0,1]
	v_pk_add_f32 v[6:7], v[6:7], v[12:13] neg_lo:[0,1] neg_hi:[0,1]
	v_pk_fma_f32 v[4:5], v[4:5], v[18:19], v[8:9] op_sel_hi:[1,0,1]
	s_waitcnt vmcnt(0)
	v_pk_add_f32 v[6:7], v[6:7], v[32:33]
	v_pk_add_f32 v[22:23], v[22:23], v[4:5] neg_lo:[0,1] neg_hi:[0,1]
	global_store_dwordx2 v[36:37], v[6:7], off
.LBB239_16:                             ;   in Loop: Header=BB239_5 Depth=1
	s_or_b64 exec, exec, s[20:21]
	v_mov_b64_e32 v[4:5], v[22:23]
                                        ; implicit-def: $vgpr12_vgpr13
                                        ; implicit-def: $vgpr6
                                        ; implicit-def: $vgpr14_vgpr15
                                        ; implicit-def: $vgpr38
                                        ; implicit-def: $vgpr34
                                        ; implicit-def: $vgpr32
                                        ; implicit-def: $vgpr28
                                        ; implicit-def: $vgpr26
                                        ; implicit-def: $vgpr24
                                        ; implicit-def: $vgpr20
                                        ; implicit-def: $vgpr18
.LBB239_17:                             ;   in Loop: Header=BB239_5 Depth=1
	s_or_saveexec_b64 s[2:3], s[4:5]
	v_mov_b32_e32 v8, s27
	s_xor_b64 exec, exec, s[2:3]
	s_cbranch_execz .LBB239_4
; %bb.18:                               ;   in Loop: Header=BB239_5 Depth=1
	v_mov_b32_e32 v29, v3
	v_lshl_add_u64 v[10:11], v[2:3], 3, s[8:9]
	v_mov_b32_e32 v39, v3
	v_mov_b32_e32 v35, v3
	;; [unrolled: 1-line block ×3, first 2 shown]
	v_lshl_add_u64 v[42:43], v[28:29], 3, s[8:9]
	v_mov_b32_e32 v27, v3
	v_mov_b32_e32 v25, v3
	;; [unrolled: 1-line block ×3, first 2 shown]
	v_lshl_add_u64 v[36:37], v[38:39], 3, s[8:9]
	v_lshl_add_u64 v[34:35], v[34:35], 3, s[8:9]
	;; [unrolled: 1-line block ×3, first 2 shown]
	global_load_dwordx2 v[16:17], v[10:11], off
	global_load_dwordx2 v[22:23], v[36:37], off
	;; [unrolled: 1-line block ×4, first 2 shown]
	v_lshl_add_u64 v[44:45], v[26:27], 3, s[8:9]
	v_lshl_add_u64 v[46:47], v[24:25], 3, s[8:9]
	v_lshl_add_u64 v[48:49], v[20:21], 3, s[8:9]
	global_load_dwordx2 v[20:21], v[42:43], off
	global_load_dwordx2 v[50:51], v[44:45], off
	;; [unrolled: 1-line block ×4, first 2 shown]
	v_mul_f32_e32 v2, v5, v5
	v_fmac_f32_e32 v2, v4, v4
	v_div_scale_f32 v9, s[4:5], v2, v2, 1.0
	v_rcp_f32_e32 v19, v9
	v_fma_f32 v8, 0, v5, v4
	v_fma_f32 v5, v4, 0, -v5
	v_div_scale_f32 v4, vcc, 1.0, v2, 1.0
	v_fma_f32 v24, -v9, v19, 1.0
	v_fmac_f32_e32 v19, v24, v19
	v_mul_f32_e32 v24, v4, v19
	v_fma_f32 v25, -v9, v24, v4
	v_fmac_f32_e32 v24, v25, v19
	v_fma_f32 v4, -v9, v24, v4
	v_div_fmas_f32 v4, v4, v19, v24
	v_div_fixup_f32 v2, v4, v2, 1.0
	v_mul_f32_e32 v4, v8, v2
	v_mul_f32_e32 v8, v5, v2
	s_waitcnt vmcnt(7)
	v_pk_mul_f32 v[24:25], v[8:9], v[16:17] op_sel:[0,1] op_sel_hi:[0,0] neg_lo:[0,1]
	v_pk_fma_f32 v[26:27], v[16:17], v[4:5], v[24:25] op_sel_hi:[1,0,1]
	s_waitcnt vmcnt(6)
	v_pk_mul_f32 v[16:17], v[8:9], v[22:23] op_sel:[0,1] op_sel_hi:[0,0] neg_lo:[0,1]
	s_waitcnt vmcnt(5)
	v_pk_mul_f32 v[24:25], v[8:9], v[38:39] op_sel:[0,1] op_sel_hi:[0,0] neg_lo:[0,1]
	;; [unrolled: 2-line block ×7, first 2 shown]
	global_store_dwordx2 v[10:11], v[26:27], off
	v_pk_fma_f32 v[30:31], v[22:23], v[4:5], v[16:17] op_sel_hi:[1,0,1]
	v_pk_fma_f32 v[28:29], v[38:39], v[4:5], v[24:25] op_sel_hi:[1,0,1]
	;; [unrolled: 1-line block ×7, first 2 shown]
	global_store_dwordx2 v[36:37], v[30:31], off
	global_store_dwordx2 v[34:35], v[28:29], off
	;; [unrolled: 1-line block ×7, first 2 shown]
	s_and_saveexec_b64 s[4:5], s[0:1]
	s_cbranch_execz .LBB239_3
; %bb.19:                               ;   in Loop: Header=BB239_5 Depth=1
	v_add_u32_e32 v5, v92, v93
	v_add_u32_e32 v2, s28, v5
	v_lshl_add_u64 v[32:33], v[2:3], 3, s[8:9]
	global_load_dwordx2 v[34:35], v[32:33], off
	v_add_u32_e32 v2, s29, v5
	v_xor_b32_e32 v36, 0x80000000, v6
	v_mov_b32_e32 v37, v18
	v_lshl_add_u64 v[40:41], v[2:3], 3, s[8:9]
	v_mov_b32_e32 v38, v7
	v_mov_b32_e32 v39, v36
	global_load_dwordx2 v[42:43], v[40:41], off
	v_add_u32_e32 v2, s30, v5
	v_lshl_add_u64 v[44:45], v[2:3], 3, s[8:9]
	v_add_u32_e32 v2, s31, v5
	s_waitcnt vmcnt(1)
	v_pk_fma_f32 v[34:35], v[36:37], v[26:27], v[34:35] op_sel_hi:[1,0,1]
	s_nop 0
	v_pk_fma_f32 v[26:27], v[38:39], v[26:27], v[34:35] op_sel:[0,1,0]
	global_store_dwordx2 v[32:33], v[26:27], off
	global_load_dwordx2 v[26:27], v[44:45], off
	v_lshl_add_u64 v[32:33], v[2:3], 3, s[8:9]
	v_add_u32_e32 v2, s33, v5
	v_lshl_add_u64 v[34:35], v[2:3], 3, s[8:9]
	s_waitcnt vmcnt(2)
	v_pk_fma_f32 v[42:43], v[36:37], v[30:31], v[42:43] op_sel_hi:[1,0,1]
	v_add_u32_e32 v2, s34, v5
	v_pk_fma_f32 v[30:31], v[38:39], v[30:31], v[42:43] op_sel:[0,1,0]
	global_store_dwordx2 v[40:41], v[30:31], off
	global_load_dwordx2 v[30:31], v[32:33], off
	s_waitcnt vmcnt(2)
	v_pk_fma_f32 v[26:27], v[36:37], v[28:29], v[26:27] op_sel_hi:[1,0,1]
	s_nop 0
	v_pk_fma_f32 v[26:27], v[38:39], v[28:29], v[26:27] op_sel:[0,1,0]
	global_store_dwordx2 v[44:45], v[26:27], off
	global_load_dwordx2 v[26:27], v[34:35], off
	v_lshl_add_u64 v[28:29], v[2:3], 3, s[8:9]
	v_add_u32_e32 v2, s35, v5
	s_waitcnt vmcnt(2)
	v_pk_fma_f32 v[30:31], v[36:37], v[24:25], v[30:31] op_sel_hi:[1,0,1]
	s_nop 0
	v_pk_fma_f32 v[24:25], v[38:39], v[24:25], v[30:31] op_sel:[0,1,0]
	global_store_dwordx2 v[32:33], v[24:25], off
	s_waitcnt vmcnt(1)
	v_pk_fma_f32 v[24:25], v[36:37], v[22:23], v[26:27] op_sel_hi:[1,0,1]
	s_nop 0
	v_pk_fma_f32 v[22:23], v[38:39], v[22:23], v[24:25] op_sel:[0,1,0]
	global_store_dwordx2 v[34:35], v[22:23], off
	global_load_dwordx2 v[22:23], v[28:29], off
	v_lshl_add_u64 v[24:25], v[2:3], 3, s[8:9]
	v_add_u32_e32 v2, s36, v5
	s_waitcnt vmcnt(0)
	v_pk_fma_f32 v[22:23], v[36:37], v[20:21], v[22:23] op_sel_hi:[1,0,1]
	s_nop 0
	v_pk_fma_f32 v[20:21], v[38:39], v[20:21], v[22:23] op_sel:[0,1,0]
	global_store_dwordx2 v[28:29], v[20:21], off
	global_load_dwordx2 v[20:21], v[24:25], off
	s_waitcnt vmcnt(0)
	v_pk_fma_f32 v[20:21], v[36:37], v[16:17], v[20:21] op_sel_hi:[1,0,1]
	s_nop 0
	v_pk_fma_f32 v[16:17], v[38:39], v[16:17], v[20:21] op_sel:[0,1,0]
	global_store_dwordx2 v[24:25], v[16:17], off
	v_lshl_add_u64 v[16:17], v[2:3], 3, s[8:9]
	global_load_dwordx2 v[20:21], v[16:17], off
	s_waitcnt vmcnt(0)
	v_pk_fma_f32 v[20:21], v[36:37], v[10:11], v[20:21] op_sel_hi:[1,0,1]
	s_nop 0
	v_pk_fma_f32 v[10:11], v[38:39], v[10:11], v[20:21] op_sel:[0,1,0]
	global_store_dwordx2 v[16:17], v[10:11], off
	s_branch .LBB239_3
.LBB239_20:
	s_or_b64 exec, exec, s[18:19]
	s_branch .LBB239_22
.LBB239_21:
	v_mov_b32_e32 v93, 0
.LBB239_22:
	v_subrev_u32_e32 v1, s22, v93
	v_add_u32_e32 v2, v1, v0
	v_ashrrev_i32_e32 v3, 31, v2
	s_waitcnt lgkmcnt(0)
	v_lshl_add_u64 v[2:3], v[2:3], 2, s[6:7]
	buffer_wbl2 sc1
	s_waitcnt vmcnt(0)
	buffer_inv sc1
	global_load_dword v2, v[2:3], off
	s_waitcnt vmcnt(0)
	v_mul_lo_u32 v2, v2, s22
	v_sub_u32_e32 v1, v1, v2
	v_cmp_lt_i32_e32 vcc, -1, v1
	s_and_b64 exec, exec, vcc
	s_cbranch_execz .LBB239_29
; %bb.23:
	s_lshl_b32 s4, s24, 3
	s_add_i32 s5, s4, s23
	s_add_i32 s12, s5, s23
	;; [unrolled: 1-line block ×7, first 2 shown]
	s_lshl_b32 s18, s22, 1
	s_mov_b64 s[0:1], 0
	v_mov_b32_e32 v3, 0
	s_branch .LBB239_25
.LBB239_24:                             ;   in Loop: Header=BB239_25 Depth=1
	s_or_b64 exec, exec, s[2:3]
	v_sub_u32_e32 v1, v1, v2
	v_cmp_gt_i32_e32 vcc, 0, v1
	s_or_b64 s[0:1], vcc, s[0:1]
	s_andn2_b64 exec, exec, s[0:1]
	s_cbranch_execz .LBB239_29
.LBB239_25:                             ; =>This Inner Loop Header: Depth=1
	v_add_u32_e32 v4, v1, v0
	v_ashrrev_i32_e32 v5, 31, v4
	s_waitcnt vmcnt(0)
	v_lshl_add_u64 v[6:7], v[4:5], 2, s[6:7]
	global_load_dword v2, v[6:7], off
	v_lshl_add_u64 v[6:7], v[4:5], 3, s[10:11]
	global_load_dwordx2 v[6:7], v[6:7], off
	s_waitcnt vmcnt(1)
	v_cmp_ne_u32_e32 vcc, 1, v2
	s_and_saveexec_b64 s[2:3], vcc
	s_xor_b64 s[2:3], exec, s[2:3]
	s_cbranch_execz .LBB239_27
; %bb.26:                               ;   in Loop: Header=BB239_25 Depth=1
	v_add_u32_e32 v5, v92, v1
	v_add_u32_e32 v2, s4, v5
	v_lshl_add_u64 v[8:9], v[2:3], 3, s[8:9]
	v_add_u32_e32 v2, s5, v5
	v_lshl_add_u64 v[10:11], v[2:3], 3, s[8:9]
	;; [unrolled: 2-line block ×9, first 2 shown]
	global_load_dwordx2 v[8:9], v[8:9], off
	s_waitcnt vmcnt(1)
	v_pk_add_f32 v[28:29], v[6:7], 0 neg_lo:[1,1] neg_hi:[1,1]
	global_load_dwordx2 v[26:27], v[24:25], off
	v_xor_b32_e32 v31, 0x80000000, v7
	v_mov_b32_e32 v30, v28
	v_pk_mov_b32 v[6:7], v[6:7], v[28:29] op_sel:[1,0]
	global_load_dwordx2 v[28:29], v[10:11], off
	global_load_dwordx2 v[32:33], v[12:13], off
	;; [unrolled: 1-line block ×7, first 2 shown]
	v_add_u32_e32 v2, s5, v4
	v_lshl_add_u64 v[10:11], v[2:3], 3, s[8:9]
	v_add_u32_e32 v2, s12, v4
	v_lshl_add_u64 v[14:15], v[2:3], 3, s[8:9]
	v_add_u32_e32 v2, s13, v4
	s_waitcnt vmcnt(7)
	v_pk_fma_f32 v[12:13], v[30:31], v[8:9], v[26:27] op_sel_hi:[1,0,1]
	s_nop 0
	v_pk_fma_f32 v[12:13], v[6:7], v[8:9], v[12:13] op_sel:[0,1,0]
	global_store_dwordx2 v[24:25], v[12:13], off
	global_load_dwordx2 v[12:13], v[10:11], off
	s_waitcnt vmcnt(0)
	v_pk_fma_f32 v[12:13], v[30:31], v[28:29], v[12:13] op_sel_hi:[1,0,1]
	s_nop 0
	v_pk_fma_f32 v[12:13], v[6:7], v[28:29], v[12:13] op_sel:[0,1,0]
	global_store_dwordx2 v[10:11], v[12:13], off
	global_load_dwordx2 v[10:11], v[14:15], off
	v_lshl_add_u64 v[12:13], v[2:3], 3, s[8:9]
	v_add_u32_e32 v2, s14, v4
	s_waitcnt vmcnt(0)
	v_pk_fma_f32 v[10:11], v[30:31], v[32:33], v[10:11] op_sel_hi:[1,0,1]
	s_nop 0
	v_pk_fma_f32 v[10:11], v[6:7], v[32:33], v[10:11] op_sel:[0,1,0]
	global_store_dwordx2 v[14:15], v[10:11], off
	global_load_dwordx2 v[10:11], v[12:13], off
	v_lshl_add_u64 v[14:15], v[2:3], 3, s[8:9]
	v_add_u32_e32 v2, s15, v4
	;; [unrolled: 8-line block ×4, first 2 shown]
	v_lshl_add_u64 v[4:5], v[2:3], 3, s[8:9]
	v_subrev_u32_e32 v2, s22, v1
	s_waitcnt vmcnt(0)
	v_pk_fma_f32 v[10:11], v[30:31], v[38:39], v[10:11] op_sel_hi:[1,0,1]
	s_nop 0
	v_pk_fma_f32 v[10:11], v[6:7], v[38:39], v[10:11] op_sel:[0,1,0]
	global_store_dwordx2 v[12:13], v[10:11], off
	global_load_dwordx2 v[10:11], v[14:15], off
	v_add_u32_e32 v12, v2, v0
	v_ashrrev_i32_e32 v13, 31, v12
	v_add_u32_e32 v2, s4, v12
	v_lshl_add_u64 v[16:17], v[2:3], 3, s[8:9]
	v_add_u32_e32 v2, s5, v12
	s_waitcnt vmcnt(0)
	v_pk_fma_f32 v[10:11], v[30:31], v[40:41], v[10:11] op_sel_hi:[1,0,1]
	s_nop 0
	v_pk_fma_f32 v[10:11], v[6:7], v[40:41], v[10:11] op_sel:[0,1,0]
	global_store_dwordx2 v[14:15], v[10:11], off
	global_load_dwordx2 v[10:11], v[4:5], off
	v_lshl_add_u64 v[14:15], v[12:13], 3, s[10:11]
	global_load_dwordx2 v[14:15], v[14:15], off
	s_waitcnt vmcnt(1)
	v_pk_fma_f32 v[10:11], v[30:31], v[42:43], v[10:11] op_sel_hi:[1,0,1]
	s_nop 0
	v_pk_fma_f32 v[6:7], v[6:7], v[42:43], v[10:11] op_sel:[0,1,0]
	global_store_dwordx2 v[4:5], v[6:7], off
	global_load_dwordx2 v[4:5], v[16:17], off
	s_waitcnt vmcnt(2)
	v_pk_add_f32 v[10:11], v[14:15], 0 neg_lo:[1,1] neg_hi:[1,1]
	v_lshl_add_u64 v[6:7], v[2:3], 3, s[8:9]
	v_pk_mov_b32 v[10:11], v[14:15], v[10:11] op_sel:[1,0]
	v_add_u32_e32 v2, s12, v12
	s_waitcnt vmcnt(0)
	v_pk_fma_f32 v[4:5], v[14:15], v[8:9], v[4:5] op_sel_hi:[1,0,1] neg_lo:[1,0,0] neg_hi:[1,0,0]
	s_nop 0
	v_pk_fma_f32 v[4:5], v[10:11], v[8:9], v[4:5] op_sel:[0,1,0]
	global_store_dwordx2 v[16:17], v[4:5], off
	global_load_dwordx2 v[4:5], v[6:7], off
	v_lshl_add_u64 v[8:9], v[2:3], 3, s[8:9]
	v_add_u32_e32 v2, s13, v12
	s_waitcnt vmcnt(0)
	v_pk_fma_f32 v[4:5], v[14:15], v[28:29], v[4:5] op_sel_hi:[1,0,1] neg_lo:[1,0,0] neg_hi:[1,0,0]
	s_nop 0
	v_pk_fma_f32 v[4:5], v[10:11], v[28:29], v[4:5] op_sel:[0,1,0]
	global_store_dwordx2 v[6:7], v[4:5], off
	global_load_dwordx2 v[4:5], v[8:9], off
	v_lshl_add_u64 v[6:7], v[2:3], 3, s[8:9]
	;; [unrolled: 8-line block ×6, first 2 shown]
	s_waitcnt vmcnt(0)
	v_pk_fma_f32 v[4:5], v[14:15], v[40:41], v[4:5] op_sel_hi:[1,0,1] neg_lo:[1,0,0] neg_hi:[1,0,0]
	s_nop 0
	v_pk_fma_f32 v[4:5], v[10:11], v[40:41], v[4:5] op_sel:[0,1,0]
	global_store_dwordx2 v[8:9], v[4:5], off
	global_load_dwordx2 v[4:5], v[6:7], off
	s_waitcnt vmcnt(0)
	v_pk_fma_f32 v[4:5], v[14:15], v[42:43], v[4:5] op_sel_hi:[1,0,1] neg_lo:[1,0,0] neg_hi:[1,0,0]
	s_nop 0
	v_pk_fma_f32 v[4:5], v[10:11], v[42:43], v[4:5] op_sel:[0,1,0]
	global_store_dwordx2 v[6:7], v[4:5], off
                                        ; implicit-def: $vgpr4
                                        ; implicit-def: $vgpr6_vgpr7
.LBB239_27:                             ;   in Loop: Header=BB239_25 Depth=1
	s_or_saveexec_b64 s[2:3], s[2:3]
	v_mov_b32_e32 v2, s18
	s_xor_b64 exec, exec, s[2:3]
	s_cbranch_execz .LBB239_24
; %bb.28:                               ;   in Loop: Header=BB239_25 Depth=1
	v_add_u32_e32 v5, v92, v1
	v_add_u32_e32 v2, s4, v5
	v_lshl_add_u64 v[8:9], v[2:3], 3, s[8:9]
	v_add_u32_e32 v2, s4, v4
	v_lshl_add_u64 v[10:11], v[2:3], 3, s[8:9]
	global_load_dwordx2 v[12:13], v[8:9], off
	global_load_dwordx2 v[14:15], v[10:11], off
	s_waitcnt vmcnt(2)
	v_pk_add_f32 v[8:9], v[6:7], 0 neg_lo:[1,1] neg_hi:[1,1]
	v_xor_b32_e32 v17, 0x80000000, v7
	v_mov_b32_e32 v16, v8
	v_pk_mov_b32 v[8:9], v[6:7], v[8:9] op_sel:[1,0]
	v_add_u32_e32 v2, s5, v5
	v_lshl_add_u64 v[18:19], v[2:3], 3, s[8:9]
	v_add_u32_e32 v2, s5, v4
	v_lshl_add_u64 v[20:21], v[2:3], 3, s[8:9]
	v_add_u32_e32 v2, s12, v5
	s_waitcnt vmcnt(0)
	v_pk_fma_f32 v[14:15], v[16:17], v[12:13], v[14:15] op_sel_hi:[1,0,1]
	s_nop 0
	v_pk_fma_f32 v[12:13], v[8:9], v[12:13], v[14:15] op_sel:[0,1,0]
	global_store_dwordx2 v[10:11], v[12:13], off
	global_load_dwordx2 v[10:11], v[18:19], off
	s_nop 0
	global_load_dwordx2 v[12:13], v[20:21], off
	v_lshl_add_u64 v[14:15], v[2:3], 3, s[8:9]
	v_add_u32_e32 v2, s12, v4
	v_lshl_add_u64 v[18:19], v[2:3], 3, s[8:9]
	v_add_u32_e32 v2, s13, v5
	s_waitcnt vmcnt(0)
	v_pk_fma_f32 v[12:13], v[16:17], v[10:11], v[12:13] op_sel_hi:[1,0,1]
	s_nop 0
	v_pk_fma_f32 v[10:11], v[8:9], v[10:11], v[12:13] op_sel:[0,1,0]
	global_store_dwordx2 v[20:21], v[10:11], off
	global_load_dwordx2 v[10:11], v[14:15], off
	s_nop 0
	global_load_dwordx2 v[12:13], v[18:19], off
	;; [unrolled: 12-line block ×6, first 2 shown]
	v_lshl_add_u64 v[14:15], v[2:3], 3, s[8:9]
	v_add_u32_e32 v2, s17, v4
	v_lshl_add_u64 v[4:5], v[2:3], 3, s[8:9]
	v_mov_b32_e32 v2, s22
	s_waitcnt vmcnt(0)
	v_pk_fma_f32 v[12:13], v[16:17], v[10:11], v[12:13] op_sel_hi:[1,0,1]
	s_nop 0
	v_pk_fma_f32 v[10:11], v[8:9], v[10:11], v[12:13] op_sel:[0,1,0]
	global_store_dwordx2 v[18:19], v[10:11], off
	global_load_dwordx2 v[10:11], v[14:15], off
	s_nop 0
	global_load_dwordx2 v[12:13], v[4:5], off
	s_waitcnt vmcnt(0)
	v_pk_fma_f32 v[6:7], v[6:7], v[10:11], v[12:13] op_sel_hi:[1,0,1] neg_lo:[1,0,0] neg_hi:[1,0,0]
	s_nop 0
	v_pk_fma_f32 v[6:7], v[8:9], v[10:11], v[6:7] op_sel:[0,1,0]
	global_store_dwordx2 v[4:5], v[6:7], off
	s_branch .LBB239_24
.LBB239_29:
	s_endpgm
	.section	.rodata,"a",@progbits
	.p2align	6, 0x0
	.amdhsa_kernel _ZN9rocsparseL19gtsv_LBM_rhs_kernelILj256ELj64ELj8E21rocsparse_complex_numIfEEEviiiPKT2_S5_S5_PS3_S5_PKi
		.amdhsa_group_segment_fixed_size 0
		.amdhsa_private_segment_fixed_size 0
		.amdhsa_kernarg_size 64
		.amdhsa_user_sgpr_count 2
		.amdhsa_user_sgpr_dispatch_ptr 0
		.amdhsa_user_sgpr_queue_ptr 0
		.amdhsa_user_sgpr_kernarg_segment_ptr 1
		.amdhsa_user_sgpr_dispatch_id 0
		.amdhsa_user_sgpr_kernarg_preload_length 0
		.amdhsa_user_sgpr_kernarg_preload_offset 0
		.amdhsa_user_sgpr_private_segment_size 0
		.amdhsa_uses_dynamic_stack 0
		.amdhsa_enable_private_segment 0
		.amdhsa_system_sgpr_workgroup_id_x 1
		.amdhsa_system_sgpr_workgroup_id_y 1
		.amdhsa_system_sgpr_workgroup_id_z 0
		.amdhsa_system_sgpr_workgroup_info 0
		.amdhsa_system_vgpr_workitem_id 0
		.amdhsa_next_free_vgpr 120
		.amdhsa_next_free_sgpr 37
		.amdhsa_accum_offset 120
		.amdhsa_reserve_vcc 1
		.amdhsa_float_round_mode_32 0
		.amdhsa_float_round_mode_16_64 0
		.amdhsa_float_denorm_mode_32 3
		.amdhsa_float_denorm_mode_16_64 3
		.amdhsa_dx10_clamp 1
		.amdhsa_ieee_mode 1
		.amdhsa_fp16_overflow 0
		.amdhsa_tg_split 0
		.amdhsa_exception_fp_ieee_invalid_op 0
		.amdhsa_exception_fp_denorm_src 0
		.amdhsa_exception_fp_ieee_div_zero 0
		.amdhsa_exception_fp_ieee_overflow 0
		.amdhsa_exception_fp_ieee_underflow 0
		.amdhsa_exception_fp_ieee_inexact 0
		.amdhsa_exception_int_div_zero 0
	.end_amdhsa_kernel
	.section	.text._ZN9rocsparseL19gtsv_LBM_rhs_kernelILj256ELj64ELj8E21rocsparse_complex_numIfEEEviiiPKT2_S5_S5_PS3_S5_PKi,"axG",@progbits,_ZN9rocsparseL19gtsv_LBM_rhs_kernelILj256ELj64ELj8E21rocsparse_complex_numIfEEEviiiPKT2_S5_S5_PS3_S5_PKi,comdat
.Lfunc_end239:
	.size	_ZN9rocsparseL19gtsv_LBM_rhs_kernelILj256ELj64ELj8E21rocsparse_complex_numIfEEEviiiPKT2_S5_S5_PS3_S5_PKi, .Lfunc_end239-_ZN9rocsparseL19gtsv_LBM_rhs_kernelILj256ELj64ELj8E21rocsparse_complex_numIfEEEviiiPKT2_S5_S5_PS3_S5_PKi
                                        ; -- End function
	.set _ZN9rocsparseL19gtsv_LBM_rhs_kernelILj256ELj64ELj8E21rocsparse_complex_numIfEEEviiiPKT2_S5_S5_PS3_S5_PKi.num_vgpr, 120
	.set _ZN9rocsparseL19gtsv_LBM_rhs_kernelILj256ELj64ELj8E21rocsparse_complex_numIfEEEviiiPKT2_S5_S5_PS3_S5_PKi.num_agpr, 0
	.set _ZN9rocsparseL19gtsv_LBM_rhs_kernelILj256ELj64ELj8E21rocsparse_complex_numIfEEEviiiPKT2_S5_S5_PS3_S5_PKi.numbered_sgpr, 37
	.set _ZN9rocsparseL19gtsv_LBM_rhs_kernelILj256ELj64ELj8E21rocsparse_complex_numIfEEEviiiPKT2_S5_S5_PS3_S5_PKi.num_named_barrier, 0
	.set _ZN9rocsparseL19gtsv_LBM_rhs_kernelILj256ELj64ELj8E21rocsparse_complex_numIfEEEviiiPKT2_S5_S5_PS3_S5_PKi.private_seg_size, 0
	.set _ZN9rocsparseL19gtsv_LBM_rhs_kernelILj256ELj64ELj8E21rocsparse_complex_numIfEEEviiiPKT2_S5_S5_PS3_S5_PKi.uses_vcc, 1
	.set _ZN9rocsparseL19gtsv_LBM_rhs_kernelILj256ELj64ELj8E21rocsparse_complex_numIfEEEviiiPKT2_S5_S5_PS3_S5_PKi.uses_flat_scratch, 0
	.set _ZN9rocsparseL19gtsv_LBM_rhs_kernelILj256ELj64ELj8E21rocsparse_complex_numIfEEEviiiPKT2_S5_S5_PS3_S5_PKi.has_dyn_sized_stack, 0
	.set _ZN9rocsparseL19gtsv_LBM_rhs_kernelILj256ELj64ELj8E21rocsparse_complex_numIfEEEviiiPKT2_S5_S5_PS3_S5_PKi.has_recursion, 0
	.set _ZN9rocsparseL19gtsv_LBM_rhs_kernelILj256ELj64ELj8E21rocsparse_complex_numIfEEEviiiPKT2_S5_S5_PS3_S5_PKi.has_indirect_call, 0
	.section	.AMDGPU.csdata,"",@progbits
; Kernel info:
; codeLenInByte = 6184
; TotalNumSgprs: 43
; NumVgprs: 120
; NumAgprs: 0
; TotalNumVgprs: 120
; ScratchSize: 0
; MemoryBound: 0
; FloatMode: 240
; IeeeMode: 1
; LDSByteSize: 0 bytes/workgroup (compile time only)
; SGPRBlocks: 5
; VGPRBlocks: 14
; NumSGPRsForWavesPerEU: 43
; NumVGPRsForWavesPerEU: 120
; AccumOffset: 120
; Occupancy: 4
; WaveLimiterHint : 0
; COMPUTE_PGM_RSRC2:SCRATCH_EN: 0
; COMPUTE_PGM_RSRC2:USER_SGPR: 2
; COMPUTE_PGM_RSRC2:TRAP_HANDLER: 0
; COMPUTE_PGM_RSRC2:TGID_X_EN: 1
; COMPUTE_PGM_RSRC2:TGID_Y_EN: 1
; COMPUTE_PGM_RSRC2:TGID_Z_EN: 0
; COMPUTE_PGM_RSRC2:TIDIG_COMP_CNT: 0
; COMPUTE_PGM_RSRC3_GFX90A:ACCUM_OFFSET: 29
; COMPUTE_PGM_RSRC3_GFX90A:TG_SPLIT: 0
	.section	.text._ZN9rocsparseL19gtsv_LBM_rhs_kernelILj256ELj64ELj4E21rocsparse_complex_numIfEEEviiiPKT2_S5_S5_PS3_S5_PKi,"axG",@progbits,_ZN9rocsparseL19gtsv_LBM_rhs_kernelILj256ELj64ELj4E21rocsparse_complex_numIfEEEviiiPKT2_S5_S5_PS3_S5_PKi,comdat
	.globl	_ZN9rocsparseL19gtsv_LBM_rhs_kernelILj256ELj64ELj4E21rocsparse_complex_numIfEEEviiiPKT2_S5_S5_PS3_S5_PKi ; -- Begin function _ZN9rocsparseL19gtsv_LBM_rhs_kernelILj256ELj64ELj4E21rocsparse_complex_numIfEEEviiiPKT2_S5_S5_PS3_S5_PKi
	.p2align	8
	.type	_ZN9rocsparseL19gtsv_LBM_rhs_kernelILj256ELj64ELj4E21rocsparse_complex_numIfEEEviiiPKT2_S5_S5_PS3_S5_PKi,@function
_ZN9rocsparseL19gtsv_LBM_rhs_kernelILj256ELj64ELj4E21rocsparse_complex_numIfEEEviiiPKT2_S5_S5_PS3_S5_PKi: ; @_ZN9rocsparseL19gtsv_LBM_rhs_kernelILj256ELj64ELj4E21rocsparse_complex_numIfEEEviiiPKT2_S5_S5_PS3_S5_PKi
; %bb.0:
	s_load_dword s23, s[0:1], 0x0
	v_lshl_or_b32 v0, s2, 8, v0
	s_waitcnt lgkmcnt(0)
	s_lshr_b32 s22, s23, 6
	v_cmp_gt_i32_e32 vcc, s22, v0
	s_and_saveexec_b64 s[4:5], vcc
	s_cbranch_execz .LBB240_29
; %bb.1:
	s_load_dwordx4 s[8:11], s[0:1], 0x28
	s_load_dwordx2 s[6:7], s[0:1], 0x38
	s_cmp_lt_i32 s23, 1
	v_add_u32_e32 v56, s22, v0
	s_mul_i32 s24, s3, s23
	s_cbranch_scc1 .LBB240_21
; %bb.2:
	s_load_dwordx4 s[12:15], s[0:1], 0x10
	s_load_dwordx2 s[16:17], s[0:1], 0x20
	v_ashrrev_i32_e32 v1, 31, v0
	s_lshl_b32 s28, s24, 2
	s_add_i32 s29, s28, s23
	s_waitcnt lgkmcnt(0)
	v_lshl_add_u64 v[2:3], v[0:1], 3, s[14:15]
	global_load_dwordx2 v[4:5], v[2:3], off
	s_add_i32 s30, s29, s23
	s_mul_i32 s25, s22, 63
	s_mul_i32 s26, s22, 62
	s_lshl_b32 s27, s22, 1
	v_add_u32_e32 v57, s22, v56
	s_add_i32 s31, s30, s23
	v_mov_b32_e32 v3, 0
	s_mov_b64 s[18:19], 0
	v_mov_b32_e32 v1, 0
	s_branch .LBB240_5
.LBB240_3:                              ;   in Loop: Header=BB240_5 Depth=1
	s_or_b64 exec, exec, s[4:5]
	v_mov_b32_e32 v17, v6
	v_pk_mul_f32 v[14:15], v[8:9], v[16:17] op_sel:[1,0]
	s_nop 0
	v_pk_fma_f32 v[6:7], v[6:7], v[8:9], v[14:15] op_sel_hi:[1,0,1]
	s_nop 0
	v_xor_b32_e32 v8, 0x80000000, v7
	v_mov_b32_e32 v9, v6
	v_pk_mul_f32 v[8:9], v[10:11], v[8:9] op_sel_hi:[0,1]
	v_pk_fma_f32 v[4:5], v[6:7], v[4:5], v[8:9] op_sel_hi:[1,0,1]
	v_mov_b32_e32 v10, s22
	v_pk_add_f32 v[4:5], v[12:13], v[4:5] neg_lo:[0,1] neg_hi:[0,1]
.LBB240_4:                              ;   in Loop: Header=BB240_5 Depth=1
	s_or_b64 exec, exec, s[2:3]
	v_add_u32_e32 v1, v10, v1
	v_cmp_le_i32_e32 vcc, s23, v1
	s_or_b64 s[18:19], vcc, s[18:19]
	s_andn2_b64 exec, exec, s[18:19]
	s_cbranch_execz .LBB240_20
.LBB240_5:                              ; =>This Inner Loop Header: Depth=1
	v_add_u32_e32 v16, v1, v0
	v_ashrrev_i32_e32 v17, 31, v16
	v_lshl_add_u64 v[6:7], v[16:17], 3, s[16:17]
	global_load_dwordx2 v[8:9], v[6:7], off
	v_cmp_gt_u32_e64 s[0:1], s25, v1
	v_mov_b32_e32 v6, 0
	v_mov_b32_e32 v7, 0
	s_and_saveexec_b64 s[2:3], s[0:1]
	s_cbranch_execz .LBB240_7
; %bb.6:                                ;   in Loop: Header=BB240_5 Depth=1
	v_add_u32_e32 v6, v56, v1
	v_ashrrev_i32_e32 v7, 31, v6
	v_lshl_add_u64 v[6:7], v[6:7], 3, s[12:13]
	global_load_dwordx2 v[6:7], v[6:7], off
.LBB240_7:                              ;   in Loop: Header=BB240_5 Depth=1
	s_or_b64 exec, exec, s[2:3]
	v_mov_b32_e32 v10, 0
	v_mov_b32_e32 v12, 0
	;; [unrolled: 1-line block ×3, first 2 shown]
	s_and_saveexec_b64 s[2:3], s[0:1]
	s_cbranch_execz .LBB240_9
; %bb.8:                                ;   in Loop: Header=BB240_5 Depth=1
	v_add_u32_e32 v12, v56, v1
	v_ashrrev_i32_e32 v13, 31, v12
	v_lshl_add_u64 v[12:13], v[12:13], 3, s[14:15]
	global_load_dwordx2 v[12:13], v[12:13], off
.LBB240_9:                              ;   in Loop: Header=BB240_5 Depth=1
	s_or_b64 exec, exec, s[2:3]
	v_mov_b32_e32 v11, 0
	s_and_saveexec_b64 s[2:3], s[0:1]
	s_cbranch_execz .LBB240_11
; %bb.10:                               ;   in Loop: Header=BB240_5 Depth=1
	v_add_u32_e32 v10, v56, v1
	v_ashrrev_i32_e32 v11, 31, v10
	v_lshl_add_u64 v[10:11], v[10:11], 3, s[16:17]
	global_load_dwordx2 v[10:11], v[10:11], off
.LBB240_11:                             ;   in Loop: Header=BB240_5 Depth=1
	s_or_b64 exec, exec, s[2:3]
	v_cmp_gt_u32_e64 s[2:3], s26, v1
	v_mov_b32_e32 v14, 0
	v_mov_b32_e32 v15, 0
	s_and_saveexec_b64 s[4:5], s[2:3]
	s_cbranch_execz .LBB240_13
; %bb.12:                               ;   in Loop: Header=BB240_5 Depth=1
	v_add_u32_e32 v14, v57, v1
	v_ashrrev_i32_e32 v15, 31, v14
	v_lshl_add_u64 v[14:15], v[14:15], 3, s[12:13]
	global_load_dwordx2 v[14:15], v[14:15], off
.LBB240_13:                             ;   in Loop: Header=BB240_5 Depth=1
	s_or_b64 exec, exec, s[4:5]
	v_lshl_add_u64 v[18:19], v[16:17], 2, s[6:7]
	global_load_dword v17, v[18:19], off
	v_cmp_ne_u32_e32 vcc, s25, v1
	v_add_u32_e32 v2, s28, v16
	v_add_u32_e32 v22, s29, v16
	;; [unrolled: 1-line block ×4, first 2 shown]
	s_waitcnt vmcnt(1)
	v_xor_b32_e32 v16, 0x80000000, v7
	s_waitcnt vmcnt(0)
	v_cmp_ne_u32_e64 s[4:5], 1, v17
	s_and_b64 s[4:5], vcc, s[4:5]
	s_and_saveexec_b64 s[20:21], s[4:5]
	s_xor_b64 s[4:5], exec, s[20:21]
	s_cbranch_execz .LBB240_17
; %bb.14:                               ;   in Loop: Header=BB240_5 Depth=1
	v_add_u32_e32 v17, v56, v1
	v_lshl_add_u64 v[24:25], v[2:3], 3, s[8:9]
	v_add_u32_e32 v2, s28, v17
	v_lshl_add_u64 v[54:55], v[2:3], 3, s[8:9]
	global_load_dwordx2 v[26:27], v[24:25], off
	global_load_dwordx2 v[28:29], v[54:55], off
	v_mov_b32_e32 v23, v3
	v_add_u32_e32 v2, s29, v17
	v_mov_b32_e32 v21, v3
	v_lshl_add_u64 v[22:23], v[22:23], 3, s[8:9]
	v_lshl_add_u64 v[58:59], v[2:3], 3, s[8:9]
	;; [unrolled: 1-line block ×3, first 2 shown]
	global_load_dwordx2 v[32:33], v[58:59], off
	global_load_dwordx2 v[40:41], v[34:35], off
	global_load_dwordx2 v[30:31], v[22:23], off
	v_add_u32_e32 v2, s30, v17
	v_lshl_add_u64 v[60:61], v[2:3], 3, s[8:9]
	global_load_dwordx2 v[62:63], v[60:61], off
	v_mov_b32_e32 v19, v3
	v_lshl_add_u64 v[64:65], v[18:19], 3, s[8:9]
	v_add_u32_e32 v2, s31, v17
	global_load_dwordx2 v[66:67], v[64:65], off
	v_lshl_add_u64 v[68:69], v[2:3], 3, s[8:9]
	global_load_dwordx2 v[70:71], v[68:69], off
	v_xor_b32_e32 v18, 0x80000000, v5
	v_mov_b32_e32 v19, v4
	v_mov_b32_e32 v17, v6
	v_pk_mul_f32 v[20:21], v[12:13], v[18:19] op_sel:[1,0]
	v_pk_mul_f32 v[16:17], v[8:9], v[16:17] op_sel:[1,0]
	v_pk_fma_f32 v[20:21], v[4:5], v[12:13], v[20:21] op_sel_hi:[1,0,1]
	v_pk_fma_f32 v[16:17], v[6:7], v[8:9], v[16:17] op_sel_hi:[1,0,1]
	v_xor_b32_e32 v72, 0x80000000, v13
	v_pk_add_f32 v[16:17], v[20:21], v[16:17] neg_lo:[0,1] neg_hi:[0,1]
	v_xor_b32_e32 v74, 0x80000000, v9
	v_mul_f32_e32 v2, v17, v17
	v_fmac_f32_e32 v2, v16, v16
	v_div_scale_f32 v21, s[20:21], v2, v2, 1.0
	v_rcp_f32_e32 v36, v21
	v_fma_f32 v20, 0, v17, v16
	v_fma_f32 v17, v16, 0, -v17
	v_div_scale_f32 v16, vcc, 1.0, v2, 1.0
	v_fma_f32 v37, -v21, v36, 1.0
	v_fmac_f32_e32 v36, v37, v36
	v_mul_f32_e32 v37, v16, v36
	v_fma_f32 v38, -v21, v37, v16
	v_fmac_f32_e32 v37, v38, v36
	v_fma_f32 v16, -v21, v37, v16
	v_div_fmas_f32 v16, v16, v36, v37
	v_div_fixup_f32 v2, v16, v2, 1.0
	v_mul_f32_e32 v16, v20, v2
	v_mul_f32_e32 v20, v17, v2
	v_mov_b32_e32 v73, v12
	v_mov_b32_e32 v75, v8
	;; [unrolled: 1-line block ×3, first 2 shown]
	s_waitcnt vmcnt(7)
	v_mul_f32_e32 v48, v20, v26
	s_waitcnt vmcnt(6)
	v_mul_f32_e32 v44, v20, v28
	v_mul_f32_e64 v46, v20, -v27
	v_fmac_f32_e32 v48, v27, v16
	v_mul_f32_e64 v42, v20, -v29
	v_fmac_f32_e32 v44, v29, v16
	v_fmac_f32_e32 v46, v26, v16
	;; [unrolled: 1-line block ×3, first 2 shown]
	v_pk_mul_f32 v[26:27], v[48:49], v[72:73] op_sel_hi:[0,1]
	v_pk_mul_f32 v[28:29], v[44:45], v[74:75] op_sel_hi:[0,1]
	v_pk_fma_f32 v[26:27], v[12:13], v[46:47], v[26:27] op_sel_hi:[1,0,1]
	v_pk_fma_f32 v[28:29], v[8:9], v[42:43], v[28:29] op_sel_hi:[1,0,1]
	s_waitcnt vmcnt(3)
	v_mul_f32_e32 v38, v20, v30
	v_mul_f32_e32 v52, v20, v32
	v_pk_add_f32 v[26:27], v[26:27], v[28:29] neg_lo:[0,1] neg_hi:[0,1]
	v_mul_f32_e64 v36, v20, -v31
	v_fmac_f32_e32 v38, v31, v16
	v_mul_f32_e64 v50, v20, -v33
	v_fmac_f32_e32 v52, v33, v16
	global_store_dwordx2 v[24:25], v[26:27], off
	v_fmac_f32_e32 v36, v30, v16
	v_fmac_f32_e32 v50, v32, v16
	v_pk_mul_f32 v[24:25], v[38:39], v[72:73] op_sel_hi:[0,1]
	v_pk_mul_f32 v[26:27], v[52:53], v[74:75] op_sel_hi:[0,1]
	v_pk_fma_f32 v[24:25], v[12:13], v[36:37], v[24:25] op_sel_hi:[1,0,1]
	v_pk_fma_f32 v[26:27], v[8:9], v[50:51], v[26:27] op_sel_hi:[1,0,1]
	s_waitcnt vmcnt(3)
	v_mul_f32_e32 v28, v20, v62
	v_pk_add_f32 v[24:25], v[24:25], v[26:27] neg_lo:[0,1] neg_hi:[0,1]
	global_store_dwordx2 v[22:23], v[24:25], off
	v_mul_f32_e32 v24, v20, v40
	v_mul_f32_e64 v22, v20, -v41
	v_fmac_f32_e32 v24, v41, v16
	v_mul_f32_e64 v26, v20, -v63
	v_fmac_f32_e32 v28, v63, v16
	v_fmac_f32_e32 v22, v40, v16
	v_fmac_f32_e32 v26, v62, v16
	v_pk_mul_f32 v[30:31], v[24:25], v[72:73] op_sel_hi:[0,1]
	v_pk_mul_f32 v[32:33], v[28:29], v[74:75] op_sel_hi:[0,1]
	v_pk_fma_f32 v[30:31], v[12:13], v[22:23], v[30:31] op_sel_hi:[1,0,1]
	v_pk_fma_f32 v[32:33], v[8:9], v[26:27], v[32:33] op_sel_hi:[1,0,1]
	s_waitcnt vmcnt(2)
	v_mul_f32_e32 v40, v20, v70
	v_pk_add_f32 v[30:31], v[30:31], v[32:33] neg_lo:[0,1] neg_hi:[0,1]
	v_mul_f32_e32 v32, v20, v66
	global_store_dwordx2 v[34:35], v[30:31], off
	v_mul_f32_e64 v30, v20, -v67
	v_fmac_f32_e32 v32, v67, v16
	v_fmac_f32_e32 v30, v66, v16
	v_mul_f32_e64 v34, v20, -v71
	v_fmac_f32_e32 v40, v71, v16
	v_pk_mul_f32 v[62:63], v[32:33], v[72:73] op_sel_hi:[0,1]
	v_fmac_f32_e32 v34, v70, v16
	v_pk_fma_f32 v[12:13], v[12:13], v[30:31], v[62:63] op_sel_hi:[1,0,1]
	v_pk_mul_f32 v[62:63], v[40:41], v[74:75] op_sel_hi:[0,1]
	v_pk_fma_f32 v[8:9], v[8:9], v[34:35], v[62:63] op_sel_hi:[1,0,1]
	v_pk_mul_f32 v[62:63], v[44:45], v[18:19] op_sel_hi:[0,1]
	v_pk_add_f32 v[8:9], v[12:13], v[8:9] neg_lo:[0,1] neg_hi:[0,1]
	v_pk_add_f32 v[12:13], v[6:7], 0 neg_lo:[1,1] neg_hi:[1,1]
	global_store_dwordx2 v[64:65], v[8:9], off
	v_pk_mov_b32 v[12:13], v[6:7], v[12:13] op_sel:[1,0]
	v_pk_fma_f32 v[62:63], v[4:5], v[42:43], v[62:63] op_sel_hi:[1,0,1]
	v_pk_mul_f32 v[8:9], v[12:13], v[48:49] op_sel_hi:[1,0]
	s_nop 0
	v_pk_fma_f32 v[8:9], v[6:7], v[46:47], v[8:9] op_sel_hi:[1,0,1] neg_lo:[1,0,0] neg_hi:[1,0,0]
	s_nop 0
	v_pk_add_f32 v[62:63], v[8:9], v[62:63]
	global_store_dwordx2 v[54:55], v[62:63], off
	v_pk_mul_f32 v[54:55], v[12:13], v[38:39] op_sel_hi:[1,0]
	v_pk_mul_f32 v[62:63], v[52:53], v[18:19] op_sel_hi:[0,1]
	v_pk_fma_f32 v[54:55], v[6:7], v[36:37], v[54:55] op_sel_hi:[1,0,1] neg_lo:[1,0,0] neg_hi:[1,0,0]
	v_pk_fma_f32 v[62:63], v[4:5], v[50:51], v[62:63] op_sel_hi:[1,0,1]
	v_mov_b32_e32 v8, v4
	v_pk_add_f32 v[54:55], v[54:55], v[62:63]
	global_store_dwordx2 v[58:59], v[54:55], off
	v_pk_mul_f32 v[54:55], v[12:13], v[24:25] op_sel_hi:[1,0]
	v_pk_mul_f32 v[58:59], v[28:29], v[18:19] op_sel_hi:[0,1]
	v_pk_fma_f32 v[54:55], v[6:7], v[22:23], v[54:55] op_sel_hi:[1,0,1] neg_lo:[1,0,0] neg_hi:[1,0,0]
	v_pk_fma_f32 v[58:59], v[4:5], v[26:27], v[58:59] op_sel_hi:[1,0,1]
	v_mov_b32_e32 v9, v4
	v_pk_add_f32 v[54:55], v[54:55], v[58:59]
	global_store_dwordx2 v[60:61], v[54:55], off
	v_pk_mul_f32 v[54:55], v[12:13], v[32:33] op_sel_hi:[1,0]
	v_pk_mul_f32 v[58:59], v[40:41], v[18:19] op_sel_hi:[0,1]
	v_pk_fma_f32 v[54:55], v[6:7], v[30:31], v[54:55] op_sel_hi:[1,0,1] neg_lo:[1,0,0] neg_hi:[1,0,0]
	v_pk_fma_f32 v[58:59], v[4:5], v[34:35], v[58:59] op_sel_hi:[1,0,1]
	s_nop 0
	v_pk_add_f32 v[54:55], v[54:55], v[58:59]
	global_store_dwordx2 v[68:69], v[54:55], off
	v_mov_b64_e32 v[54:55], v[2:3]
	s_and_saveexec_b64 s[20:21], s[2:3]
	s_cbranch_execz .LBB240_16
; %bb.15:                               ;   in Loop: Header=BB240_5 Depth=1
	v_mov_b32_e32 v60, v15
	v_pk_mul_f32 v[12:13], v[60:61], v[12:13] op_sel_hi:[0,1]
	v_pk_fma_f32 v[6:7], v[6:7], v[14:15], v[12:13] op_sel_hi:[1,0,1] neg_lo:[1,0,0] neg_hi:[1,0,0]
	v_pk_mul_f32 v[18:19], v[60:61], v[18:19] op_sel_hi:[0,1]
	v_pk_add_f32 v[60:61], v[6:7], 0 neg_lo:[1,1] neg_hi:[1,1]
	v_mov_b32_e32 v49, v48
	v_pk_mov_b32 v[60:61], v[6:7], v[60:61] op_sel:[1,0]
	v_mov_b32_e32 v47, v46
	v_add_u32_e32 v54, v57, v1
	v_pk_fma_f32 v[18:19], v[4:5], v[14:15], v[18:19] op_sel_hi:[1,0,1]
	v_pk_mul_f32 v[48:49], v[60:61], v[48:49]
	v_mov_b32_e32 v45, v44
	v_add_u32_e32 v2, s28, v54
	v_pk_fma_f32 v[46:47], v[6:7], v[46:47], v[48:49] neg_lo:[1,0,0] neg_hi:[1,0,0]
	v_xor_b32_e32 v48, 0x80000000, v19
	v_mov_b32_e32 v49, v18
	v_mov_b32_e32 v43, v42
	v_lshl_add_u64 v[58:59], v[2:3], 3, s[8:9]
	v_pk_mul_f32 v[44:45], v[44:45], v[48:49]
	v_mov_b32_e32 v53, v52
	v_add_u32_e32 v2, s29, v54
	v_pk_fma_f32 v[42:43], v[18:19], v[42:43], v[44:45]
	global_load_dwordx2 v[44:45], v[58:59], off
	v_mov_b32_e32 v51, v50
	v_lshl_add_u64 v[12:13], v[2:3], 3, s[8:9]
	v_pk_mul_f32 v[52:53], v[52:53], v[48:49]
	v_mov_b32_e32 v39, v38
	v_pk_fma_f32 v[50:51], v[18:19], v[50:51], v[52:53]
	global_load_dwordx2 v[52:53], v[12:13], off
	v_mov_b32_e32 v37, v36
	v_pk_mul_f32 v[38:39], v[60:61], v[38:39]
	v_pk_add_f32 v[42:43], v[46:47], v[42:43] neg_lo:[0,1] neg_hi:[0,1]
	v_add_u32_e32 v2, s30, v54
	v_pk_fma_f32 v[36:37], v[6:7], v[36:37], v[38:39] neg_lo:[1,0,0] neg_hi:[1,0,0]
	v_lshl_add_u64 v[38:39], v[2:3], 3, s[8:9]
	v_pk_add_f32 v[36:37], v[36:37], v[50:51] neg_lo:[0,1] neg_hi:[0,1]
	v_ashrrev_i32_e32 v55, 31, v54
	v_add_u32_e32 v2, s31, v54
	v_lshl_add_u64 v[46:47], v[2:3], 3, s[8:9]
	v_mov_b32_e32 v2, v11
	v_mov_b32_e32 v29, v28
	;; [unrolled: 1-line block ×9, first 2 shown]
	v_pk_mul_f32 v[24:25], v[60:61], v[24:25]
	s_waitcnt vmcnt(1)
	v_pk_add_f32 v[42:43], v[42:43], v[44:45]
	global_store_dwordx2 v[58:59], v[42:43], off
	global_load_dwordx2 v[42:43], v[38:39], off
	v_xor_b32_e32 v44, 0x80000000, v15
	v_mov_b32_e32 v45, v14
	v_pk_mul_f32 v[4:5], v[4:5], v[44:45] op_sel:[1,0]
	s_waitcnt vmcnt(2)
	v_pk_add_f32 v[36:37], v[36:37], v[52:53]
	global_store_dwordx2 v[12:13], v[36:37], off
	v_lshl_add_u64 v[36:37], v[54:55], 3, s[14:15]
	global_load_dwordx2 v[12:13], v[46:47], off
	v_pk_fma_f32 v[4:5], v[14:15], v[8:9], v[4:5]
	global_load_dwordx2 v[36:37], v[36:37], off
	v_xor_b32_e32 v8, 0x80000000, v5
	v_mov_b32_e32 v9, v4
	v_pk_mul_f32 v[8:9], v[2:3], v[8:9] op_sel_hi:[0,1]
	v_pk_mul_f32 v[14:15], v[28:29], v[48:49]
	v_pk_fma_f32 v[4:5], v[4:5], v[10:11], v[8:9] op_sel_hi:[1,0,1]
	v_pk_mul_f32 v[28:29], v[40:41], v[48:49]
	v_pk_fma_f32 v[14:15], v[18:19], v[26:27], v[14:15]
	v_pk_mul_f32 v[26:27], v[60:61], v[32:33]
	v_xor_b32_e32 v10, 0x80000000, v5
	v_mov_b32_e32 v11, v4
	v_pk_fma_f32 v[18:19], v[18:19], v[34:35], v[28:29]
	v_pk_fma_f32 v[8:9], v[6:7], v[22:23], v[24:25] neg_lo:[1,0,0] neg_hi:[1,0,0]
	v_pk_fma_f32 v[6:7], v[6:7], v[30:31], v[26:27] neg_lo:[1,0,0] neg_hi:[1,0,0]
	v_pk_mul_f32 v[10:11], v[20:21], v[10:11] op_sel_hi:[0,1]
	v_pk_add_f32 v[8:9], v[8:9], v[14:15] neg_lo:[0,1] neg_hi:[0,1]
	v_pk_add_f32 v[6:7], v[6:7], v[18:19] neg_lo:[0,1] neg_hi:[0,1]
	v_pk_fma_f32 v[4:5], v[4:5], v[16:17], v[10:11] op_sel_hi:[1,0,1]
	s_waitcnt vmcnt(3)
	v_pk_add_f32 v[8:9], v[8:9], v[42:43]
	global_store_dwordx2 v[38:39], v[8:9], off
	s_waitcnt vmcnt(2)
	v_pk_add_f32 v[6:7], v[6:7], v[12:13]
	global_store_dwordx2 v[46:47], v[6:7], off
	s_waitcnt vmcnt(2)
	v_pk_add_f32 v[54:55], v[36:37], v[4:5] neg_lo:[0,1] neg_hi:[0,1]
.LBB240_16:                             ;   in Loop: Header=BB240_5 Depth=1
	s_or_b64 exec, exec, s[20:21]
	v_mov_b64_e32 v[4:5], v[54:55]
                                        ; implicit-def: $vgpr8_vgpr9
                                        ; implicit-def: $vgpr6
                                        ; implicit-def: $vgpr12_vgpr13
                                        ; implicit-def: $vgpr22
                                        ; implicit-def: $vgpr20
                                        ; implicit-def: $vgpr18
                                        ; implicit-def: $vgpr16
.LBB240_17:                             ;   in Loop: Header=BB240_5 Depth=1
	s_or_saveexec_b64 s[2:3], s[4:5]
	v_mov_b32_e32 v10, s27
	s_xor_b64 exec, exec, s[2:3]
	s_cbranch_execz .LBB240_4
; %bb.18:                               ;   in Loop: Header=BB240_5 Depth=1
	v_lshl_add_u64 v[24:25], v[2:3], 3, s[8:9]
	v_mov_b32_e32 v23, v3
	global_load_dwordx2 v[14:15], v[24:25], off
	v_lshl_add_u64 v[26:27], v[22:23], 3, s[8:9]
	v_mov_b32_e32 v21, v3
	v_mov_b32_e32 v19, v3
	v_lshl_add_u64 v[28:29], v[20:21], 3, s[8:9]
	v_lshl_add_u64 v[30:31], v[18:19], 3, s[8:9]
	global_load_dwordx2 v[18:19], v[26:27], off
	global_load_dwordx2 v[20:21], v[28:29], off
	;; [unrolled: 1-line block ×3, first 2 shown]
	v_mul_f32_e32 v2, v5, v5
	v_fmac_f32_e32 v2, v4, v4
	v_div_scale_f32 v11, s[4:5], v2, v2, 1.0
	v_rcp_f32_e32 v17, v11
	v_fma_f32 v10, 0, v5, v4
	v_fma_f32 v5, v4, 0, -v5
	v_div_scale_f32 v4, vcc, 1.0, v2, 1.0
	v_fma_f32 v22, -v11, v17, 1.0
	v_fmac_f32_e32 v17, v22, v17
	v_mul_f32_e32 v22, v4, v17
	v_fma_f32 v23, -v11, v22, v4
	v_fmac_f32_e32 v22, v23, v17
	v_fma_f32 v4, -v11, v22, v4
	v_div_fmas_f32 v4, v4, v17, v22
	v_div_fixup_f32 v2, v4, v2, 1.0
	v_mul_f32_e32 v4, v10, v2
	v_mul_f32_e32 v10, v5, v2
	s_waitcnt vmcnt(3)
	v_pk_mul_f32 v[22:23], v[10:11], v[14:15] op_sel:[0,1] op_sel_hi:[0,0] neg_lo:[0,1]
	v_pk_fma_f32 v[14:15], v[14:15], v[4:5], v[22:23] op_sel_hi:[1,0,1]
	global_store_dwordx2 v[24:25], v[14:15], off
	s_waitcnt vmcnt(3)
	v_pk_mul_f32 v[22:23], v[10:11], v[18:19] op_sel:[0,1] op_sel_hi:[0,0] neg_lo:[0,1]
	s_waitcnt vmcnt(2)
	v_pk_mul_f32 v[34:35], v[10:11], v[20:21] op_sel:[0,1] op_sel_hi:[0,0] neg_lo:[0,1]
	;; [unrolled: 2-line block ×3, first 2 shown]
	v_pk_fma_f32 v[22:23], v[18:19], v[4:5], v[22:23] op_sel_hi:[1,0,1]
	v_pk_fma_f32 v[20:21], v[20:21], v[4:5], v[34:35] op_sel_hi:[1,0,1]
	;; [unrolled: 1-line block ×3, first 2 shown]
	global_store_dwordx2 v[26:27], v[22:23], off
	global_store_dwordx2 v[28:29], v[20:21], off
	;; [unrolled: 1-line block ×3, first 2 shown]
	s_and_saveexec_b64 s[4:5], s[0:1]
	s_cbranch_execz .LBB240_3
; %bb.19:                               ;   in Loop: Header=BB240_5 Depth=1
	v_add_u32_e32 v5, v56, v1
	v_add_u32_e32 v2, s28, v5
	v_lshl_add_u64 v[24:25], v[2:3], 3, s[8:9]
	v_add_u32_e32 v2, s29, v5
	global_load_dwordx2 v[26:27], v[24:25], off
	v_lshl_add_u64 v[28:29], v[2:3], 3, s[8:9]
	global_load_dwordx2 v[30:31], v[28:29], off
	v_xor_b32_e32 v32, 0x80000000, v6
	v_mov_b32_e32 v33, v16
	v_mov_b32_e32 v34, v7
	v_mov_b32_e32 v35, v32
	v_add_u32_e32 v2, s30, v5
	v_lshl_add_u64 v[36:37], v[2:3], 3, s[8:9]
	v_add_u32_e32 v2, s31, v5
	v_lshl_add_u64 v[38:39], v[2:3], 3, s[8:9]
	s_waitcnt vmcnt(1)
	v_pk_fma_f32 v[26:27], v[32:33], v[14:15], v[26:27] op_sel_hi:[1,0,1]
	s_nop 0
	v_pk_fma_f32 v[14:15], v[34:35], v[14:15], v[26:27] op_sel:[0,1,0]
	s_waitcnt vmcnt(0)
	v_pk_fma_f32 v[26:27], v[32:33], v[22:23], v[30:31] op_sel_hi:[1,0,1]
	global_store_dwordx2 v[24:25], v[14:15], off
	v_pk_fma_f32 v[14:15], v[34:35], v[22:23], v[26:27] op_sel:[0,1,0]
	global_store_dwordx2 v[28:29], v[14:15], off
	global_load_dwordx2 v[22:23], v[36:37], off
	s_nop 0
	global_load_dwordx2 v[14:15], v[38:39], off
	s_waitcnt vmcnt(1)
	v_pk_fma_f32 v[22:23], v[32:33], v[20:21], v[22:23] op_sel_hi:[1,0,1]
	s_nop 0
	v_pk_fma_f32 v[20:21], v[34:35], v[20:21], v[22:23] op_sel:[0,1,0]
	s_waitcnt vmcnt(0)
	v_pk_fma_f32 v[14:15], v[32:33], v[18:19], v[14:15] op_sel_hi:[1,0,1]
	global_store_dwordx2 v[36:37], v[20:21], off
	v_pk_fma_f32 v[14:15], v[34:35], v[18:19], v[14:15] op_sel:[0,1,0]
	global_store_dwordx2 v[38:39], v[14:15], off
	s_branch .LBB240_3
.LBB240_20:
	s_or_b64 exec, exec, s[18:19]
	s_branch .LBB240_22
.LBB240_21:
	v_mov_b32_e32 v1, 0
.LBB240_22:
	v_subrev_u32_e32 v1, s22, v1
	v_add_u32_e32 v2, v1, v0
	v_ashrrev_i32_e32 v3, 31, v2
	s_waitcnt lgkmcnt(0)
	v_lshl_add_u64 v[2:3], v[2:3], 2, s[6:7]
	buffer_wbl2 sc1
	s_waitcnt vmcnt(0)
	buffer_inv sc1
	global_load_dword v2, v[2:3], off
	s_waitcnt vmcnt(0)
	v_mul_lo_u32 v2, v2, s22
	v_sub_u32_e32 v1, v1, v2
	v_cmp_lt_i32_e32 vcc, -1, v1
	s_and_b64 exec, exec, vcc
	s_cbranch_execz .LBB240_29
; %bb.23:
	s_lshl_b32 s4, s24, 2
	s_add_i32 s5, s4, s23
	s_add_i32 s12, s5, s23
	;; [unrolled: 1-line block ×3, first 2 shown]
	s_lshl_b32 s14, s22, 1
	s_mov_b64 s[0:1], 0
	v_mov_b32_e32 v3, 0
	s_branch .LBB240_25
.LBB240_24:                             ;   in Loop: Header=BB240_25 Depth=1
	s_or_b64 exec, exec, s[2:3]
	v_sub_u32_e32 v1, v1, v2
	v_cmp_gt_i32_e32 vcc, 0, v1
	s_or_b64 s[0:1], vcc, s[0:1]
	s_andn2_b64 exec, exec, s[0:1]
	s_cbranch_execz .LBB240_29
.LBB240_25:                             ; =>This Inner Loop Header: Depth=1
	v_add_u32_e32 v4, v1, v0
	v_ashrrev_i32_e32 v5, 31, v4
	s_waitcnt vmcnt(0)
	v_lshl_add_u64 v[6:7], v[4:5], 2, s[6:7]
	global_load_dword v2, v[6:7], off
	v_lshl_add_u64 v[6:7], v[4:5], 3, s[10:11]
	global_load_dwordx2 v[6:7], v[6:7], off
	s_waitcnt vmcnt(1)
	v_cmp_ne_u32_e32 vcc, 1, v2
	s_and_saveexec_b64 s[2:3], vcc
	s_xor_b64 s[2:3], exec, s[2:3]
	s_cbranch_execz .LBB240_27
; %bb.26:                               ;   in Loop: Header=BB240_25 Depth=1
	v_add_u32_e32 v5, v56, v1
	v_add_u32_e32 v2, s4, v5
	v_lshl_add_u64 v[8:9], v[2:3], 3, s[8:9]
	v_add_u32_e32 v2, s5, v5
	v_lshl_add_u64 v[10:11], v[2:3], 3, s[8:9]
	;; [unrolled: 2-line block ×5, first 2 shown]
	global_load_dwordx2 v[8:9], v[8:9], off
	s_waitcnt vmcnt(1)
	v_pk_add_f32 v[20:21], v[6:7], 0 neg_lo:[1,1] neg_hi:[1,1]
	global_load_dwordx2 v[18:19], v[16:17], off
	v_xor_b32_e32 v23, 0x80000000, v7
	v_mov_b32_e32 v22, v20
	v_pk_mov_b32 v[6:7], v[6:7], v[20:21] op_sel:[1,0]
	global_load_dwordx2 v[20:21], v[10:11], off
	global_load_dwordx2 v[24:25], v[12:13], off
	;; [unrolled: 1-line block ×3, first 2 shown]
	v_add_u32_e32 v2, s5, v4
	v_lshl_add_u64 v[10:11], v[2:3], 3, s[8:9]
	v_add_u32_e32 v2, s12, v4
	v_lshl_add_u64 v[14:15], v[2:3], 3, s[8:9]
	;; [unrolled: 2-line block ×3, first 2 shown]
	v_subrev_u32_e32 v2, s22, v1
	s_waitcnt vmcnt(3)
	v_pk_fma_f32 v[12:13], v[22:23], v[8:9], v[18:19] op_sel_hi:[1,0,1]
	s_nop 0
	v_pk_fma_f32 v[12:13], v[6:7], v[8:9], v[12:13] op_sel:[0,1,0]
	global_store_dwordx2 v[16:17], v[12:13], off
	global_load_dwordx2 v[12:13], v[10:11], off
	s_waitcnt vmcnt(0)
	v_pk_fma_f32 v[12:13], v[22:23], v[20:21], v[12:13] op_sel_hi:[1,0,1]
	s_nop 0
	v_pk_fma_f32 v[12:13], v[6:7], v[20:21], v[12:13] op_sel:[0,1,0]
	global_store_dwordx2 v[10:11], v[12:13], off
	global_load_dwordx2 v[10:11], v[14:15], off
	v_add_u32_e32 v12, v2, v0
	v_ashrrev_i32_e32 v13, 31, v12
	v_add_u32_e32 v2, s4, v12
	v_lshl_add_u64 v[16:17], v[2:3], 3, s[8:9]
	v_add_u32_e32 v2, s5, v12
	s_waitcnt vmcnt(0)
	v_pk_fma_f32 v[10:11], v[22:23], v[24:25], v[10:11] op_sel_hi:[1,0,1]
	s_nop 0
	v_pk_fma_f32 v[10:11], v[6:7], v[24:25], v[10:11] op_sel:[0,1,0]
	global_store_dwordx2 v[14:15], v[10:11], off
	global_load_dwordx2 v[10:11], v[4:5], off
	v_lshl_add_u64 v[14:15], v[12:13], 3, s[10:11]
	global_load_dwordx2 v[14:15], v[14:15], off
	s_waitcnt vmcnt(1)
	v_pk_fma_f32 v[10:11], v[22:23], v[26:27], v[10:11] op_sel_hi:[1,0,1]
	s_nop 0
	v_pk_fma_f32 v[6:7], v[6:7], v[26:27], v[10:11] op_sel:[0,1,0]
	global_store_dwordx2 v[4:5], v[6:7], off
	global_load_dwordx2 v[4:5], v[16:17], off
	s_waitcnt vmcnt(2)
	v_pk_add_f32 v[10:11], v[14:15], 0 neg_lo:[1,1] neg_hi:[1,1]
	v_lshl_add_u64 v[6:7], v[2:3], 3, s[8:9]
	v_pk_mov_b32 v[10:11], v[14:15], v[10:11] op_sel:[1,0]
	v_add_u32_e32 v2, s12, v12
	s_waitcnt vmcnt(0)
	v_pk_fma_f32 v[4:5], v[14:15], v[8:9], v[4:5] op_sel_hi:[1,0,1] neg_lo:[1,0,0] neg_hi:[1,0,0]
	s_nop 0
	v_pk_fma_f32 v[4:5], v[10:11], v[8:9], v[4:5] op_sel:[0,1,0]
	global_store_dwordx2 v[16:17], v[4:5], off
	global_load_dwordx2 v[4:5], v[6:7], off
	v_lshl_add_u64 v[8:9], v[2:3], 3, s[8:9]
	v_add_u32_e32 v2, s13, v12
	s_waitcnt vmcnt(0)
	v_pk_fma_f32 v[4:5], v[14:15], v[20:21], v[4:5] op_sel_hi:[1,0,1] neg_lo:[1,0,0] neg_hi:[1,0,0]
	s_nop 0
	v_pk_fma_f32 v[4:5], v[10:11], v[20:21], v[4:5] op_sel:[0,1,0]
	global_store_dwordx2 v[6:7], v[4:5], off
	global_load_dwordx2 v[4:5], v[8:9], off
	v_lshl_add_u64 v[6:7], v[2:3], 3, s[8:9]
	s_waitcnt vmcnt(0)
	v_pk_fma_f32 v[4:5], v[14:15], v[24:25], v[4:5] op_sel_hi:[1,0,1] neg_lo:[1,0,0] neg_hi:[1,0,0]
	s_nop 0
	v_pk_fma_f32 v[4:5], v[10:11], v[24:25], v[4:5] op_sel:[0,1,0]
	global_store_dwordx2 v[8:9], v[4:5], off
	global_load_dwordx2 v[4:5], v[6:7], off
	s_waitcnt vmcnt(0)
	v_pk_fma_f32 v[4:5], v[14:15], v[26:27], v[4:5] op_sel_hi:[1,0,1] neg_lo:[1,0,0] neg_hi:[1,0,0]
	s_nop 0
	v_pk_fma_f32 v[4:5], v[10:11], v[26:27], v[4:5] op_sel:[0,1,0]
	global_store_dwordx2 v[6:7], v[4:5], off
                                        ; implicit-def: $vgpr4
                                        ; implicit-def: $vgpr6_vgpr7
.LBB240_27:                             ;   in Loop: Header=BB240_25 Depth=1
	s_or_saveexec_b64 s[2:3], s[2:3]
	v_mov_b32_e32 v2, s14
	s_xor_b64 exec, exec, s[2:3]
	s_cbranch_execz .LBB240_24
; %bb.28:                               ;   in Loop: Header=BB240_25 Depth=1
	v_add_u32_e32 v5, v56, v1
	v_add_u32_e32 v2, s4, v5
	v_lshl_add_u64 v[8:9], v[2:3], 3, s[8:9]
	v_add_u32_e32 v2, s4, v4
	v_lshl_add_u64 v[10:11], v[2:3], 3, s[8:9]
	global_load_dwordx2 v[12:13], v[8:9], off
	global_load_dwordx2 v[14:15], v[10:11], off
	s_waitcnt vmcnt(2)
	v_pk_add_f32 v[8:9], v[6:7], 0 neg_lo:[1,1] neg_hi:[1,1]
	v_xor_b32_e32 v17, 0x80000000, v7
	v_mov_b32_e32 v16, v8
	v_pk_mov_b32 v[8:9], v[6:7], v[8:9] op_sel:[1,0]
	v_add_u32_e32 v2, s5, v5
	v_lshl_add_u64 v[18:19], v[2:3], 3, s[8:9]
	v_add_u32_e32 v2, s5, v4
	v_lshl_add_u64 v[20:21], v[2:3], 3, s[8:9]
	v_add_u32_e32 v2, s12, v5
	s_waitcnt vmcnt(0)
	v_pk_fma_f32 v[14:15], v[16:17], v[12:13], v[14:15] op_sel_hi:[1,0,1]
	s_nop 0
	v_pk_fma_f32 v[12:13], v[8:9], v[12:13], v[14:15] op_sel:[0,1,0]
	global_store_dwordx2 v[10:11], v[12:13], off
	global_load_dwordx2 v[10:11], v[18:19], off
	s_nop 0
	global_load_dwordx2 v[12:13], v[20:21], off
	v_lshl_add_u64 v[14:15], v[2:3], 3, s[8:9]
	v_add_u32_e32 v2, s12, v4
	v_lshl_add_u64 v[18:19], v[2:3], 3, s[8:9]
	v_add_u32_e32 v2, s13, v5
	s_waitcnt vmcnt(0)
	v_pk_fma_f32 v[12:13], v[16:17], v[10:11], v[12:13] op_sel_hi:[1,0,1]
	s_nop 0
	v_pk_fma_f32 v[10:11], v[8:9], v[10:11], v[12:13] op_sel:[0,1,0]
	global_store_dwordx2 v[20:21], v[10:11], off
	global_load_dwordx2 v[10:11], v[14:15], off
	s_nop 0
	global_load_dwordx2 v[12:13], v[18:19], off
	v_lshl_add_u64 v[14:15], v[2:3], 3, s[8:9]
	v_add_u32_e32 v2, s13, v4
	v_lshl_add_u64 v[4:5], v[2:3], 3, s[8:9]
	v_mov_b32_e32 v2, s22
	s_waitcnt vmcnt(0)
	v_pk_fma_f32 v[12:13], v[16:17], v[10:11], v[12:13] op_sel_hi:[1,0,1]
	s_nop 0
	v_pk_fma_f32 v[10:11], v[8:9], v[10:11], v[12:13] op_sel:[0,1,0]
	global_store_dwordx2 v[18:19], v[10:11], off
	global_load_dwordx2 v[10:11], v[14:15], off
	s_nop 0
	global_load_dwordx2 v[12:13], v[4:5], off
	s_waitcnt vmcnt(0)
	v_pk_fma_f32 v[6:7], v[6:7], v[10:11], v[12:13] op_sel_hi:[1,0,1] neg_lo:[1,0,0] neg_hi:[1,0,0]
	s_nop 0
	v_pk_fma_f32 v[6:7], v[8:9], v[10:11], v[6:7] op_sel:[0,1,0]
	global_store_dwordx2 v[4:5], v[6:7], off
	s_branch .LBB240_24
.LBB240_29:
	s_endpgm
	.section	.rodata,"a",@progbits
	.p2align	6, 0x0
	.amdhsa_kernel _ZN9rocsparseL19gtsv_LBM_rhs_kernelILj256ELj64ELj4E21rocsparse_complex_numIfEEEviiiPKT2_S5_S5_PS3_S5_PKi
		.amdhsa_group_segment_fixed_size 0
		.amdhsa_private_segment_fixed_size 0
		.amdhsa_kernarg_size 64
		.amdhsa_user_sgpr_count 2
		.amdhsa_user_sgpr_dispatch_ptr 0
		.amdhsa_user_sgpr_queue_ptr 0
		.amdhsa_user_sgpr_kernarg_segment_ptr 1
		.amdhsa_user_sgpr_dispatch_id 0
		.amdhsa_user_sgpr_kernarg_preload_length 0
		.amdhsa_user_sgpr_kernarg_preload_offset 0
		.amdhsa_user_sgpr_private_segment_size 0
		.amdhsa_uses_dynamic_stack 0
		.amdhsa_enable_private_segment 0
		.amdhsa_system_sgpr_workgroup_id_x 1
		.amdhsa_system_sgpr_workgroup_id_y 1
		.amdhsa_system_sgpr_workgroup_id_z 0
		.amdhsa_system_sgpr_workgroup_info 0
		.amdhsa_system_vgpr_workitem_id 0
		.amdhsa_next_free_vgpr 76
		.amdhsa_next_free_sgpr 32
		.amdhsa_accum_offset 76
		.amdhsa_reserve_vcc 1
		.amdhsa_float_round_mode_32 0
		.amdhsa_float_round_mode_16_64 0
		.amdhsa_float_denorm_mode_32 3
		.amdhsa_float_denorm_mode_16_64 3
		.amdhsa_dx10_clamp 1
		.amdhsa_ieee_mode 1
		.amdhsa_fp16_overflow 0
		.amdhsa_tg_split 0
		.amdhsa_exception_fp_ieee_invalid_op 0
		.amdhsa_exception_fp_denorm_src 0
		.amdhsa_exception_fp_ieee_div_zero 0
		.amdhsa_exception_fp_ieee_overflow 0
		.amdhsa_exception_fp_ieee_underflow 0
		.amdhsa_exception_fp_ieee_inexact 0
		.amdhsa_exception_int_div_zero 0
	.end_amdhsa_kernel
	.section	.text._ZN9rocsparseL19gtsv_LBM_rhs_kernelILj256ELj64ELj4E21rocsparse_complex_numIfEEEviiiPKT2_S5_S5_PS3_S5_PKi,"axG",@progbits,_ZN9rocsparseL19gtsv_LBM_rhs_kernelILj256ELj64ELj4E21rocsparse_complex_numIfEEEviiiPKT2_S5_S5_PS3_S5_PKi,comdat
.Lfunc_end240:
	.size	_ZN9rocsparseL19gtsv_LBM_rhs_kernelILj256ELj64ELj4E21rocsparse_complex_numIfEEEviiiPKT2_S5_S5_PS3_S5_PKi, .Lfunc_end240-_ZN9rocsparseL19gtsv_LBM_rhs_kernelILj256ELj64ELj4E21rocsparse_complex_numIfEEEviiiPKT2_S5_S5_PS3_S5_PKi
                                        ; -- End function
	.set _ZN9rocsparseL19gtsv_LBM_rhs_kernelILj256ELj64ELj4E21rocsparse_complex_numIfEEEviiiPKT2_S5_S5_PS3_S5_PKi.num_vgpr, 76
	.set _ZN9rocsparseL19gtsv_LBM_rhs_kernelILj256ELj64ELj4E21rocsparse_complex_numIfEEEviiiPKT2_S5_S5_PS3_S5_PKi.num_agpr, 0
	.set _ZN9rocsparseL19gtsv_LBM_rhs_kernelILj256ELj64ELj4E21rocsparse_complex_numIfEEEviiiPKT2_S5_S5_PS3_S5_PKi.numbered_sgpr, 32
	.set _ZN9rocsparseL19gtsv_LBM_rhs_kernelILj256ELj64ELj4E21rocsparse_complex_numIfEEEviiiPKT2_S5_S5_PS3_S5_PKi.num_named_barrier, 0
	.set _ZN9rocsparseL19gtsv_LBM_rhs_kernelILj256ELj64ELj4E21rocsparse_complex_numIfEEEviiiPKT2_S5_S5_PS3_S5_PKi.private_seg_size, 0
	.set _ZN9rocsparseL19gtsv_LBM_rhs_kernelILj256ELj64ELj4E21rocsparse_complex_numIfEEEviiiPKT2_S5_S5_PS3_S5_PKi.uses_vcc, 1
	.set _ZN9rocsparseL19gtsv_LBM_rhs_kernelILj256ELj64ELj4E21rocsparse_complex_numIfEEEviiiPKT2_S5_S5_PS3_S5_PKi.uses_flat_scratch, 0
	.set _ZN9rocsparseL19gtsv_LBM_rhs_kernelILj256ELj64ELj4E21rocsparse_complex_numIfEEEviiiPKT2_S5_S5_PS3_S5_PKi.has_dyn_sized_stack, 0
	.set _ZN9rocsparseL19gtsv_LBM_rhs_kernelILj256ELj64ELj4E21rocsparse_complex_numIfEEEviiiPKT2_S5_S5_PS3_S5_PKi.has_recursion, 0
	.set _ZN9rocsparseL19gtsv_LBM_rhs_kernelILj256ELj64ELj4E21rocsparse_complex_numIfEEEviiiPKT2_S5_S5_PS3_S5_PKi.has_indirect_call, 0
	.section	.AMDGPU.csdata,"",@progbits
; Kernel info:
; codeLenInByte = 3788
; TotalNumSgprs: 38
; NumVgprs: 76
; NumAgprs: 0
; TotalNumVgprs: 76
; ScratchSize: 0
; MemoryBound: 0
; FloatMode: 240
; IeeeMode: 1
; LDSByteSize: 0 bytes/workgroup (compile time only)
; SGPRBlocks: 4
; VGPRBlocks: 9
; NumSGPRsForWavesPerEU: 38
; NumVGPRsForWavesPerEU: 76
; AccumOffset: 76
; Occupancy: 6
; WaveLimiterHint : 0
; COMPUTE_PGM_RSRC2:SCRATCH_EN: 0
; COMPUTE_PGM_RSRC2:USER_SGPR: 2
; COMPUTE_PGM_RSRC2:TRAP_HANDLER: 0
; COMPUTE_PGM_RSRC2:TGID_X_EN: 1
; COMPUTE_PGM_RSRC2:TGID_Y_EN: 1
; COMPUTE_PGM_RSRC2:TGID_Z_EN: 0
; COMPUTE_PGM_RSRC2:TIDIG_COMP_CNT: 0
; COMPUTE_PGM_RSRC3_GFX90A:ACCUM_OFFSET: 18
; COMPUTE_PGM_RSRC3_GFX90A:TG_SPLIT: 0
	.section	.text._ZN9rocsparseL19gtsv_LBM_rhs_kernelILj256ELj64ELj2E21rocsparse_complex_numIfEEEviiiPKT2_S5_S5_PS3_S5_PKi,"axG",@progbits,_ZN9rocsparseL19gtsv_LBM_rhs_kernelILj256ELj64ELj2E21rocsparse_complex_numIfEEEviiiPKT2_S5_S5_PS3_S5_PKi,comdat
	.globl	_ZN9rocsparseL19gtsv_LBM_rhs_kernelILj256ELj64ELj2E21rocsparse_complex_numIfEEEviiiPKT2_S5_S5_PS3_S5_PKi ; -- Begin function _ZN9rocsparseL19gtsv_LBM_rhs_kernelILj256ELj64ELj2E21rocsparse_complex_numIfEEEviiiPKT2_S5_S5_PS3_S5_PKi
	.p2align	8
	.type	_ZN9rocsparseL19gtsv_LBM_rhs_kernelILj256ELj64ELj2E21rocsparse_complex_numIfEEEviiiPKT2_S5_S5_PS3_S5_PKi,@function
_ZN9rocsparseL19gtsv_LBM_rhs_kernelILj256ELj64ELj2E21rocsparse_complex_numIfEEEviiiPKT2_S5_S5_PS3_S5_PKi: ; @_ZN9rocsparseL19gtsv_LBM_rhs_kernelILj256ELj64ELj2E21rocsparse_complex_numIfEEEviiiPKT2_S5_S5_PS3_S5_PKi
; %bb.0:
	s_load_dword s23, s[0:1], 0x0
	v_lshl_or_b32 v0, s2, 8, v0
	s_waitcnt lgkmcnt(0)
	s_lshr_b32 s22, s23, 6
	v_cmp_gt_i32_e32 vcc, s22, v0
	s_and_saveexec_b64 s[4:5], vcc
	s_cbranch_execz .LBB241_29
; %bb.1:
	s_load_dwordx4 s[8:11], s[0:1], 0x28
	s_load_dwordx2 s[6:7], s[0:1], 0x38
	s_cmp_lt_i32 s23, 1
	v_add_u32_e32 v25, s22, v0
	s_mul_i32 s24, s3, s23
	s_cbranch_scc1 .LBB241_21
; %bb.2:
	s_load_dwordx4 s[12:15], s[0:1], 0x10
	s_load_dwordx2 s[16:17], s[0:1], 0x20
	v_ashrrev_i32_e32 v1, 31, v0
	s_lshl_b32 s28, s24, 1
	s_mul_i32 s25, s22, 63
	s_waitcnt lgkmcnt(0)
	v_lshl_add_u64 v[2:3], v[0:1], 3, s[14:15]
	global_load_dwordx2 v[6:7], v[2:3], off
	s_mul_i32 s26, s22, 62
	s_lshl_b32 s27, s22, 1
	v_add_u32_e32 v42, s22, v25
	s_add_i32 s29, s28, s23
	v_mov_b32_e32 v3, 0
	s_mov_b64 s[18:19], 0
	v_mov_b32_e32 v1, 0
	s_branch .LBB241_5
.LBB241_3:                              ;   in Loop: Header=BB241_5 Depth=1
	s_or_b64 exec, exec, s[4:5]
	v_mov_b32_e32 v21, v4
	v_pk_mul_f32 v[14:15], v[8:9], v[20:21] op_sel:[1,0]
	s_nop 0
	v_pk_fma_f32 v[4:5], v[4:5], v[8:9], v[14:15] op_sel_hi:[1,0,1]
	s_nop 0
	v_xor_b32_e32 v8, 0x80000000, v5
	v_mov_b32_e32 v9, v4
	v_pk_mul_f32 v[8:9], v[12:13], v[8:9] op_sel_hi:[0,1]
	v_pk_fma_f32 v[4:5], v[4:5], v[6:7], v[8:9] op_sel_hi:[1,0,1]
	v_mov_b32_e32 v12, s22
	v_pk_add_f32 v[6:7], v[10:11], v[4:5] neg_lo:[0,1] neg_hi:[0,1]
.LBB241_4:                              ;   in Loop: Header=BB241_5 Depth=1
	s_or_b64 exec, exec, s[2:3]
	v_add_u32_e32 v1, v12, v1
	v_cmp_le_i32_e32 vcc, s23, v1
	s_or_b64 s[18:19], vcc, s[18:19]
	s_andn2_b64 exec, exec, s[18:19]
	s_cbranch_execz .LBB241_20
.LBB241_5:                              ; =>This Inner Loop Header: Depth=1
	v_add_u32_e32 v16, v1, v0
	v_ashrrev_i32_e32 v17, 31, v16
	v_lshl_add_u64 v[4:5], v[16:17], 3, s[16:17]
	global_load_dwordx2 v[8:9], v[4:5], off
	v_cmp_gt_u32_e64 s[0:1], s25, v1
	v_mov_b32_e32 v4, 0
	v_mov_b32_e32 v5, 0
	s_and_saveexec_b64 s[2:3], s[0:1]
	s_cbranch_execz .LBB241_7
; %bb.6:                                ;   in Loop: Header=BB241_5 Depth=1
	v_add_u32_e32 v4, v25, v1
	v_ashrrev_i32_e32 v5, 31, v4
	v_lshl_add_u64 v[4:5], v[4:5], 3, s[12:13]
	global_load_dwordx2 v[4:5], v[4:5], off
.LBB241_7:                              ;   in Loop: Header=BB241_5 Depth=1
	s_or_b64 exec, exec, s[2:3]
	v_mov_b32_e32 v12, 0
	v_mov_b32_e32 v10, 0
	;; [unrolled: 1-line block ×3, first 2 shown]
	s_and_saveexec_b64 s[2:3], s[0:1]
	s_cbranch_execz .LBB241_9
; %bb.8:                                ;   in Loop: Header=BB241_5 Depth=1
	v_add_u32_e32 v10, v25, v1
	v_ashrrev_i32_e32 v11, 31, v10
	v_lshl_add_u64 v[10:11], v[10:11], 3, s[14:15]
	global_load_dwordx2 v[10:11], v[10:11], off
.LBB241_9:                              ;   in Loop: Header=BB241_5 Depth=1
	s_or_b64 exec, exec, s[2:3]
	v_mov_b32_e32 v13, 0
	s_and_saveexec_b64 s[2:3], s[0:1]
	s_cbranch_execz .LBB241_11
; %bb.10:                               ;   in Loop: Header=BB241_5 Depth=1
	v_add_u32_e32 v12, v25, v1
	v_ashrrev_i32_e32 v13, 31, v12
	v_lshl_add_u64 v[12:13], v[12:13], 3, s[16:17]
	global_load_dwordx2 v[12:13], v[12:13], off
.LBB241_11:                             ;   in Loop: Header=BB241_5 Depth=1
	s_or_b64 exec, exec, s[2:3]
	v_cmp_gt_u32_e64 s[2:3], s26, v1
	v_mov_b32_e32 v14, 0
	v_mov_b32_e32 v15, 0
	s_and_saveexec_b64 s[4:5], s[2:3]
	s_cbranch_execz .LBB241_13
; %bb.12:                               ;   in Loop: Header=BB241_5 Depth=1
	v_add_u32_e32 v14, v42, v1
	v_ashrrev_i32_e32 v15, 31, v14
	v_lshl_add_u64 v[14:15], v[14:15], 3, s[12:13]
	global_load_dwordx2 v[14:15], v[14:15], off
.LBB241_13:                             ;   in Loop: Header=BB241_5 Depth=1
	s_or_b64 exec, exec, s[4:5]
	v_lshl_add_u64 v[18:19], v[16:17], 2, s[6:7]
	global_load_dword v17, v[18:19], off
	v_cmp_ne_u32_e32 vcc, s25, v1
	v_add_u32_e32 v2, s28, v16
	v_add_u32_e32 v16, s29, v16
	s_waitcnt vmcnt(1)
	v_xor_b32_e32 v20, 0x80000000, v5
	s_waitcnt vmcnt(0)
	v_cmp_ne_u32_e64 s[4:5], 1, v17
	s_and_b64 s[4:5], vcc, s[4:5]
	s_and_saveexec_b64 s[20:21], s[4:5]
	s_xor_b64 s[4:5], exec, s[20:21]
	s_cbranch_execz .LBB241_17
; %bb.14:                               ;   in Loop: Header=BB241_5 Depth=1
	v_mov_b32_e32 v17, v3
	v_lshl_add_u64 v[46:47], v[16:17], 3, s[8:9]
	v_add_u32_e32 v16, v25, v1
	v_lshl_add_u64 v[44:45], v[2:3], 3, s[8:9]
	v_add_u32_e32 v2, s28, v16
	global_load_dwordx2 v[28:29], v[44:45], off
	global_load_dwordx2 v[34:35], v[46:47], off
	v_lshl_add_u64 v[48:49], v[2:3], 3, s[8:9]
	v_add_u32_e32 v2, s29, v16
	v_lshl_add_u64 v[50:51], v[2:3], 3, s[8:9]
	global_load_dwordx2 v[36:37], v[48:49], off
	global_load_dwordx2 v[52:53], v[50:51], off
	v_xor_b32_e32 v16, 0x80000000, v7
	v_mov_b32_e32 v17, v6
	v_mov_b32_e32 v21, v4
	v_pk_mul_f32 v[26:27], v[10:11], v[16:17] op_sel:[1,0]
	v_pk_mul_f32 v[20:21], v[8:9], v[20:21] op_sel:[1,0]
	v_pk_fma_f32 v[26:27], v[6:7], v[10:11], v[26:27] op_sel_hi:[1,0,1]
	v_pk_fma_f32 v[20:21], v[4:5], v[8:9], v[20:21] op_sel_hi:[1,0,1]
	v_xor_b32_e32 v54, 0x80000000, v11
	v_pk_add_f32 v[20:21], v[26:27], v[20:21] neg_lo:[0,1] neg_hi:[0,1]
	v_xor_b32_e32 v56, 0x80000000, v9
	v_mul_f32_e32 v24, v21, v21
	v_fmac_f32_e32 v24, v20, v20
	v_div_scale_f32 v27, s[20:21], v24, v24, 1.0
	v_rcp_f32_e32 v30, v27
	v_fma_f32 v26, 0, v21, v20
	v_fma_f32 v21, v20, 0, -v21
	v_div_scale_f32 v20, vcc, 1.0, v24, 1.0
	v_fma_f32 v31, -v27, v30, 1.0
	v_fmac_f32_e32 v30, v31, v30
	v_mul_f32_e32 v31, v20, v30
	v_fma_f32 v32, -v27, v31, v20
	v_fmac_f32_e32 v31, v32, v30
	v_fma_f32 v20, -v27, v31, v20
	v_div_fmas_f32 v20, v20, v30, v31
	v_div_fixup_f32 v24, v20, v24, 1.0
	v_mul_f32_e32 v20, v26, v24
	v_mul_f32_e32 v24, v21, v24
	v_pk_add_f32 v[22:23], v[4:5], 0 neg_lo:[1,1] neg_hi:[1,1]
	v_mov_b32_e32 v55, v10
	v_mov_b32_e32 v57, v8
	v_pk_mov_b32 v[22:23], v[4:5], v[22:23] op_sel:[1,0]
	v_mov_b32_e32 v2, v3
	v_mov_b32_e32 v18, v6
	;; [unrolled: 1-line block ×3, first 2 shown]
	s_waitcnt vmcnt(3)
	v_mul_f32_e64 v26, v24, -v29
	v_mul_f32_e32 v30, v24, v28
	v_fmac_f32_e32 v26, v28, v20
	s_waitcnt vmcnt(2)
	v_mul_f32_e64 v28, v24, -v35
	v_mul_f32_e32 v32, v24, v34
	v_fmac_f32_e32 v28, v34, v20
	s_waitcnt vmcnt(1)
	v_mul_f32_e64 v34, v24, -v37
	v_mul_f32_e32 v38, v24, v36
	s_waitcnt vmcnt(0)
	v_mul_f32_e32 v40, v24, v52
	v_fmac_f32_e32 v30, v29, v20
	v_fmac_f32_e32 v32, v35, v20
	;; [unrolled: 1-line block ×4, first 2 shown]
	v_mul_f32_e64 v36, v24, -v53
	v_fmac_f32_e32 v40, v53, v20
	v_pk_mul_f32 v[58:59], v[30:31], v[54:55] op_sel_hi:[0,1]
	v_pk_mul_f32 v[54:55], v[32:33], v[54:55] op_sel_hi:[0,1]
	v_fmac_f32_e32 v36, v52, v20
	v_pk_mul_f32 v[52:53], v[38:39], v[56:57] op_sel_hi:[0,1]
	v_pk_mul_f32 v[56:57], v[40:41], v[56:57] op_sel_hi:[0,1]
	;; [unrolled: 1-line block ×3, first 2 shown]
	v_pk_fma_f32 v[58:59], v[10:11], v[26:27], v[58:59] op_sel_hi:[1,0,1]
	v_pk_mul_f32 v[62:63], v[22:23], v[32:33] op_sel_hi:[1,0]
	v_pk_fma_f32 v[10:11], v[10:11], v[28:29], v[54:55] op_sel_hi:[1,0,1]
	v_pk_mul_f32 v[54:55], v[38:39], v[16:17] op_sel_hi:[0,1]
	;; [unrolled: 2-line block ×3, first 2 shown]
	v_pk_fma_f32 v[8:9], v[8:9], v[36:37], v[56:57] op_sel_hi:[1,0,1]
	v_pk_fma_f32 v[60:61], v[4:5], v[26:27], v[60:61] op_sel_hi:[1,0,1] neg_lo:[1,0,0] neg_hi:[1,0,0]
	v_pk_fma_f32 v[62:63], v[4:5], v[28:29], v[62:63] op_sel_hi:[1,0,1] neg_lo:[1,0,0] neg_hi:[1,0,0]
	v_pk_fma_f32 v[54:55], v[6:7], v[34:35], v[54:55] op_sel_hi:[1,0,1]
	v_pk_add_f32 v[52:53], v[58:59], v[52:53] neg_lo:[0,1] neg_hi:[0,1]
	v_pk_fma_f32 v[56:57], v[6:7], v[36:37], v[64:65] op_sel_hi:[1,0,1]
	v_pk_add_f32 v[8:9], v[10:11], v[8:9] neg_lo:[0,1] neg_hi:[0,1]
	v_pk_add_f32 v[54:55], v[60:61], v[54:55]
	global_store_dwordx2 v[44:45], v[52:53], off
	v_pk_add_f32 v[10:11], v[62:63], v[56:57]
	global_store_dwordx2 v[46:47], v[8:9], off
	global_store_dwordx2 v[48:49], v[54:55], off
	;; [unrolled: 1-line block ×3, first 2 shown]
	v_mov_b64_e32 v[8:9], v[2:3]
	s_and_saveexec_b64 s[20:21], s[2:3]
	s_cbranch_execz .LBB241_16
; %bb.15:                               ;   in Loop: Header=BB241_5 Depth=1
	v_add_u32_e32 v8, v42, v1
	v_add_u32_e32 v2, s28, v8
	v_ashrrev_i32_e32 v9, 31, v8
	v_lshl_add_u64 v[10:11], v[2:3], 3, s[8:9]
	v_add_u32_e32 v2, s29, v8
	v_lshl_add_u64 v[8:9], v[8:9], 3, s[14:15]
	v_lshl_add_u64 v[44:45], v[2:3], 3, s[8:9]
	global_load_dwordx2 v[46:47], v[10:11], off
	global_load_dwordx2 v[48:49], v[44:45], off
	v_mov_b32_e32 v2, v15
	global_load_dwordx2 v[8:9], v[8:9], off
	v_xor_b32_e32 v50, 0x80000000, v15
	v_mov_b32_e32 v51, v14
	v_pk_mul_f32 v[22:23], v[2:3], v[22:23] op_sel_hi:[0,1]
	v_pk_mul_f32 v[16:17], v[2:3], v[16:17] op_sel_hi:[0,1]
	v_pk_mul_f32 v[50:51], v[6:7], v[50:51] op_sel:[1,0]
	v_pk_fma_f32 v[4:5], v[4:5], v[14:15], v[22:23] op_sel_hi:[1,0,1] neg_lo:[1,0,0] neg_hi:[1,0,0]
	v_pk_fma_f32 v[6:7], v[6:7], v[14:15], v[16:17] op_sel_hi:[1,0,1]
	v_pk_fma_f32 v[14:15], v[14:15], v[18:19], v[50:51]
	v_mov_b32_e32 v52, v13
	v_pk_add_f32 v[16:17], v[4:5], 0 neg_lo:[1,1] neg_hi:[1,1]
	v_xor_b32_e32 v22, 0x80000000, v15
	v_mov_b32_e32 v23, v14
	v_mov_b32_e32 v31, v30
	;; [unrolled: 1-line block ×5, first 2 shown]
	v_xor_b32_e32 v18, 0x80000000, v7
	v_mov_b32_e32 v19, v6
	v_pk_mov_b32 v[16:17], v[4:5], v[16:17] op_sel:[1,0]
	v_pk_mul_f32 v[22:23], v[52:53], v[22:23] op_sel_hi:[0,1]
	v_mov_b32_e32 v27, v26
	v_mov_b32_e32 v35, v34
	;; [unrolled: 1-line block ×4, first 2 shown]
	v_pk_mul_f32 v[38:39], v[38:39], v[18:19]
	v_pk_mul_f32 v[18:19], v[40:41], v[18:19]
	v_pk_mul_f32 v[30:31], v[16:17], v[30:31]
	v_pk_mul_f32 v[16:17], v[16:17], v[32:33]
	v_pk_fma_f32 v[12:13], v[14:15], v[12:13], v[22:23] op_sel_hi:[1,0,1]
	v_pk_fma_f32 v[34:35], v[6:7], v[34:35], v[38:39]
	v_pk_fma_f32 v[6:7], v[6:7], v[36:37], v[18:19]
	v_pk_fma_f32 v[14:15], v[4:5], v[26:27], v[30:31] neg_lo:[1,0,0] neg_hi:[1,0,0]
	v_pk_fma_f32 v[4:5], v[4:5], v[28:29], v[16:17] neg_lo:[1,0,0] neg_hi:[1,0,0]
	v_xor_b32_e32 v16, 0x80000000, v13
	v_mov_b32_e32 v17, v12
	v_pk_add_f32 v[4:5], v[4:5], v[6:7] neg_lo:[0,1] neg_hi:[0,1]
	v_pk_mul_f32 v[6:7], v[24:25], v[16:17] op_sel_hi:[0,1]
	v_pk_add_f32 v[14:15], v[14:15], v[34:35] neg_lo:[0,1] neg_hi:[0,1]
	v_pk_fma_f32 v[6:7], v[12:13], v[20:21], v[6:7] op_sel_hi:[1,0,1]
	s_waitcnt vmcnt(2)
	v_pk_add_f32 v[12:13], v[14:15], v[46:47]
	s_waitcnt vmcnt(1)
	v_pk_add_f32 v[4:5], v[4:5], v[48:49]
	global_store_dwordx2 v[10:11], v[12:13], off
	s_waitcnt vmcnt(1)
	v_pk_add_f32 v[8:9], v[8:9], v[6:7] neg_lo:[0,1] neg_hi:[0,1]
	global_store_dwordx2 v[44:45], v[4:5], off
.LBB241_16:                             ;   in Loop: Header=BB241_5 Depth=1
	s_or_b64 exec, exec, s[20:21]
	v_mov_b64_e32 v[6:7], v[8:9]
                                        ; implicit-def: $vgpr8_vgpr9
                                        ; implicit-def: $vgpr4
                                        ; implicit-def: $vgpr10_vgpr11
                                        ; implicit-def: $vgpr16
                                        ; implicit-def: $vgpr20
.LBB241_17:                             ;   in Loop: Header=BB241_5 Depth=1
	s_or_saveexec_b64 s[2:3], s[4:5]
	v_mov_b32_e32 v12, s27
	s_xor_b64 exec, exec, s[2:3]
	s_cbranch_execz .LBB241_4
; %bb.18:                               ;   in Loop: Header=BB241_5 Depth=1
	v_lshl_add_u64 v[18:19], v[2:3], 3, s[8:9]
	v_mov_b32_e32 v17, v3
	global_load_dwordx2 v[14:15], v[18:19], off
	v_lshl_add_u64 v[22:23], v[16:17], 3, s[8:9]
	global_load_dwordx2 v[16:17], v[22:23], off
	v_mul_f32_e32 v2, v7, v7
	v_fmac_f32_e32 v2, v6, v6
	v_div_scale_f32 v13, s[4:5], v2, v2, 1.0
	v_rcp_f32_e32 v21, v13
	v_fma_f32 v12, 0, v7, v6
	v_fma_f32 v7, v6, 0, -v7
	v_div_scale_f32 v6, vcc, 1.0, v2, 1.0
	v_fma_f32 v24, -v13, v21, 1.0
	v_fmac_f32_e32 v21, v24, v21
	v_mul_f32_e32 v24, v6, v21
	v_fma_f32 v26, -v13, v24, v6
	v_fmac_f32_e32 v24, v26, v21
	v_fma_f32 v6, -v13, v24, v6
	v_div_fmas_f32 v6, v6, v21, v24
	v_div_fixup_f32 v2, v6, v2, 1.0
	v_mul_f32_e32 v6, v12, v2
	v_mul_f32_e32 v12, v7, v2
	s_waitcnt vmcnt(1)
	v_pk_mul_f32 v[26:27], v[12:13], v[14:15] op_sel:[0,1] op_sel_hi:[0,0] neg_lo:[0,1]
	v_pk_fma_f32 v[14:15], v[14:15], v[6:7], v[26:27] op_sel_hi:[1,0,1]
	s_waitcnt vmcnt(0)
	v_pk_mul_f32 v[26:27], v[12:13], v[16:17] op_sel:[0,1] op_sel_hi:[0,0] neg_lo:[0,1]
	v_pk_fma_f32 v[16:17], v[16:17], v[6:7], v[26:27] op_sel_hi:[1,0,1]
	global_store_dwordx2 v[18:19], v[14:15], off
	global_store_dwordx2 v[22:23], v[16:17], off
	s_and_saveexec_b64 s[4:5], s[0:1]
	s_cbranch_execz .LBB241_3
; %bb.19:                               ;   in Loop: Header=BB241_5 Depth=1
	v_add_u32_e32 v7, v25, v1
	v_add_u32_e32 v2, s28, v7
	v_lshl_add_u64 v[18:19], v[2:3], 3, s[8:9]
	v_add_u32_e32 v2, s29, v7
	global_load_dwordx2 v[22:23], v[18:19], off
	v_lshl_add_u64 v[26:27], v[2:3], 3, s[8:9]
	global_load_dwordx2 v[28:29], v[26:27], off
	v_xor_b32_e32 v30, 0x80000000, v4
	v_mov_b32_e32 v31, v20
	v_mov_b32_e32 v32, v5
	;; [unrolled: 1-line block ×3, first 2 shown]
	s_waitcnt vmcnt(1)
	v_pk_fma_f32 v[22:23], v[30:31], v[14:15], v[22:23] op_sel_hi:[1,0,1]
	s_nop 0
	v_pk_fma_f32 v[14:15], v[32:33], v[14:15], v[22:23] op_sel:[0,1,0]
	s_waitcnt vmcnt(0)
	v_pk_fma_f32 v[22:23], v[30:31], v[16:17], v[28:29] op_sel_hi:[1,0,1]
	global_store_dwordx2 v[18:19], v[14:15], off
	v_pk_fma_f32 v[14:15], v[32:33], v[16:17], v[22:23] op_sel:[0,1,0]
	global_store_dwordx2 v[26:27], v[14:15], off
	s_branch .LBB241_3
.LBB241_20:
	s_or_b64 exec, exec, s[18:19]
	s_branch .LBB241_22
.LBB241_21:
	v_mov_b32_e32 v1, 0
.LBB241_22:
	v_subrev_u32_e32 v1, s22, v1
	v_add_u32_e32 v2, v1, v0
	v_ashrrev_i32_e32 v3, 31, v2
	s_waitcnt lgkmcnt(0)
	v_lshl_add_u64 v[2:3], v[2:3], 2, s[6:7]
	buffer_wbl2 sc1
	s_waitcnt vmcnt(0)
	buffer_inv sc1
	global_load_dword v2, v[2:3], off
	s_waitcnt vmcnt(0)
	v_mul_lo_u32 v2, v2, s22
	v_sub_u32_e32 v1, v1, v2
	v_cmp_lt_i32_e32 vcc, -1, v1
	s_and_b64 exec, exec, vcc
	s_cbranch_execz .LBB241_29
; %bb.23:
	s_lshl_b32 s4, s24, 1
	s_add_i32 s5, s4, s23
	s_lshl_b32 s12, s22, 1
	s_mov_b64 s[0:1], 0
	v_mov_b32_e32 v3, 0
	s_branch .LBB241_25
.LBB241_24:                             ;   in Loop: Header=BB241_25 Depth=1
	s_or_b64 exec, exec, s[2:3]
	v_sub_u32_e32 v1, v1, v2
	v_cmp_gt_i32_e32 vcc, 0, v1
	s_or_b64 s[0:1], vcc, s[0:1]
	s_andn2_b64 exec, exec, s[0:1]
	s_cbranch_execz .LBB241_29
.LBB241_25:                             ; =>This Inner Loop Header: Depth=1
	v_add_u32_e32 v4, v1, v0
	v_ashrrev_i32_e32 v5, 31, v4
	s_waitcnt vmcnt(0)
	v_lshl_add_u64 v[6:7], v[4:5], 2, s[6:7]
	global_load_dword v2, v[6:7], off
	v_lshl_add_u64 v[6:7], v[4:5], 3, s[10:11]
	global_load_dwordx2 v[6:7], v[6:7], off
	s_waitcnt vmcnt(1)
	v_cmp_ne_u32_e32 vcc, 1, v2
	s_and_saveexec_b64 s[2:3], vcc
	s_xor_b64 s[2:3], exec, s[2:3]
	s_cbranch_execz .LBB241_27
; %bb.26:                               ;   in Loop: Header=BB241_25 Depth=1
	v_add_u32_e32 v5, v25, v1
	v_add_u32_e32 v2, s4, v5
	v_lshl_add_u64 v[8:9], v[2:3], 3, s[8:9]
	v_add_u32_e32 v2, s5, v5
	v_lshl_add_u64 v[10:11], v[2:3], 3, s[8:9]
	;; [unrolled: 2-line block ×3, first 2 shown]
	global_load_dwordx2 v[14:15], v[8:9], off
	global_load_dwordx2 v[16:17], v[12:13], off
	global_load_dwordx2 v[18:19], v[10:11], off
	s_waitcnt vmcnt(3)
	v_pk_add_f32 v[8:9], v[6:7], 0 neg_lo:[1,1] neg_hi:[1,1]
	v_xor_b32_e32 v11, 0x80000000, v7
	v_mov_b32_e32 v10, v8
	v_pk_mov_b32 v[6:7], v[6:7], v[8:9] op_sel:[1,0]
	v_add_u32_e32 v2, s5, v4
	v_lshl_add_u64 v[4:5], v[2:3], 3, s[8:9]
	v_subrev_u32_e32 v2, s22, v1
	s_waitcnt vmcnt(1)
	v_pk_fma_f32 v[8:9], v[10:11], v[14:15], v[16:17] op_sel_hi:[1,0,1]
	s_nop 0
	v_pk_fma_f32 v[8:9], v[6:7], v[14:15], v[8:9] op_sel:[0,1,0]
	global_store_dwordx2 v[12:13], v[8:9], off
	global_load_dwordx2 v[8:9], v[4:5], off
	v_add_u32_e32 v12, v2, v0
	v_ashrrev_i32_e32 v13, 31, v12
	v_lshl_add_u64 v[16:17], v[12:13], 3, s[10:11]
	v_add_u32_e32 v2, s4, v12
	global_load_dwordx2 v[16:17], v[16:17], off
	v_lshl_add_u64 v[20:21], v[2:3], 3, s[8:9]
	v_add_u32_e32 v2, s5, v12
	s_waitcnt vmcnt(1)
	v_pk_fma_f32 v[8:9], v[10:11], v[18:19], v[8:9] op_sel_hi:[1,0,1]
	s_nop 0
	v_pk_fma_f32 v[6:7], v[6:7], v[18:19], v[8:9] op_sel:[0,1,0]
	global_store_dwordx2 v[4:5], v[6:7], off
	global_load_dwordx2 v[4:5], v[20:21], off
	v_lshl_add_u64 v[6:7], v[2:3], 3, s[8:9]
	s_waitcnt vmcnt(2)
	v_pk_add_f32 v[8:9], v[16:17], 0 neg_lo:[1,1] neg_hi:[1,1]
	s_waitcnt vmcnt(0)
	v_pk_fma_f32 v[4:5], v[16:17], v[14:15], v[4:5] op_sel_hi:[1,0,1] neg_lo:[1,0,0] neg_hi:[1,0,0]
	v_pk_mov_b32 v[8:9], v[16:17], v[8:9] op_sel:[1,0]
	s_nop 0
	v_pk_fma_f32 v[4:5], v[8:9], v[14:15], v[4:5] op_sel:[0,1,0]
	global_store_dwordx2 v[20:21], v[4:5], off
	global_load_dwordx2 v[4:5], v[6:7], off
	s_waitcnt vmcnt(0)
	v_pk_fma_f32 v[4:5], v[16:17], v[18:19], v[4:5] op_sel_hi:[1,0,1] neg_lo:[1,0,0] neg_hi:[1,0,0]
	s_nop 0
	v_pk_fma_f32 v[4:5], v[8:9], v[18:19], v[4:5] op_sel:[0,1,0]
	global_store_dwordx2 v[6:7], v[4:5], off
                                        ; implicit-def: $vgpr4
                                        ; implicit-def: $vgpr6_vgpr7
.LBB241_27:                             ;   in Loop: Header=BB241_25 Depth=1
	s_or_saveexec_b64 s[2:3], s[2:3]
	v_mov_b32_e32 v2, s12
	s_xor_b64 exec, exec, s[2:3]
	s_cbranch_execz .LBB241_24
; %bb.28:                               ;   in Loop: Header=BB241_25 Depth=1
	v_add_u32_e32 v5, v25, v1
	v_add_u32_e32 v2, s4, v5
	v_lshl_add_u64 v[8:9], v[2:3], 3, s[8:9]
	v_add_u32_e32 v2, s4, v4
	v_lshl_add_u64 v[10:11], v[2:3], 3, s[8:9]
	global_load_dwordx2 v[12:13], v[8:9], off
	global_load_dwordx2 v[14:15], v[10:11], off
	s_waitcnt vmcnt(2)
	v_pk_add_f32 v[8:9], v[6:7], 0 neg_lo:[1,1] neg_hi:[1,1]
	v_xor_b32_e32 v17, 0x80000000, v7
	v_mov_b32_e32 v16, v8
	v_pk_mov_b32 v[8:9], v[6:7], v[8:9] op_sel:[1,0]
	v_add_u32_e32 v2, s5, v5
	v_lshl_add_u64 v[18:19], v[2:3], 3, s[8:9]
	v_add_u32_e32 v2, s5, v4
	v_lshl_add_u64 v[4:5], v[2:3], 3, s[8:9]
	v_mov_b32_e32 v2, s22
	s_waitcnt vmcnt(0)
	v_pk_fma_f32 v[14:15], v[16:17], v[12:13], v[14:15] op_sel_hi:[1,0,1]
	s_nop 0
	v_pk_fma_f32 v[12:13], v[8:9], v[12:13], v[14:15] op_sel:[0,1,0]
	global_store_dwordx2 v[10:11], v[12:13], off
	global_load_dwordx2 v[10:11], v[18:19], off
	s_nop 0
	global_load_dwordx2 v[12:13], v[4:5], off
	s_waitcnt vmcnt(0)
	v_pk_fma_f32 v[6:7], v[6:7], v[10:11], v[12:13] op_sel_hi:[1,0,1] neg_lo:[1,0,0] neg_hi:[1,0,0]
	s_nop 0
	v_pk_fma_f32 v[6:7], v[8:9], v[10:11], v[6:7] op_sel:[0,1,0]
	global_store_dwordx2 v[4:5], v[6:7], off
	s_branch .LBB241_24
.LBB241_29:
	s_endpgm
	.section	.rodata,"a",@progbits
	.p2align	6, 0x0
	.amdhsa_kernel _ZN9rocsparseL19gtsv_LBM_rhs_kernelILj256ELj64ELj2E21rocsparse_complex_numIfEEEviiiPKT2_S5_S5_PS3_S5_PKi
		.amdhsa_group_segment_fixed_size 0
		.amdhsa_private_segment_fixed_size 0
		.amdhsa_kernarg_size 64
		.amdhsa_user_sgpr_count 2
		.amdhsa_user_sgpr_dispatch_ptr 0
		.amdhsa_user_sgpr_queue_ptr 0
		.amdhsa_user_sgpr_kernarg_segment_ptr 1
		.amdhsa_user_sgpr_dispatch_id 0
		.amdhsa_user_sgpr_kernarg_preload_length 0
		.amdhsa_user_sgpr_kernarg_preload_offset 0
		.amdhsa_user_sgpr_private_segment_size 0
		.amdhsa_uses_dynamic_stack 0
		.amdhsa_enable_private_segment 0
		.amdhsa_system_sgpr_workgroup_id_x 1
		.amdhsa_system_sgpr_workgroup_id_y 1
		.amdhsa_system_sgpr_workgroup_id_z 0
		.amdhsa_system_sgpr_workgroup_info 0
		.amdhsa_system_vgpr_workitem_id 0
		.amdhsa_next_free_vgpr 66
		.amdhsa_next_free_sgpr 30
		.amdhsa_accum_offset 68
		.amdhsa_reserve_vcc 1
		.amdhsa_float_round_mode_32 0
		.amdhsa_float_round_mode_16_64 0
		.amdhsa_float_denorm_mode_32 3
		.amdhsa_float_denorm_mode_16_64 3
		.amdhsa_dx10_clamp 1
		.amdhsa_ieee_mode 1
		.amdhsa_fp16_overflow 0
		.amdhsa_tg_split 0
		.amdhsa_exception_fp_ieee_invalid_op 0
		.amdhsa_exception_fp_denorm_src 0
		.amdhsa_exception_fp_ieee_div_zero 0
		.amdhsa_exception_fp_ieee_overflow 0
		.amdhsa_exception_fp_ieee_underflow 0
		.amdhsa_exception_fp_ieee_inexact 0
		.amdhsa_exception_int_div_zero 0
	.end_amdhsa_kernel
	.section	.text._ZN9rocsparseL19gtsv_LBM_rhs_kernelILj256ELj64ELj2E21rocsparse_complex_numIfEEEviiiPKT2_S5_S5_PS3_S5_PKi,"axG",@progbits,_ZN9rocsparseL19gtsv_LBM_rhs_kernelILj256ELj64ELj2E21rocsparse_complex_numIfEEEviiiPKT2_S5_S5_PS3_S5_PKi,comdat
.Lfunc_end241:
	.size	_ZN9rocsparseL19gtsv_LBM_rhs_kernelILj256ELj64ELj2E21rocsparse_complex_numIfEEEviiiPKT2_S5_S5_PS3_S5_PKi, .Lfunc_end241-_ZN9rocsparseL19gtsv_LBM_rhs_kernelILj256ELj64ELj2E21rocsparse_complex_numIfEEEviiiPKT2_S5_S5_PS3_S5_PKi
                                        ; -- End function
	.set _ZN9rocsparseL19gtsv_LBM_rhs_kernelILj256ELj64ELj2E21rocsparse_complex_numIfEEEviiiPKT2_S5_S5_PS3_S5_PKi.num_vgpr, 66
	.set _ZN9rocsparseL19gtsv_LBM_rhs_kernelILj256ELj64ELj2E21rocsparse_complex_numIfEEEviiiPKT2_S5_S5_PS3_S5_PKi.num_agpr, 0
	.set _ZN9rocsparseL19gtsv_LBM_rhs_kernelILj256ELj64ELj2E21rocsparse_complex_numIfEEEviiiPKT2_S5_S5_PS3_S5_PKi.numbered_sgpr, 30
	.set _ZN9rocsparseL19gtsv_LBM_rhs_kernelILj256ELj64ELj2E21rocsparse_complex_numIfEEEviiiPKT2_S5_S5_PS3_S5_PKi.num_named_barrier, 0
	.set _ZN9rocsparseL19gtsv_LBM_rhs_kernelILj256ELj64ELj2E21rocsparse_complex_numIfEEEviiiPKT2_S5_S5_PS3_S5_PKi.private_seg_size, 0
	.set _ZN9rocsparseL19gtsv_LBM_rhs_kernelILj256ELj64ELj2E21rocsparse_complex_numIfEEEviiiPKT2_S5_S5_PS3_S5_PKi.uses_vcc, 1
	.set _ZN9rocsparseL19gtsv_LBM_rhs_kernelILj256ELj64ELj2E21rocsparse_complex_numIfEEEviiiPKT2_S5_S5_PS3_S5_PKi.uses_flat_scratch, 0
	.set _ZN9rocsparseL19gtsv_LBM_rhs_kernelILj256ELj64ELj2E21rocsparse_complex_numIfEEEviiiPKT2_S5_S5_PS3_S5_PKi.has_dyn_sized_stack, 0
	.set _ZN9rocsparseL19gtsv_LBM_rhs_kernelILj256ELj64ELj2E21rocsparse_complex_numIfEEEviiiPKT2_S5_S5_PS3_S5_PKi.has_recursion, 0
	.set _ZN9rocsparseL19gtsv_LBM_rhs_kernelILj256ELj64ELj2E21rocsparse_complex_numIfEEEviiiPKT2_S5_S5_PS3_S5_PKi.has_indirect_call, 0
	.section	.AMDGPU.csdata,"",@progbits
; Kernel info:
; codeLenInByte = 2604
; TotalNumSgprs: 36
; NumVgprs: 66
; NumAgprs: 0
; TotalNumVgprs: 66
; ScratchSize: 0
; MemoryBound: 0
; FloatMode: 240
; IeeeMode: 1
; LDSByteSize: 0 bytes/workgroup (compile time only)
; SGPRBlocks: 4
; VGPRBlocks: 8
; NumSGPRsForWavesPerEU: 36
; NumVGPRsForWavesPerEU: 66
; AccumOffset: 68
; Occupancy: 7
; WaveLimiterHint : 0
; COMPUTE_PGM_RSRC2:SCRATCH_EN: 0
; COMPUTE_PGM_RSRC2:USER_SGPR: 2
; COMPUTE_PGM_RSRC2:TRAP_HANDLER: 0
; COMPUTE_PGM_RSRC2:TGID_X_EN: 1
; COMPUTE_PGM_RSRC2:TGID_Y_EN: 1
; COMPUTE_PGM_RSRC2:TGID_Z_EN: 0
; COMPUTE_PGM_RSRC2:TIDIG_COMP_CNT: 0
; COMPUTE_PGM_RSRC3_GFX90A:ACCUM_OFFSET: 16
; COMPUTE_PGM_RSRC3_GFX90A:TG_SPLIT: 0
	.section	.text._ZN9rocsparseL19gtsv_LBM_rhs_kernelILj256ELj64ELj1E21rocsparse_complex_numIfEEEviiiPKT2_S5_S5_PS3_S5_PKi,"axG",@progbits,_ZN9rocsparseL19gtsv_LBM_rhs_kernelILj256ELj64ELj1E21rocsparse_complex_numIfEEEviiiPKT2_S5_S5_PS3_S5_PKi,comdat
	.globl	_ZN9rocsparseL19gtsv_LBM_rhs_kernelILj256ELj64ELj1E21rocsparse_complex_numIfEEEviiiPKT2_S5_S5_PS3_S5_PKi ; -- Begin function _ZN9rocsparseL19gtsv_LBM_rhs_kernelILj256ELj64ELj1E21rocsparse_complex_numIfEEEviiiPKT2_S5_S5_PS3_S5_PKi
	.p2align	8
	.type	_ZN9rocsparseL19gtsv_LBM_rhs_kernelILj256ELj64ELj1E21rocsparse_complex_numIfEEEviiiPKT2_S5_S5_PS3_S5_PKi,@function
_ZN9rocsparseL19gtsv_LBM_rhs_kernelILj256ELj64ELj1E21rocsparse_complex_numIfEEEviiiPKT2_S5_S5_PS3_S5_PKi: ; @_ZN9rocsparseL19gtsv_LBM_rhs_kernelILj256ELj64ELj1E21rocsparse_complex_numIfEEEviiiPKT2_S5_S5_PS3_S5_PKi
; %bb.0:
	s_load_dword s24, s[0:1], 0x0
	v_lshl_or_b32 v0, s2, 8, v0
	s_waitcnt lgkmcnt(0)
	s_lshr_b32 s22, s24, 6
	v_cmp_gt_i32_e32 vcc, s22, v0
	s_and_saveexec_b64 s[4:5], vcc
	s_cbranch_execz .LBB242_29
; %bb.1:
	s_load_dwordx4 s[8:11], s[0:1], 0x28
	s_load_dwordx2 s[6:7], s[0:1], 0x38
	s_cmp_lt_i32 s24, 1
	s_mul_i32 s23, s24, s3
	s_cbranch_scc1 .LBB242_21
; %bb.2:
	s_load_dwordx4 s[12:15], s[0:1], 0x10
	s_load_dwordx2 s[16:17], s[0:1], 0x20
	v_ashrrev_i32_e32 v1, 31, v0
	v_add_u32_e32 v25, s22, v0
	s_mul_i32 s25, s22, 63
	s_waitcnt lgkmcnt(0)
	v_lshl_add_u64 v[2:3], v[0:1], 3, s[14:15]
	global_load_dwordx2 v[4:5], v[2:3], off
	s_mul_i32 s26, s22, 62
	s_lshl_b32 s27, s22, 1
	v_add_u32_e32 v34, s22, v25
	v_add_u32_e32 v35, s23, v25
	v_mov_b32_e32 v3, 0
	s_mov_b64 s[18:19], 0
	v_mov_b32_e32 v1, 0
	s_branch .LBB242_5
.LBB242_3:                              ;   in Loop: Header=BB242_5 Depth=1
	s_or_b64 exec, exec, s[4:5]
	v_mov_b32_e32 v17, v6
	v_pk_mul_f32 v[14:15], v[8:9], v[16:17] op_sel:[1,0]
	s_nop 0
	v_pk_fma_f32 v[6:7], v[6:7], v[8:9], v[14:15] op_sel_hi:[1,0,1]
	s_nop 0
	v_xor_b32_e32 v8, 0x80000000, v7
	v_mov_b32_e32 v9, v6
	v_pk_mul_f32 v[4:5], v[4:5], v[8:9] op_sel_hi:[0,1]
	v_pk_fma_f32 v[4:5], v[6:7], v[12:13], v[4:5] op_sel_hi:[1,0,1]
	v_mov_b32_e32 v12, s22
	v_pk_add_f32 v[4:5], v[10:11], v[4:5] neg_lo:[0,1] neg_hi:[0,1]
.LBB242_4:                              ;   in Loop: Header=BB242_5 Depth=1
	s_or_b64 exec, exec, s[2:3]
	v_add_u32_e32 v1, v12, v1
	v_cmp_le_i32_e32 vcc, s24, v1
	s_or_b64 s[18:19], vcc, s[18:19]
	s_andn2_b64 exec, exec, s[18:19]
	s_cbranch_execz .LBB242_20
.LBB242_5:                              ; =>This Inner Loop Header: Depth=1
	v_add_u32_e32 v16, v1, v0
	v_ashrrev_i32_e32 v17, 31, v16
	v_lshl_add_u64 v[6:7], v[16:17], 3, s[16:17]
	global_load_dwordx2 v[8:9], v[6:7], off
	v_cmp_gt_u32_e64 s[0:1], s25, v1
	v_add_u32_e32 v14, v25, v1
	v_mov_b32_e32 v6, 0
	v_mov_b32_e32 v7, 0
	s_and_saveexec_b64 s[2:3], s[0:1]
	s_cbranch_execz .LBB242_7
; %bb.6:                                ;   in Loop: Header=BB242_5 Depth=1
	v_ashrrev_i32_e32 v15, 31, v14
	v_lshl_add_u64 v[6:7], v[14:15], 3, s[12:13]
	global_load_dwordx2 v[6:7], v[6:7], off
.LBB242_7:                              ;   in Loop: Header=BB242_5 Depth=1
	s_or_b64 exec, exec, s[2:3]
	v_mov_b32_e32 v12, 0
	v_mov_b32_e32 v10, 0
	;; [unrolled: 1-line block ×3, first 2 shown]
	s_and_saveexec_b64 s[2:3], s[0:1]
	s_cbranch_execz .LBB242_9
; %bb.8:                                ;   in Loop: Header=BB242_5 Depth=1
	v_ashrrev_i32_e32 v15, 31, v14
	v_lshl_add_u64 v[10:11], v[14:15], 3, s[14:15]
	global_load_dwordx2 v[10:11], v[10:11], off
.LBB242_9:                              ;   in Loop: Header=BB242_5 Depth=1
	s_or_b64 exec, exec, s[2:3]
	v_mov_b32_e32 v13, 0
	s_and_saveexec_b64 s[2:3], s[0:1]
	s_cbranch_execz .LBB242_11
; %bb.10:                               ;   in Loop: Header=BB242_5 Depth=1
	v_ashrrev_i32_e32 v15, 31, v14
	v_lshl_add_u64 v[12:13], v[14:15], 3, s[16:17]
	global_load_dwordx2 v[12:13], v[12:13], off
.LBB242_11:                             ;   in Loop: Header=BB242_5 Depth=1
	s_or_b64 exec, exec, s[2:3]
	v_cmp_gt_u32_e64 s[2:3], s26, v1
	v_mov_b32_e32 v14, 0
	v_mov_b32_e32 v15, 0
	s_and_saveexec_b64 s[4:5], s[2:3]
	s_cbranch_execz .LBB242_13
; %bb.12:                               ;   in Loop: Header=BB242_5 Depth=1
	v_add_u32_e32 v14, v34, v1
	v_ashrrev_i32_e32 v15, 31, v14
	v_lshl_add_u64 v[14:15], v[14:15], 3, s[12:13]
	global_load_dwordx2 v[14:15], v[14:15], off
.LBB242_13:                             ;   in Loop: Header=BB242_5 Depth=1
	s_or_b64 exec, exec, s[4:5]
	v_lshl_add_u64 v[18:19], v[16:17], 2, s[6:7]
	global_load_dword v17, v[18:19], off
	v_cmp_ne_u32_e32 vcc, s25, v1
	v_add_u32_e32 v2, s23, v16
	s_waitcnt vmcnt(1)
	v_xor_b32_e32 v16, 0x80000000, v7
	s_waitcnt vmcnt(0)
	v_cmp_ne_u32_e64 s[4:5], 1, v17
	s_and_b64 s[4:5], vcc, s[4:5]
	s_and_saveexec_b64 s[20:21], s[4:5]
	s_xor_b64 s[4:5], exec, s[20:21]
	s_cbranch_execz .LBB242_17
; %bb.14:                               ;   in Loop: Header=BB242_5 Depth=1
	v_lshl_add_u64 v[36:37], v[2:3], 3, s[8:9]
	v_add_u32_e32 v2, v35, v1
	global_load_dwordx2 v[30:31], v[36:37], off
	v_lshl_add_u64 v[38:39], v[2:3], 3, s[8:9]
	global_load_dwordx2 v[40:41], v[38:39], off
	v_xor_b32_e32 v18, 0x80000000, v5
	v_mov_b32_e32 v19, v4
	v_mov_b32_e32 v17, v6
	v_pk_mul_f32 v[26:27], v[10:11], v[18:19] op_sel:[1,0]
	v_pk_mul_f32 v[16:17], v[8:9], v[16:17] op_sel:[1,0]
	v_pk_fma_f32 v[26:27], v[4:5], v[10:11], v[26:27] op_sel_hi:[1,0,1]
	v_pk_fma_f32 v[16:17], v[6:7], v[8:9], v[16:17] op_sel_hi:[1,0,1]
	v_xor_b32_e32 v42, 0x80000000, v11
	v_pk_add_f32 v[16:17], v[26:27], v[16:17] neg_lo:[0,1] neg_hi:[0,1]
	v_mov_b32_e32 v43, v10
	v_mul_f32_e32 v24, v17, v17
	v_fmac_f32_e32 v24, v16, v16
	v_div_scale_f32 v27, s[20:21], v24, v24, 1.0
	v_rcp_f32_e32 v28, v27
	v_fma_f32 v26, 0, v17, v16
	v_fma_f32 v17, v16, 0, -v17
	v_div_scale_f32 v16, vcc, 1.0, v24, 1.0
	v_fma_f32 v29, -v27, v28, 1.0
	v_fmac_f32_e32 v28, v29, v28
	v_mul_f32_e32 v29, v16, v28
	v_fma_f32 v32, -v27, v29, v16
	v_fmac_f32_e32 v29, v32, v28
	v_fma_f32 v16, -v27, v29, v16
	v_div_fmas_f32 v16, v16, v28, v29
	v_div_fixup_f32 v24, v16, v24, 1.0
	v_mul_f32_e32 v16, v26, v24
	v_mul_f32_e32 v24, v17, v24
	v_xor_b32_e32 v44, 0x80000000, v9
	v_pk_add_f32 v[22:23], v[6:7], 0 neg_lo:[1,1] neg_hi:[1,1]
	v_mov_b32_e32 v45, v8
	v_pk_mov_b32 v[22:23], v[6:7], v[22:23] op_sel:[1,0]
	v_mov_b32_e32 v2, v3
	v_mov_b32_e32 v20, v4
	;; [unrolled: 1-line block ×3, first 2 shown]
	s_waitcnt vmcnt(1)
	v_mul_f32_e64 v26, v24, -v31
	v_mul_f32_e32 v28, v24, v30
	v_fmac_f32_e32 v26, v30, v16
	v_fmac_f32_e32 v28, v31, v16
	s_waitcnt vmcnt(0)
	v_mul_f32_e64 v30, v24, -v41
	v_mul_f32_e32 v32, v24, v40
	v_fmac_f32_e32 v30, v40, v16
	v_fmac_f32_e32 v32, v41, v16
	v_pk_mul_f32 v[40:41], v[28:29], v[42:43] op_sel_hi:[0,1]
	v_pk_fma_f32 v[10:11], v[10:11], v[26:27], v[40:41] op_sel_hi:[1,0,1]
	v_pk_mul_f32 v[40:41], v[32:33], v[44:45] op_sel_hi:[0,1]
	v_pk_mul_f32 v[42:43], v[22:23], v[28:29] op_sel_hi:[1,0]
	;; [unrolled: 1-line block ×3, first 2 shown]
	v_pk_fma_f32 v[8:9], v[8:9], v[30:31], v[40:41] op_sel_hi:[1,0,1]
	v_pk_fma_f32 v[42:43], v[6:7], v[26:27], v[42:43] op_sel_hi:[1,0,1] neg_lo:[1,0,0] neg_hi:[1,0,0]
	v_pk_fma_f32 v[40:41], v[4:5], v[30:31], v[44:45] op_sel_hi:[1,0,1]
	v_pk_add_f32 v[8:9], v[10:11], v[8:9] neg_lo:[0,1] neg_hi:[0,1]
	v_pk_add_f32 v[10:11], v[42:43], v[40:41]
	global_store_dwordx2 v[36:37], v[8:9], off
	global_store_dwordx2 v[38:39], v[10:11], off
	v_mov_b64_e32 v[8:9], v[2:3]
	s_and_saveexec_b64 s[20:21], s[2:3]
	s_cbranch_execz .LBB242_16
; %bb.15:                               ;   in Loop: Header=BB242_5 Depth=1
	v_add_u32_e32 v8, v34, v1
	v_add_u32_e32 v2, s23, v8
	v_ashrrev_i32_e32 v9, 31, v8
	v_lshl_add_u64 v[10:11], v[2:3], 3, s[8:9]
	v_lshl_add_u64 v[8:9], v[8:9], 3, s[14:15]
	global_load_dwordx2 v[36:37], v[10:11], off
	v_mov_b32_e32 v2, v15
	global_load_dwordx2 v[8:9], v[8:9], off
	v_xor_b32_e32 v38, 0x80000000, v15
	v_mov_b32_e32 v39, v14
	v_pk_mul_f32 v[22:23], v[2:3], v[22:23] op_sel_hi:[0,1]
	v_pk_mul_f32 v[18:19], v[2:3], v[18:19] op_sel_hi:[0,1]
	v_pk_mul_f32 v[38:39], v[4:5], v[38:39] op_sel:[1,0]
	v_pk_fma_f32 v[6:7], v[6:7], v[14:15], v[22:23] op_sel_hi:[1,0,1] neg_lo:[1,0,0] neg_hi:[1,0,0]
	v_pk_fma_f32 v[4:5], v[4:5], v[14:15], v[18:19] op_sel_hi:[1,0,1]
	v_pk_fma_f32 v[14:15], v[14:15], v[20:21], v[38:39]
	v_mov_b32_e32 v40, v13
	v_pk_add_f32 v[18:19], v[6:7], 0 neg_lo:[1,1] neg_hi:[1,1]
	v_xor_b32_e32 v22, 0x80000000, v15
	v_mov_b32_e32 v23, v14
	v_mov_b32_e32 v29, v28
	;; [unrolled: 1-line block ×3, first 2 shown]
	v_xor_b32_e32 v20, 0x80000000, v5
	v_mov_b32_e32 v21, v4
	v_pk_mov_b32 v[18:19], v[6:7], v[18:19] op_sel:[1,0]
	v_pk_mul_f32 v[22:23], v[40:41], v[22:23] op_sel_hi:[0,1]
	v_mov_b32_e32 v27, v26
	v_mov_b32_e32 v31, v30
	v_pk_mul_f32 v[20:21], v[32:33], v[20:21]
	v_pk_mul_f32 v[18:19], v[18:19], v[28:29]
	v_pk_fma_f32 v[12:13], v[14:15], v[12:13], v[22:23] op_sel_hi:[1,0,1]
	v_pk_fma_f32 v[4:5], v[4:5], v[30:31], v[20:21]
	v_pk_fma_f32 v[6:7], v[6:7], v[26:27], v[18:19] neg_lo:[1,0,0] neg_hi:[1,0,0]
	v_xor_b32_e32 v14, 0x80000000, v13
	v_mov_b32_e32 v15, v12
	v_pk_add_f32 v[4:5], v[6:7], v[4:5] neg_lo:[0,1] neg_hi:[0,1]
	v_pk_mul_f32 v[6:7], v[24:25], v[14:15] op_sel_hi:[0,1]
	v_pk_fma_f32 v[6:7], v[12:13], v[16:17], v[6:7] op_sel_hi:[1,0,1]
	s_waitcnt vmcnt(1)
	v_pk_add_f32 v[4:5], v[4:5], v[36:37]
	global_store_dwordx2 v[10:11], v[4:5], off
	s_waitcnt vmcnt(1)
	v_pk_add_f32 v[8:9], v[8:9], v[6:7] neg_lo:[0,1] neg_hi:[0,1]
.LBB242_16:                             ;   in Loop: Header=BB242_5 Depth=1
	s_or_b64 exec, exec, s[20:21]
	v_mov_b64_e32 v[4:5], v[8:9]
                                        ; implicit-def: $vgpr16
                                        ; implicit-def: $vgpr6
                                        ; implicit-def: $vgpr8_vgpr9
                                        ; implicit-def: $vgpr10_vgpr11
.LBB242_17:                             ;   in Loop: Header=BB242_5 Depth=1
	s_or_saveexec_b64 s[2:3], s[4:5]
	v_mov_b32_e32 v12, s27
	s_xor_b64 exec, exec, s[2:3]
	s_cbranch_execz .LBB242_4
; %bb.18:                               ;   in Loop: Header=BB242_5 Depth=1
	v_lshl_add_u64 v[18:19], v[2:3], 3, s[8:9]
	global_load_dwordx2 v[14:15], v[18:19], off
	v_mul_f32_e32 v2, v5, v5
	v_fmac_f32_e32 v2, v4, v4
	v_div_scale_f32 v12, s[4:5], v2, v2, 1.0
	v_rcp_f32_e32 v13, v12
	s_nop 0
	v_fma_f32 v17, -v12, v13, 1.0
	v_fmac_f32_e32 v13, v17, v13
	v_div_scale_f32 v17, vcc, 1.0, v2, 1.0
	v_mul_f32_e32 v20, v17, v13
	v_fma_f32 v21, -v12, v20, v17
	v_fmac_f32_e32 v20, v21, v13
	v_fma_f32 v12, -v12, v20, v17
	v_div_fmas_f32 v12, v12, v13, v20
	v_div_fixup_f32 v2, v12, v2, 1.0
	v_fma_f32 v12, 0, v5, v4
	v_fma_f32 v4, v4, 0, -v5
	v_mul_f32_e32 v4, v4, v2
	v_mul_f32_e32 v12, v12, v2
	s_waitcnt vmcnt(0)
	v_pk_mul_f32 v[20:21], v[4:5], v[14:15] op_sel:[0,1] op_sel_hi:[0,0] neg_lo:[0,1]
	v_pk_fma_f32 v[14:15], v[14:15], v[12:13], v[20:21] op_sel_hi:[1,0,1]
	global_store_dwordx2 v[18:19], v[14:15], off
	s_and_saveexec_b64 s[4:5], s[0:1]
	s_cbranch_execz .LBB242_3
; %bb.19:                               ;   in Loop: Header=BB242_5 Depth=1
	v_add_u32_e32 v2, v35, v1
	v_lshl_add_u64 v[18:19], v[2:3], 3, s[8:9]
	global_load_dwordx2 v[20:21], v[18:19], off
	v_xor_b32_e32 v22, 0x80000000, v6
	v_mov_b32_e32 v23, v16
	v_mov_b32_e32 v26, v7
	;; [unrolled: 1-line block ×3, first 2 shown]
	s_waitcnt vmcnt(0)
	v_pk_fma_f32 v[20:21], v[22:23], v[14:15], v[20:21] op_sel_hi:[1,0,1]
	s_nop 0
	v_pk_fma_f32 v[14:15], v[26:27], v[14:15], v[20:21] op_sel:[0,1,0]
	global_store_dwordx2 v[18:19], v[14:15], off
	s_branch .LBB242_3
.LBB242_20:
	s_or_b64 exec, exec, s[18:19]
	s_branch .LBB242_22
.LBB242_21:
	v_mov_b32_e32 v1, 0
.LBB242_22:
	v_subrev_u32_e32 v1, s22, v1
	v_add_u32_e32 v2, v1, v0
	v_ashrrev_i32_e32 v3, 31, v2
	s_waitcnt lgkmcnt(0)
	v_lshl_add_u64 v[2:3], v[2:3], 2, s[6:7]
	buffer_wbl2 sc1
	s_waitcnt vmcnt(0)
	buffer_inv sc1
	global_load_dword v2, v[2:3], off
	s_waitcnt vmcnt(0)
	v_mul_lo_u32 v2, v2, s22
	v_sub_u32_e32 v1, v1, v2
	v_cmp_lt_i32_e32 vcc, -1, v1
	s_and_b64 exec, exec, vcc
	s_cbranch_execz .LBB242_29
; %bb.23:
	s_add_i32 s0, s23, s22
	v_add_u32_e32 v8, s0, v0
	s_lshl_b32 s4, s22, 1
	s_mov_b64 s[0:1], 0
	v_mov_b32_e32 v3, 0
	s_branch .LBB242_25
.LBB242_24:                             ;   in Loop: Header=BB242_25 Depth=1
	s_or_b64 exec, exec, s[2:3]
	v_sub_u32_e32 v1, v1, v2
	v_cmp_gt_i32_e32 vcc, 0, v1
	s_or_b64 s[0:1], vcc, s[0:1]
	s_andn2_b64 exec, exec, s[0:1]
	s_cbranch_execz .LBB242_29
.LBB242_25:                             ; =>This Inner Loop Header: Depth=1
	v_add_u32_e32 v6, v1, v0
	v_ashrrev_i32_e32 v7, 31, v6
	s_waitcnt vmcnt(0)
	v_lshl_add_u64 v[4:5], v[6:7], 2, s[6:7]
	global_load_dword v2, v[4:5], off
	v_lshl_add_u64 v[4:5], v[6:7], 3, s[10:11]
	global_load_dwordx2 v[4:5], v[4:5], off
	s_waitcnt vmcnt(1)
	v_cmp_ne_u32_e32 vcc, 1, v2
	s_and_saveexec_b64 s[2:3], vcc
	s_xor_b64 s[2:3], exec, s[2:3]
	s_cbranch_execz .LBB242_27
; %bb.26:                               ;   in Loop: Header=BB242_25 Depth=1
	v_add_u32_e32 v2, v8, v1
	v_lshl_add_u64 v[10:11], v[2:3], 3, s[8:9]
	v_add_u32_e32 v2, s23, v6
	v_lshl_add_u64 v[6:7], v[2:3], 3, s[8:9]
	global_load_dwordx2 v[12:13], v[10:11], off
	global_load_dwordx2 v[14:15], v[6:7], off
	v_subrev_u32_e32 v2, s22, v1
	s_waitcnt vmcnt(2)
	v_pk_add_f32 v[10:11], v[4:5], 0 neg_lo:[1,1] neg_hi:[1,1]
	v_add_u32_e32 v16, v2, v0
	v_pk_mov_b32 v[10:11], v[4:5], v[10:11] op_sel:[1,0]
	v_ashrrev_i32_e32 v17, 31, v16
	v_add_u32_e32 v2, s23, v16
	v_lshl_add_u64 v[16:17], v[16:17], 3, s[10:11]
	v_lshl_add_u64 v[18:19], v[2:3], 3, s[8:9]
	global_load_dwordx2 v[16:17], v[16:17], off
	s_waitcnt vmcnt(1)
	v_pk_fma_f32 v[4:5], v[4:5], v[12:13], v[14:15] op_sel_hi:[1,0,1] neg_lo:[1,0,0] neg_hi:[1,0,0]
	s_nop 0
	v_pk_fma_f32 v[4:5], v[10:11], v[12:13], v[4:5] op_sel:[0,1,0]
	global_store_dwordx2 v[6:7], v[4:5], off
	global_load_dwordx2 v[4:5], v[18:19], off
	s_waitcnt vmcnt(2)
	v_pk_add_f32 v[6:7], v[16:17], 0 neg_lo:[1,1] neg_hi:[1,1]
	s_nop 0
	v_pk_mov_b32 v[6:7], v[16:17], v[6:7] op_sel:[1,0]
	s_waitcnt vmcnt(0)
	v_pk_fma_f32 v[4:5], v[16:17], v[12:13], v[4:5] op_sel_hi:[1,0,1] neg_lo:[1,0,0] neg_hi:[1,0,0]
	s_nop 0
	v_pk_fma_f32 v[4:5], v[6:7], v[12:13], v[4:5] op_sel:[0,1,0]
	global_store_dwordx2 v[18:19], v[4:5], off
                                        ; implicit-def: $vgpr6
                                        ; implicit-def: $vgpr4_vgpr5
.LBB242_27:                             ;   in Loop: Header=BB242_25 Depth=1
	s_or_saveexec_b64 s[2:3], s[2:3]
	v_mov_b32_e32 v2, s4
	s_xor_b64 exec, exec, s[2:3]
	s_cbranch_execz .LBB242_24
; %bb.28:                               ;   in Loop: Header=BB242_25 Depth=1
	v_add_u32_e32 v2, v8, v1
	v_lshl_add_u64 v[10:11], v[2:3], 3, s[8:9]
	v_add_u32_e32 v2, s23, v6
	v_lshl_add_u64 v[6:7], v[2:3], 3, s[8:9]
	global_load_dwordx2 v[12:13], v[10:11], off
	global_load_dwordx2 v[14:15], v[6:7], off
	s_waitcnt vmcnt(2)
	v_pk_add_f32 v[10:11], v[4:5], 0 neg_lo:[1,1] neg_hi:[1,1]
	v_mov_b32_e32 v2, s22
	v_pk_mov_b32 v[10:11], v[4:5], v[10:11] op_sel:[1,0]
	s_waitcnt vmcnt(0)
	v_pk_fma_f32 v[4:5], v[4:5], v[12:13], v[14:15] op_sel_hi:[1,0,1] neg_lo:[1,0,0] neg_hi:[1,0,0]
	s_nop 0
	v_pk_fma_f32 v[4:5], v[10:11], v[12:13], v[4:5] op_sel:[0,1,0]
	global_store_dwordx2 v[6:7], v[4:5], off
	s_branch .LBB242_24
.LBB242_29:
	s_endpgm
	.section	.rodata,"a",@progbits
	.p2align	6, 0x0
	.amdhsa_kernel _ZN9rocsparseL19gtsv_LBM_rhs_kernelILj256ELj64ELj1E21rocsparse_complex_numIfEEEviiiPKT2_S5_S5_PS3_S5_PKi
		.amdhsa_group_segment_fixed_size 0
		.amdhsa_private_segment_fixed_size 0
		.amdhsa_kernarg_size 64
		.amdhsa_user_sgpr_count 2
		.amdhsa_user_sgpr_dispatch_ptr 0
		.amdhsa_user_sgpr_queue_ptr 0
		.amdhsa_user_sgpr_kernarg_segment_ptr 1
		.amdhsa_user_sgpr_dispatch_id 0
		.amdhsa_user_sgpr_kernarg_preload_length 0
		.amdhsa_user_sgpr_kernarg_preload_offset 0
		.amdhsa_user_sgpr_private_segment_size 0
		.amdhsa_uses_dynamic_stack 0
		.amdhsa_enable_private_segment 0
		.amdhsa_system_sgpr_workgroup_id_x 1
		.amdhsa_system_sgpr_workgroup_id_y 1
		.amdhsa_system_sgpr_workgroup_id_z 0
		.amdhsa_system_sgpr_workgroup_info 0
		.amdhsa_system_vgpr_workitem_id 0
		.amdhsa_next_free_vgpr 46
		.amdhsa_next_free_sgpr 28
		.amdhsa_accum_offset 48
		.amdhsa_reserve_vcc 1
		.amdhsa_float_round_mode_32 0
		.amdhsa_float_round_mode_16_64 0
		.amdhsa_float_denorm_mode_32 3
		.amdhsa_float_denorm_mode_16_64 3
		.amdhsa_dx10_clamp 1
		.amdhsa_ieee_mode 1
		.amdhsa_fp16_overflow 0
		.amdhsa_tg_split 0
		.amdhsa_exception_fp_ieee_invalid_op 0
		.amdhsa_exception_fp_denorm_src 0
		.amdhsa_exception_fp_ieee_div_zero 0
		.amdhsa_exception_fp_ieee_overflow 0
		.amdhsa_exception_fp_ieee_underflow 0
		.amdhsa_exception_fp_ieee_inexact 0
		.amdhsa_exception_int_div_zero 0
	.end_amdhsa_kernel
	.section	.text._ZN9rocsparseL19gtsv_LBM_rhs_kernelILj256ELj64ELj1E21rocsparse_complex_numIfEEEviiiPKT2_S5_S5_PS3_S5_PKi,"axG",@progbits,_ZN9rocsparseL19gtsv_LBM_rhs_kernelILj256ELj64ELj1E21rocsparse_complex_numIfEEEviiiPKT2_S5_S5_PS3_S5_PKi,comdat
.Lfunc_end242:
	.size	_ZN9rocsparseL19gtsv_LBM_rhs_kernelILj256ELj64ELj1E21rocsparse_complex_numIfEEEviiiPKT2_S5_S5_PS3_S5_PKi, .Lfunc_end242-_ZN9rocsparseL19gtsv_LBM_rhs_kernelILj256ELj64ELj1E21rocsparse_complex_numIfEEEviiiPKT2_S5_S5_PS3_S5_PKi
                                        ; -- End function
	.set _ZN9rocsparseL19gtsv_LBM_rhs_kernelILj256ELj64ELj1E21rocsparse_complex_numIfEEEviiiPKT2_S5_S5_PS3_S5_PKi.num_vgpr, 46
	.set _ZN9rocsparseL19gtsv_LBM_rhs_kernelILj256ELj64ELj1E21rocsparse_complex_numIfEEEviiiPKT2_S5_S5_PS3_S5_PKi.num_agpr, 0
	.set _ZN9rocsparseL19gtsv_LBM_rhs_kernelILj256ELj64ELj1E21rocsparse_complex_numIfEEEviiiPKT2_S5_S5_PS3_S5_PKi.numbered_sgpr, 28
	.set _ZN9rocsparseL19gtsv_LBM_rhs_kernelILj256ELj64ELj1E21rocsparse_complex_numIfEEEviiiPKT2_S5_S5_PS3_S5_PKi.num_named_barrier, 0
	.set _ZN9rocsparseL19gtsv_LBM_rhs_kernelILj256ELj64ELj1E21rocsparse_complex_numIfEEEviiiPKT2_S5_S5_PS3_S5_PKi.private_seg_size, 0
	.set _ZN9rocsparseL19gtsv_LBM_rhs_kernelILj256ELj64ELj1E21rocsparse_complex_numIfEEEviiiPKT2_S5_S5_PS3_S5_PKi.uses_vcc, 1
	.set _ZN9rocsparseL19gtsv_LBM_rhs_kernelILj256ELj64ELj1E21rocsparse_complex_numIfEEEviiiPKT2_S5_S5_PS3_S5_PKi.uses_flat_scratch, 0
	.set _ZN9rocsparseL19gtsv_LBM_rhs_kernelILj256ELj64ELj1E21rocsparse_complex_numIfEEEviiiPKT2_S5_S5_PS3_S5_PKi.has_dyn_sized_stack, 0
	.set _ZN9rocsparseL19gtsv_LBM_rhs_kernelILj256ELj64ELj1E21rocsparse_complex_numIfEEEviiiPKT2_S5_S5_PS3_S5_PKi.has_recursion, 0
	.set _ZN9rocsparseL19gtsv_LBM_rhs_kernelILj256ELj64ELj1E21rocsparse_complex_numIfEEEviiiPKT2_S5_S5_PS3_S5_PKi.has_indirect_call, 0
	.section	.AMDGPU.csdata,"",@progbits
; Kernel info:
; codeLenInByte = 1980
; TotalNumSgprs: 34
; NumVgprs: 46
; NumAgprs: 0
; TotalNumVgprs: 46
; ScratchSize: 0
; MemoryBound: 0
; FloatMode: 240
; IeeeMode: 1
; LDSByteSize: 0 bytes/workgroup (compile time only)
; SGPRBlocks: 4
; VGPRBlocks: 5
; NumSGPRsForWavesPerEU: 34
; NumVGPRsForWavesPerEU: 46
; AccumOffset: 48
; Occupancy: 8
; WaveLimiterHint : 0
; COMPUTE_PGM_RSRC2:SCRATCH_EN: 0
; COMPUTE_PGM_RSRC2:USER_SGPR: 2
; COMPUTE_PGM_RSRC2:TRAP_HANDLER: 0
; COMPUTE_PGM_RSRC2:TGID_X_EN: 1
; COMPUTE_PGM_RSRC2:TGID_Y_EN: 1
; COMPUTE_PGM_RSRC2:TGID_Z_EN: 0
; COMPUTE_PGM_RSRC2:TIDIG_COMP_CNT: 0
; COMPUTE_PGM_RSRC3_GFX90A:ACCUM_OFFSET: 11
; COMPUTE_PGM_RSRC3_GFX90A:TG_SPLIT: 0
	.section	.text._ZN9rocsparseL29gtsv_spike_block_level_kernelILj256ELj64E21rocsparse_complex_numIfEEEviiiPT1_PKS3_S6_S4_S4_S4_S4_S4_,"axG",@progbits,_ZN9rocsparseL29gtsv_spike_block_level_kernelILj256ELj64E21rocsparse_complex_numIfEEEviiiPT1_PKS3_S6_S4_S4_S4_S4_S4_,comdat
	.globl	_ZN9rocsparseL29gtsv_spike_block_level_kernelILj256ELj64E21rocsparse_complex_numIfEEEviiiPT1_PKS3_S6_S4_S4_S4_S4_S4_ ; -- Begin function _ZN9rocsparseL29gtsv_spike_block_level_kernelILj256ELj64E21rocsparse_complex_numIfEEEviiiPT1_PKS3_S6_S4_S4_S4_S4_S4_
	.p2align	8
	.type	_ZN9rocsparseL29gtsv_spike_block_level_kernelILj256ELj64E21rocsparse_complex_numIfEEEviiiPT1_PKS3_S6_S4_S4_S4_S4_S4_,@function
_ZN9rocsparseL29gtsv_spike_block_level_kernelILj256ELj64E21rocsparse_complex_numIfEEEviiiPT1_PKS3_S6_S4_S4_S4_S4_S4_: ; @_ZN9rocsparseL29gtsv_spike_block_level_kernelILj256ELj64E21rocsparse_complex_numIfEEEviiiPT1_PKS3_S6_S4_S4_S4_S4_S4_
; %bb.0:
	s_load_dword s14, s[0:1], 0x0
	s_load_dwordx2 s[8:9], s[0:1], 0x18
	v_lshl_or_b32 v2, s2, 8, v0
	v_mov_b32_e32 v4, 0
	v_mov_b32_e32 v8, 0
	s_waitcnt lgkmcnt(0)
	s_lshr_b32 s18, s14, 6
	v_cmp_gt_i32_e64 s[4:5], s18, v2
	v_mov_b32_e32 v9, 0
	s_and_saveexec_b64 s[6:7], s[4:5]
	s_cbranch_execz .LBB243_2
; %bb.1:
	v_ashrrev_i32_e32 v3, 31, v2
	v_lshl_add_u64 v[6:7], v[2:3], 3, s[8:9]
	global_load_dwordx2 v[8:9], v[6:7], off
.LBB243_2:
	s_or_b64 exec, exec, s[6:7]
	s_load_dwordx2 s[6:7], s[0:1], 0x20
	v_lshlrev_b32_e32 v1, 3, v0
	v_or_b32_e32 v6, 0x1000, v1
	v_mov_b32_e32 v5, 0
	s_waitcnt vmcnt(0)
	ds_write_b64 v1, v[8:9] offset:4096
	s_and_saveexec_b64 s[10:11], s[4:5]
	s_cbranch_execz .LBB243_4
; %bb.3:
	v_mad_u64_u32 v[4:5], s[12:13], s18, 63, v[2:3]
	v_mov_b32_e32 v5, 0
	v_lshl_add_u64 v[4:5], v[4:5], 3, s[8:9]
	global_load_dwordx2 v[4:5], v[4:5], off
.LBB243_4:
	s_or_b64 exec, exec, s[10:11]
	s_waitcnt vmcnt(0)
	ds_write_b64 v6, v[4:5] offset:2048
	v_mov_b32_e32 v4, 0
	v_mov_b32_e32 v8, 0
	;; [unrolled: 1-line block ×3, first 2 shown]
	s_and_saveexec_b64 s[8:9], s[4:5]
	s_cbranch_execz .LBB243_6
; %bb.5:
	v_ashrrev_i32_e32 v3, 31, v2
	s_waitcnt lgkmcnt(0)
	v_lshl_add_u64 v[8:9], v[2:3], 3, s[6:7]
	global_load_dwordx2 v[8:9], v[8:9], off
.LBB243_6:
	s_or_b64 exec, exec, s[8:9]
	s_load_dwordx2 s[12:13], s[0:1], 0x10
	v_mov_b32_e32 v5, 0
	s_waitcnt vmcnt(0)
	ds_write_b64 v1, v[8:9]
	s_and_saveexec_b64 s[8:9], s[4:5]
	s_cbranch_execz .LBB243_8
; %bb.7:
	v_mad_u64_u32 v[4:5], s[10:11], s18, 63, v[2:3]
	v_mov_b32_e32 v5, 0
	s_waitcnt lgkmcnt(0)
	v_lshl_add_u64 v[4:5], v[4:5], 3, s[6:7]
	global_load_dwordx2 v[4:5], v[4:5], off
.LBB243_8:
	s_or_b64 exec, exec, s[8:9]
	s_mul_i32 s14, s14, s3
	s_waitcnt vmcnt(0)
	ds_write_b64 v1, v[4:5] offset:2048
	v_mov_b32_e32 v8, 0
	v_add_u32_e32 v4, s14, v2
	v_mov_b32_e32 v10, 0
	v_mov_b32_e32 v11, 0
	s_waitcnt lgkmcnt(0)
	s_and_saveexec_b64 s[6:7], s[4:5]
	s_cbranch_execz .LBB243_10
; %bb.9:
	v_ashrrev_i32_e32 v5, 31, v4
	v_lshl_add_u64 v[10:11], v[4:5], 3, s[12:13]
	global_load_dwordx2 v[10:11], v[10:11], off
.LBB243_10:
	s_or_b64 exec, exec, s[6:7]
	v_or_b32_e32 v5, 0x2000, v1
	s_mul_i32 s19, s18, 63
	v_mov_b32_e32 v9, 0
	s_waitcnt vmcnt(0)
	ds_write_b64 v1, v[10:11] offset:8192
	s_and_saveexec_b64 s[6:7], s[4:5]
	s_cbranch_execz .LBB243_12
; %bb.11:
	s_mul_i32 s8, s18, 63
	s_add_i32 s8, s8, s14
	v_add_u32_e32 v8, s8, v2
	v_mov_b32_e32 v9, 0
	v_lshl_add_u64 v[8:9], v[8:9], 3, s[12:13]
	global_load_dwordx2 v[8:9], v[8:9], off
.LBB243_12:
	s_or_b64 exec, exec, s[6:7]
	s_movk_i32 s6, 0x80
	v_cmp_gt_u32_e32 vcc, s6, v0
	s_waitcnt vmcnt(0)
	ds_write_b64 v5, v[8:9] offset:2048
	s_waitcnt lgkmcnt(0)
	s_barrier
	s_and_saveexec_b64 s[6:7], vcc
	s_cbranch_execz .LBB243_14
; %bb.13:
	v_add_u32_e32 v3, v6, v1
	ds_read2_b64 v[8:11], v3 offset1:1
	v_add_u32_e32 v7, v1, v1
	ds_read_b128 v[12:15], v7 offset:2048
	ds_read_b64 v[36:37], v3 offset:2056
	s_mov_b64 s[8:9], 0x3f800000
	v_add_u32_e32 v47, v5, v1
	s_waitcnt lgkmcnt(2)
	v_xor_b32_e32 v20, 0x80000000, v11
	v_mov_b32_e32 v21, v10
	s_waitcnt lgkmcnt(1)
	v_pk_mul_f32 v[20:21], v[12:13], v[20:21] op_sel:[1,0]
	ds_read_b128 v[16:19], v7
	v_pk_fma_f32 v[12:13], v[10:11], v[12:13], v[20:21] op_sel_hi:[1,0,1]
	v_add_u32_e32 v28, 0x800, v47
	v_pk_add_f32 v[12:13], v[12:13], s[8:9] neg_lo:[1,0] neg_hi:[1,0]
	s_nop 0
	v_mul_f32_e32 v20, v13, v13
	v_fmac_f32_e32 v20, v12, v12
	v_div_scale_f32 v21, s[8:9], v20, v20, 1.0
	v_rcp_f32_e32 v22, v21
	v_fma_f32 v39, v12, 0, -v13
	v_fmac_f32_e32 v12, 0, v13
	v_add_u32_e32 v13, 0x800, v3
	v_fma_f32 v23, -v21, v22, 1.0
	v_fmac_f32_e32 v22, v23, v22
	v_div_scale_f32 v23, vcc, 1.0, v20, 1.0
	v_mul_f32_e32 v24, v23, v22
	v_fma_f32 v25, -v21, v24, v23
	v_fmac_f32_e32 v24, v25, v22
	v_fma_f32 v21, -v21, v24, v23
	v_div_fmas_f32 v21, v21, v22, v24
	v_div_fixup_f32 v38, v21, v20, 1.0
	ds_read_b128 v[20:23], v47
	ds_read2st64_b64 v[24:27], v7 offset1:4
	ds_read2_b64 v[28:31], v28 offset1:1
	s_waitcnt lgkmcnt(2)
	v_mov_b32_e32 v32, v23
	s_waitcnt lgkmcnt(1)
	v_pk_mul_f32 v[32:33], v[32:33], v[26:27] op_sel:[0,1] op_sel_hi:[0,0] neg_lo:[0,1]
	v_pk_fma_f32 v[32:33], v[26:27], v[22:23], v[32:33] op_sel_hi:[1,0,1]
	s_waitcnt lgkmcnt(0)
	v_pk_mul_f32 v[44:45], v[10:11], v[28:29] op_sel:[1,1] op_sel_hi:[1,0] neg_lo:[0,1]
	v_pk_add_f32 v[40:41], v[28:29], v[32:33] neg_lo:[0,1] neg_hi:[0,1]
	ds_read2_b64 v[32:35], v13 offset1:1
	v_pk_fma_f32 v[28:29], v[28:29], v[10:11], v[44:45] op_sel_hi:[1,0,1]
	v_mov_b32_e32 v13, v39
	v_xor_b32_e32 v42, 0x80000000, v41
	v_mov_b32_e32 v43, v40
	v_pk_add_f32 v[22:23], v[22:23], v[28:29] neg_lo:[0,1] neg_hi:[0,1]
	v_pk_mul_f32 v[38:39], v[12:13], v[38:39] op_sel_hi:[1,0]
	v_xor_b32_e32 v28, 0x80000000, v23
	v_mov_b32_e32 v29, v22
	v_mul_f32_e64 v46, v19, -v27
	v_mul_f32_e32 v48, v19, v26
	v_pk_mul_f32 v[12:13], v[38:39], v[42:43] op_sel:[1,0]
	v_fmac_f32_e32 v46, v26, v18
	v_fmac_f32_e32 v48, v27, v18
	v_pk_fma_f32 v[26:27], v[40:41], v[38:39], v[12:13] op_sel_hi:[1,0,1]
	v_pk_mul_f32 v[12:13], v[38:39], v[28:29] op_sel:[1,0]
	s_waitcnt lgkmcnt(0)
	v_xor_b32_e32 v44, 0x80000000, v35
	v_pk_fma_f32 v[22:23], v[22:23], v[38:39], v[12:13] op_sel_hi:[1,0,1]
	v_mov_b32_e32 v45, v34
	v_pk_mul_f32 v[12:13], v[22:23], v[16:17] op_sel:[1,1] op_sel_hi:[1,0] neg_lo:[0,1]
	s_nop 0
	v_pk_fma_f32 v[12:13], v[16:17], v[22:23], v[12:13] op_sel_hi:[1,0,1]
	v_pk_add_f32 v[16:17], v[38:39], 0 neg_lo:[1,1] neg_hi:[1,1]
	v_pk_add_f32 v[20:21], v[20:21], v[12:13] neg_lo:[0,1] neg_hi:[0,1]
	ds_write_b128 v47, v[20:23]
	v_pk_mov_b32 v[20:21], v[38:39], v[16:17] op_sel:[1,0]
	v_mov_b32_e32 v22, v19
	v_pk_mov_b32 v[16:17], v[16:17], v[38:39] op_sel:[1,0]
	v_pk_mul_f32 v[12:13], v[26:27], v[44:45] op_sel:[1,0]
	v_pk_mul_f32 v[16:17], v[22:23], v[16:17] op_sel_hi:[0,1]
	v_mul_f32_e32 v22, v11, v32
	v_pk_fma_f32 v[18:19], v[38:39], v[18:19], v[16:17] op_sel_hi:[1,0,1]
	v_mul_f32_e64 v16, v11, -v33
	v_fmac_f32_e32 v22, v33, v10
	v_pk_fma_f32 v[12:13], v[34:35], v[26:27], v[12:13] op_sel_hi:[1,0,1]
	v_fmac_f32_e32 v16, v32, v10
	v_pk_mul_f32 v[10:11], v[20:21], v[22:23] op_sel_hi:[1,0]
	v_pk_add_f32 v[28:29], v[30:31], v[12:13] neg_lo:[0,1] neg_hi:[0,1]
	v_pk_fma_f32 v[10:11], v[38:39], v[16:17], v[10:11] op_sel_hi:[1,0,1] neg_lo:[1,0,0] neg_hi:[1,0,0]
	ds_write_b128 v47, v[26:29] offset:2048
	v_xor_b32_e32 v26, 0x80000000, v39
	v_mov_b32_e32 v27, v38
	v_pk_mul_f32 v[22:23], v[10:11], v[24:25] op_sel:[1,1] op_sel_hi:[1,0] neg_lo:[0,1]
	v_pk_mul_f32 v[16:17], v[32:33], v[26:27] op_sel:[1,0]
	v_pk_fma_f32 v[22:23], v[24:25], v[10:11], v[22:23] op_sel_hi:[1,0,1]
	v_pk_mul_f32 v[12:13], v[20:21], v[48:49] op_sel_hi:[1,0]
	v_pk_fma_f32 v[20:21], v[38:39], v[32:33], v[16:17] op_sel_hi:[1,0,1]
	v_pk_add_f32 v[16:17], v[24:25], 0 neg_lo:[1,1] neg_hi:[1,1]
	v_pk_add_f32 v[8:9], v[8:9], v[22:23] neg_lo:[0,1] neg_hi:[0,1]
	ds_write_b128 v3, v[8:11]
	v_pk_mov_b32 v[8:9], v[24:25], v[16:17] op_sel:[1,0]
	v_pk_fma_f32 v[12:13], v[38:39], v[46:47], v[12:13] op_sel_hi:[1,0,1] neg_lo:[1,0,0] neg_hi:[1,0,0]
	v_pk_mul_f32 v[8:9], v[18:19], v[8:9] op_sel:[1,0]
	s_nop 0
	v_pk_fma_f32 v[16:17], v[24:25], v[18:19], v[8:9] op_sel_hi:[1,0,1] neg_lo:[1,0,0] neg_hi:[1,0,0]
	v_xor_b32_e32 v8, 0x80000000, v13
	v_mov_b32_e32 v9, v12
	v_pk_mul_f32 v[8:9], v[36:37], v[8:9] op_sel:[1,0]
	ds_write_b128 v7, v[16:19]
	v_pk_fma_f32 v[8:9], v[12:13], v[36:37], v[8:9] op_sel_hi:[1,0,1]
	s_nop 0
	v_pk_add_f32 v[14:15], v[14:15], v[8:9] neg_lo:[0,1] neg_hi:[0,1]
	v_pk_add_f32 v[8:9], v[36:37], 0 neg_lo:[1,1] neg_hi:[1,1]
	ds_write_b128 v7, v[12:15] offset:2048
	v_pk_mov_b32 v[8:9], v[36:37], v[8:9] op_sel:[1,0]
	s_nop 0
	v_pk_mul_f32 v[8:9], v[20:21], v[8:9] op_sel:[1,0]
	s_nop 0
	v_pk_fma_f32 v[22:23], v[36:37], v[20:21], v[8:9] op_sel_hi:[1,0,1] neg_lo:[1,0,0] neg_hi:[1,0,0]
	ds_write_b128 v3, v[20:23] offset:2048
.LBB243_14:
	s_or_b64 exec, exec, s[6:7]
	v_cmp_gt_u32_e32 vcc, 64, v0
	s_waitcnt lgkmcnt(0)
	s_barrier
	s_and_saveexec_b64 s[6:7], vcc
	s_cbranch_execz .LBB243_16
; %bb.15:
	v_lshlrev_b32_e32 v3, 5, v0
	v_add_u32_e32 v7, 0x1000, v3
	ds_read2_b64 v[8:11], v7 offset1:2
	v_add_u32_e32 v45, 0x800, v3
	ds_read2_b64 v[12:15], v45 offset0:1 offset1:3
	s_mov_b64 s[8:9], 0x3f800000
	v_add_u32_e32 v48, 0x1800, v3
	s_waitcnt lgkmcnt(1)
	v_xor_b32_e32 v16, 0x80000000, v11
	v_mov_b32_e32 v17, v10
	s_waitcnt lgkmcnt(0)
	v_pk_mul_f32 v[16:17], v[12:13], v[16:17] op_sel:[1,0]
	ds_read_b64 v[36:37], v3
	v_pk_fma_f32 v[16:17], v[10:11], v[12:13], v[16:17] op_sel_hi:[1,0,1]
	s_waitcnt lgkmcnt(0)
	v_xor_b32_e32 v40, 0x80000000, v37
	v_pk_add_f32 v[24:25], v[16:17], s[8:9] neg_lo:[1,0] neg_hi:[1,0]
	v_mov_b32_e32 v41, v36
	v_mul_f32_e32 v20, v25, v25
	v_fmac_f32_e32 v20, v24, v24
	v_div_scale_f32 v16, s[8:9], v20, v20, 1.0
	v_rcp_f32_e32 v21, v16
	v_fma_f32 v27, v24, 0, -v25
	v_fmac_f32_e32 v24, 0, v25
	v_mov_b32_e32 v25, v27
	v_fma_f32 v17, -v16, v21, 1.0
	v_fmac_f32_e32 v21, v17, v21
	v_div_scale_f32 v17, vcc, 1.0, v20, 1.0
	v_mul_f32_e32 v22, v17, v21
	v_fma_f32 v18, -v16, v22, v17
	v_fmac_f32_e32 v22, v18, v21
	v_fma_f32 v23, -v16, v22, v17
	v_add_u32_e32 v16, 0x2010, v3
	ds_read2_b64 v[16:19], v16 offset1:255
	v_div_fmas_f32 v21, v23, v21, v22
	v_div_fixup_f32 v26, v21, v20, 1.0
	v_pk_mul_f32 v[46:47], v[24:25], v[26:27] op_sel_hi:[1,0]
	s_waitcnt lgkmcnt(0)
	v_pk_mul_f32 v[20:21], v[16:17], v[12:13] op_sel:[1,1] op_sel_hi:[1,0] neg_lo:[0,1]
	s_nop 0
	v_pk_fma_f32 v[20:21], v[12:13], v[16:17], v[20:21] op_sel_hi:[1,0,1]
	s_nop 0
	v_pk_add_f32 v[28:29], v[18:19], v[20:21] neg_lo:[0,1] neg_hi:[0,1]
	v_pk_mul_f32 v[20:21], v[10:11], v[18:19] op_sel:[1,1] op_sel_hi:[1,0] neg_lo:[0,1]
	v_xor_b32_e32 v30, 0x80000000, v29
	v_pk_fma_f32 v[18:19], v[18:19], v[10:11], v[20:21] op_sel_hi:[1,0,1]
	v_mov_b32_e32 v31, v28
	v_pk_add_f32 v[32:33], v[16:17], v[18:19] neg_lo:[0,1] neg_hi:[0,1]
	ds_read2_b64 v[16:19], v48 offset0:1 offset1:3
	ds_read2_b64 v[20:23], v3 offset1:2
	ds_read_b64 v[38:39], v3 offset:10264
	v_pk_mul_f32 v[24:25], v[46:47], v[30:31] op_sel:[1,0]
	v_xor_b32_e32 v34, 0x80000000, v33
	v_mov_b32_e32 v35, v32
	s_waitcnt lgkmcnt(1)
	v_mul_f32_e64 v44, v23, -v13
	v_fmac_f32_e32 v44, v12, v22
	v_mul_f32_e32 v12, v23, v12
	v_fmac_f32_e32 v12, v13, v22
	v_add_u32_e32 v13, 0x1810, v3
	v_pk_fma_f32 v[28:29], v[28:29], v[46:47], v[24:25] op_sel_hi:[1,0,1]
	ds_read2_b64 v[24:27], v13 offset0:1 offset1:254
	v_pk_mul_f32 v[30:31], v[46:47], v[34:35] op_sel:[1,0]
	v_xor_b32_e32 v42, 0x80000000, v19
	v_pk_fma_f32 v[30:31], v[32:33], v[46:47], v[30:31] op_sel_hi:[1,0,1]
	v_mov_b32_e32 v43, v18
	v_pk_mul_f32 v[32:33], v[30:31], v[40:41] op_sel:[1,0]
	v_add_u32_e32 v13, 0x2000, v3
	v_pk_fma_f32 v[32:33], v[36:37], v[30:31], v[32:33] op_sel_hi:[1,0,1]
	s_waitcnt lgkmcnt(0)
	v_pk_add_f32 v[26:27], v[26:27], v[32:33] neg_lo:[0,1] neg_hi:[0,1]
	ds_write2_b64 v13, v[26:27], v[30:31] offset1:2
	v_pk_mul_f32 v[26:27], v[28:29], v[42:43] op_sel:[1,0]
	v_add_u32_e32 v13, 0x2800, v3
	v_pk_fma_f32 v[18:19], v[18:19], v[28:29], v[26:27] op_sel_hi:[1,0,1]
	s_nop 0
	v_pk_add_f32 v[18:19], v[38:39], v[18:19] neg_lo:[0,1] neg_hi:[0,1]
	ds_write2_b64 v13, v[28:29], v[18:19] offset0:1 offset1:3
	v_pk_add_f32 v[18:19], v[46:47], 0 neg_lo:[1,1] neg_hi:[1,1]
	v_mul_f32_e32 v28, v11, v16
	v_pk_mov_b32 v[26:27], v[46:47], v[18:19] op_sel:[1,0]
	v_pk_mov_b32 v[18:19], v[18:19], v[46:47] op_sel:[1,0]
	v_fmac_f32_e32 v28, v17, v10
	v_pk_mul_f32 v[18:19], v[22:23], v[18:19] op_sel:[1,0]
	v_pk_mul_f32 v[12:13], v[26:27], v[12:13] op_sel_hi:[1,0]
	v_pk_fma_f32 v[18:19], v[46:47], v[22:23], v[18:19] op_sel_hi:[1,0,1]
	v_mul_f32_e64 v22, v11, -v17
	v_fmac_f32_e32 v22, v16, v10
	v_pk_mul_f32 v[26:27], v[26:27], v[28:29] op_sel_hi:[1,0]
	v_xor_b32_e32 v10, 0x80000000, v47
	v_pk_fma_f32 v[22:23], v[46:47], v[22:23], v[26:27] op_sel_hi:[1,0,1] neg_lo:[1,0,0] neg_hi:[1,0,0]
	v_mov_b32_e32 v11, v46
	v_pk_mul_f32 v[26:27], v[22:23], v[20:21] op_sel:[1,1] op_sel_hi:[1,0] neg_lo:[0,1]
	v_pk_mul_f32 v[10:11], v[16:17], v[10:11] op_sel:[1,0]
	v_pk_fma_f32 v[26:27], v[20:21], v[22:23], v[26:27] op_sel_hi:[1,0,1]
	v_pk_fma_f32 v[10:11], v[46:47], v[16:17], v[10:11] op_sel_hi:[1,0,1]
	v_pk_add_f32 v[16:17], v[20:21], 0 neg_lo:[1,1] neg_hi:[1,1]
	v_pk_add_f32 v[8:9], v[8:9], v[26:27] neg_lo:[0,1] neg_hi:[0,1]
	ds_write2_b64 v7, v[8:9], v[22:23] offset1:2
	v_pk_mov_b32 v[8:9], v[20:21], v[16:17] op_sel:[1,0]
	v_pk_fma_f32 v[12:13], v[46:47], v[44:45], v[12:13] op_sel_hi:[1,0,1] neg_lo:[1,0,0] neg_hi:[1,0,0]
	v_pk_mul_f32 v[8:9], v[18:19], v[8:9] op_sel:[1,0]
	s_nop 0
	v_pk_fma_f32 v[8:9], v[20:21], v[18:19], v[8:9] op_sel_hi:[1,0,1] neg_lo:[1,0,0] neg_hi:[1,0,0]
	ds_write2_b64 v3, v[8:9], v[18:19] offset1:2
	v_xor_b32_e32 v8, 0x80000000, v13
	v_mov_b32_e32 v9, v12
	v_pk_mul_f32 v[8:9], v[24:25], v[8:9] op_sel:[1,0]
	s_nop 0
	v_pk_fma_f32 v[8:9], v[12:13], v[24:25], v[8:9] op_sel_hi:[1,0,1]
	s_nop 0
	v_pk_add_f32 v[8:9], v[14:15], v[8:9] neg_lo:[0,1] neg_hi:[0,1]
	ds_write2_b64 v45, v[12:13], v[8:9] offset0:1 offset1:3
	v_pk_add_f32 v[8:9], v[24:25], 0 neg_lo:[1,1] neg_hi:[1,1]
	s_nop 0
	v_pk_mov_b32 v[8:9], v[24:25], v[8:9] op_sel:[1,0]
	s_nop 0
	v_pk_mul_f32 v[8:9], v[10:11], v[8:9] op_sel:[1,0]
	s_nop 0
	v_pk_fma_f32 v[8:9], v[24:25], v[10:11], v[8:9] op_sel_hi:[1,0,1] neg_lo:[1,0,0] neg_hi:[1,0,0]
	ds_write2_b64 v48, v[10:11], v[8:9] offset0:1 offset1:3
.LBB243_16:
	s_or_b64 exec, exec, s[6:7]
	v_cmp_gt_u32_e32 vcc, 32, v0
	s_waitcnt lgkmcnt(0)
	s_barrier
	s_and_saveexec_b64 s[6:7], vcc
	s_cbranch_execz .LBB243_18
; %bb.17:
	v_lshlrev_b32_e32 v3, 6, v0
	v_add_u32_e32 v7, 0x1000, v3
	ds_read2_b64 v[8:11], v7 offset1:4
	v_add_u32_e32 v45, 0x800, v3
	ds_read2_b64 v[12:15], v45 offset0:3 offset1:7
	s_mov_b64 s[8:9], 0x3f800000
	v_add_u32_e32 v48, 0x1800, v3
	s_waitcnt lgkmcnt(1)
	v_xor_b32_e32 v16, 0x80000000, v11
	v_mov_b32_e32 v17, v10
	s_waitcnt lgkmcnt(0)
	v_pk_mul_f32 v[16:17], v[12:13], v[16:17] op_sel:[1,0]
	ds_read_b64 v[36:37], v3
	v_pk_fma_f32 v[16:17], v[10:11], v[12:13], v[16:17] op_sel_hi:[1,0,1]
	s_waitcnt lgkmcnt(0)
	v_xor_b32_e32 v40, 0x80000000, v37
	v_pk_add_f32 v[24:25], v[16:17], s[8:9] neg_lo:[1,0] neg_hi:[1,0]
	v_mov_b32_e32 v41, v36
	v_mul_f32_e32 v20, v25, v25
	v_fmac_f32_e32 v20, v24, v24
	v_div_scale_f32 v16, s[8:9], v20, v20, 1.0
	v_rcp_f32_e32 v21, v16
	v_fma_f32 v27, v24, 0, -v25
	v_fmac_f32_e32 v24, 0, v25
	v_mov_b32_e32 v25, v27
	v_fma_f32 v17, -v16, v21, 1.0
	v_fmac_f32_e32 v21, v17, v21
	v_div_scale_f32 v17, vcc, 1.0, v20, 1.0
	v_mul_f32_e32 v22, v17, v21
	v_fma_f32 v18, -v16, v22, v17
	v_fmac_f32_e32 v22, v18, v21
	v_fma_f32 v23, -v16, v22, v17
	v_add_u32_e32 v16, 0x2020, v3
	ds_read2_b64 v[16:19], v16 offset1:255
	v_div_fmas_f32 v21, v23, v21, v22
	v_div_fixup_f32 v26, v21, v20, 1.0
	v_pk_mul_f32 v[46:47], v[24:25], v[26:27] op_sel_hi:[1,0]
	s_waitcnt lgkmcnt(0)
	v_pk_mul_f32 v[20:21], v[16:17], v[12:13] op_sel:[1,1] op_sel_hi:[1,0] neg_lo:[0,1]
	s_nop 0
	v_pk_fma_f32 v[20:21], v[12:13], v[16:17], v[20:21] op_sel_hi:[1,0,1]
	s_nop 0
	v_pk_add_f32 v[28:29], v[18:19], v[20:21] neg_lo:[0,1] neg_hi:[0,1]
	v_pk_mul_f32 v[20:21], v[10:11], v[18:19] op_sel:[1,1] op_sel_hi:[1,0] neg_lo:[0,1]
	v_xor_b32_e32 v30, 0x80000000, v29
	v_pk_fma_f32 v[18:19], v[18:19], v[10:11], v[20:21] op_sel_hi:[1,0,1]
	v_mov_b32_e32 v31, v28
	v_pk_add_f32 v[32:33], v[16:17], v[18:19] neg_lo:[0,1] neg_hi:[0,1]
	ds_read2_b64 v[16:19], v48 offset0:3 offset1:7
	ds_read2_b64 v[20:23], v3 offset1:4
	ds_read_b64 v[38:39], v3 offset:10296
	v_pk_mul_f32 v[24:25], v[46:47], v[30:31] op_sel:[1,0]
	v_xor_b32_e32 v34, 0x80000000, v33
	v_mov_b32_e32 v35, v32
	s_waitcnt lgkmcnt(1)
	v_mul_f32_e64 v44, v23, -v13
	v_fmac_f32_e32 v44, v12, v22
	v_mul_f32_e32 v12, v23, v12
	v_fmac_f32_e32 v12, v13, v22
	v_add_u32_e32 v13, 0x1820, v3
	v_pk_fma_f32 v[28:29], v[28:29], v[46:47], v[24:25] op_sel_hi:[1,0,1]
	ds_read2_b64 v[24:27], v13 offset0:3 offset1:252
	v_pk_mul_f32 v[30:31], v[46:47], v[34:35] op_sel:[1,0]
	v_xor_b32_e32 v42, 0x80000000, v19
	v_pk_fma_f32 v[30:31], v[32:33], v[46:47], v[30:31] op_sel_hi:[1,0,1]
	v_mov_b32_e32 v43, v18
	v_pk_mul_f32 v[32:33], v[30:31], v[40:41] op_sel:[1,0]
	v_add_u32_e32 v13, 0x2000, v3
	v_pk_fma_f32 v[32:33], v[36:37], v[30:31], v[32:33] op_sel_hi:[1,0,1]
	s_waitcnt lgkmcnt(0)
	v_pk_add_f32 v[26:27], v[26:27], v[32:33] neg_lo:[0,1] neg_hi:[0,1]
	ds_write2_b64 v13, v[26:27], v[30:31] offset1:4
	v_pk_mul_f32 v[26:27], v[28:29], v[42:43] op_sel:[1,0]
	v_add_u32_e32 v13, 0x2800, v3
	v_pk_fma_f32 v[18:19], v[18:19], v[28:29], v[26:27] op_sel_hi:[1,0,1]
	s_nop 0
	v_pk_add_f32 v[18:19], v[38:39], v[18:19] neg_lo:[0,1] neg_hi:[0,1]
	ds_write2_b64 v13, v[28:29], v[18:19] offset0:3 offset1:7
	v_pk_add_f32 v[18:19], v[46:47], 0 neg_lo:[1,1] neg_hi:[1,1]
	v_mul_f32_e32 v28, v11, v16
	v_pk_mov_b32 v[26:27], v[46:47], v[18:19] op_sel:[1,0]
	v_pk_mov_b32 v[18:19], v[18:19], v[46:47] op_sel:[1,0]
	v_fmac_f32_e32 v28, v17, v10
	v_pk_mul_f32 v[18:19], v[22:23], v[18:19] op_sel:[1,0]
	v_pk_mul_f32 v[12:13], v[26:27], v[12:13] op_sel_hi:[1,0]
	v_pk_fma_f32 v[18:19], v[46:47], v[22:23], v[18:19] op_sel_hi:[1,0,1]
	v_mul_f32_e64 v22, v11, -v17
	v_fmac_f32_e32 v22, v16, v10
	v_pk_mul_f32 v[26:27], v[26:27], v[28:29] op_sel_hi:[1,0]
	v_xor_b32_e32 v10, 0x80000000, v47
	v_pk_fma_f32 v[22:23], v[46:47], v[22:23], v[26:27] op_sel_hi:[1,0,1] neg_lo:[1,0,0] neg_hi:[1,0,0]
	v_mov_b32_e32 v11, v46
	v_pk_mul_f32 v[26:27], v[22:23], v[20:21] op_sel:[1,1] op_sel_hi:[1,0] neg_lo:[0,1]
	v_pk_mul_f32 v[10:11], v[16:17], v[10:11] op_sel:[1,0]
	v_pk_fma_f32 v[26:27], v[20:21], v[22:23], v[26:27] op_sel_hi:[1,0,1]
	v_pk_fma_f32 v[10:11], v[46:47], v[16:17], v[10:11] op_sel_hi:[1,0,1]
	v_pk_add_f32 v[16:17], v[20:21], 0 neg_lo:[1,1] neg_hi:[1,1]
	v_pk_add_f32 v[8:9], v[8:9], v[26:27] neg_lo:[0,1] neg_hi:[0,1]
	ds_write2_b64 v7, v[8:9], v[22:23] offset1:4
	v_pk_mov_b32 v[8:9], v[20:21], v[16:17] op_sel:[1,0]
	v_pk_fma_f32 v[12:13], v[46:47], v[44:45], v[12:13] op_sel_hi:[1,0,1] neg_lo:[1,0,0] neg_hi:[1,0,0]
	v_pk_mul_f32 v[8:9], v[18:19], v[8:9] op_sel:[1,0]
	s_nop 0
	v_pk_fma_f32 v[8:9], v[20:21], v[18:19], v[8:9] op_sel_hi:[1,0,1] neg_lo:[1,0,0] neg_hi:[1,0,0]
	ds_write2_b64 v3, v[8:9], v[18:19] offset1:4
	v_xor_b32_e32 v8, 0x80000000, v13
	v_mov_b32_e32 v9, v12
	v_pk_mul_f32 v[8:9], v[24:25], v[8:9] op_sel:[1,0]
	s_nop 0
	v_pk_fma_f32 v[8:9], v[12:13], v[24:25], v[8:9] op_sel_hi:[1,0,1]
	s_nop 0
	v_pk_add_f32 v[8:9], v[14:15], v[8:9] neg_lo:[0,1] neg_hi:[0,1]
	ds_write2_b64 v45, v[12:13], v[8:9] offset0:3 offset1:7
	v_pk_add_f32 v[8:9], v[24:25], 0 neg_lo:[1,1] neg_hi:[1,1]
	s_nop 0
	v_pk_mov_b32 v[8:9], v[24:25], v[8:9] op_sel:[1,0]
	s_nop 0
	v_pk_mul_f32 v[8:9], v[10:11], v[8:9] op_sel:[1,0]
	s_nop 0
	v_pk_fma_f32 v[8:9], v[24:25], v[10:11], v[8:9] op_sel_hi:[1,0,1] neg_lo:[1,0,0] neg_hi:[1,0,0]
	ds_write2_b64 v48, v[10:11], v[8:9] offset0:3 offset1:7
.LBB243_18:
	s_or_b64 exec, exec, s[6:7]
	v_cmp_gt_u32_e32 vcc, 16, v0
	s_waitcnt lgkmcnt(0)
	s_barrier
	s_and_saveexec_b64 s[6:7], vcc
	s_cbranch_execz .LBB243_20
; %bb.19:
	v_lshlrev_b32_e32 v3, 7, v0
	v_add_u32_e32 v7, 0x1000, v3
	ds_read2_b64 v[8:11], v7 offset1:8
	v_add_u32_e32 v45, 0x800, v3
	ds_read2_b64 v[12:15], v45 offset0:7 offset1:15
	s_mov_b64 s[8:9], 0x3f800000
	v_add_u32_e32 v48, 0x1800, v3
	s_waitcnt lgkmcnt(1)
	v_xor_b32_e32 v16, 0x80000000, v11
	v_mov_b32_e32 v17, v10
	s_waitcnt lgkmcnt(0)
	v_pk_mul_f32 v[16:17], v[12:13], v[16:17] op_sel:[1,0]
	ds_read_b64 v[36:37], v3
	v_pk_fma_f32 v[16:17], v[10:11], v[12:13], v[16:17] op_sel_hi:[1,0,1]
	s_waitcnt lgkmcnt(0)
	v_xor_b32_e32 v40, 0x80000000, v37
	v_pk_add_f32 v[24:25], v[16:17], s[8:9] neg_lo:[1,0] neg_hi:[1,0]
	v_mov_b32_e32 v41, v36
	v_mul_f32_e32 v20, v25, v25
	v_fmac_f32_e32 v20, v24, v24
	v_div_scale_f32 v16, s[8:9], v20, v20, 1.0
	v_rcp_f32_e32 v21, v16
	v_fma_f32 v27, v24, 0, -v25
	v_fmac_f32_e32 v24, 0, v25
	v_mov_b32_e32 v25, v27
	v_fma_f32 v17, -v16, v21, 1.0
	v_fmac_f32_e32 v21, v17, v21
	v_div_scale_f32 v17, vcc, 1.0, v20, 1.0
	v_mul_f32_e32 v22, v17, v21
	v_fma_f32 v18, -v16, v22, v17
	v_fmac_f32_e32 v22, v18, v21
	v_fma_f32 v23, -v16, v22, v17
	v_add_u32_e32 v16, 0x2040, v3
	ds_read2_b64 v[16:19], v16 offset1:255
	v_div_fmas_f32 v21, v23, v21, v22
	v_div_fixup_f32 v26, v21, v20, 1.0
	v_pk_mul_f32 v[46:47], v[24:25], v[26:27] op_sel_hi:[1,0]
	s_waitcnt lgkmcnt(0)
	v_pk_mul_f32 v[20:21], v[16:17], v[12:13] op_sel:[1,1] op_sel_hi:[1,0] neg_lo:[0,1]
	s_nop 0
	v_pk_fma_f32 v[20:21], v[12:13], v[16:17], v[20:21] op_sel_hi:[1,0,1]
	s_nop 0
	v_pk_add_f32 v[28:29], v[18:19], v[20:21] neg_lo:[0,1] neg_hi:[0,1]
	v_pk_mul_f32 v[20:21], v[10:11], v[18:19] op_sel:[1,1] op_sel_hi:[1,0] neg_lo:[0,1]
	v_xor_b32_e32 v30, 0x80000000, v29
	v_pk_fma_f32 v[18:19], v[18:19], v[10:11], v[20:21] op_sel_hi:[1,0,1]
	v_mov_b32_e32 v31, v28
	v_pk_add_f32 v[32:33], v[16:17], v[18:19] neg_lo:[0,1] neg_hi:[0,1]
	ds_read2_b64 v[16:19], v48 offset0:7 offset1:15
	ds_read2_b64 v[20:23], v3 offset1:8
	ds_read_b64 v[38:39], v3 offset:10360
	v_pk_mul_f32 v[24:25], v[46:47], v[30:31] op_sel:[1,0]
	v_xor_b32_e32 v34, 0x80000000, v33
	v_mov_b32_e32 v35, v32
	s_waitcnt lgkmcnt(1)
	v_mul_f32_e64 v44, v23, -v13
	v_fmac_f32_e32 v44, v12, v22
	v_mul_f32_e32 v12, v23, v12
	v_fmac_f32_e32 v12, v13, v22
	v_add_u32_e32 v13, 0x1840, v3
	v_pk_fma_f32 v[28:29], v[28:29], v[46:47], v[24:25] op_sel_hi:[1,0,1]
	ds_read2_b64 v[24:27], v13 offset0:7 offset1:248
	v_pk_mul_f32 v[30:31], v[46:47], v[34:35] op_sel:[1,0]
	v_xor_b32_e32 v42, 0x80000000, v19
	v_pk_fma_f32 v[30:31], v[32:33], v[46:47], v[30:31] op_sel_hi:[1,0,1]
	v_mov_b32_e32 v43, v18
	v_pk_mul_f32 v[32:33], v[30:31], v[40:41] op_sel:[1,0]
	v_add_u32_e32 v13, 0x2000, v3
	v_pk_fma_f32 v[32:33], v[36:37], v[30:31], v[32:33] op_sel_hi:[1,0,1]
	s_waitcnt lgkmcnt(0)
	v_pk_add_f32 v[26:27], v[26:27], v[32:33] neg_lo:[0,1] neg_hi:[0,1]
	ds_write2_b64 v13, v[26:27], v[30:31] offset1:8
	v_pk_mul_f32 v[26:27], v[28:29], v[42:43] op_sel:[1,0]
	v_add_u32_e32 v13, 0x2800, v3
	v_pk_fma_f32 v[18:19], v[18:19], v[28:29], v[26:27] op_sel_hi:[1,0,1]
	s_nop 0
	v_pk_add_f32 v[18:19], v[38:39], v[18:19] neg_lo:[0,1] neg_hi:[0,1]
	ds_write2_b64 v13, v[28:29], v[18:19] offset0:7 offset1:15
	v_pk_add_f32 v[18:19], v[46:47], 0 neg_lo:[1,1] neg_hi:[1,1]
	v_mul_f32_e32 v28, v11, v16
	v_pk_mov_b32 v[26:27], v[46:47], v[18:19] op_sel:[1,0]
	v_pk_mov_b32 v[18:19], v[18:19], v[46:47] op_sel:[1,0]
	v_fmac_f32_e32 v28, v17, v10
	v_pk_mul_f32 v[18:19], v[22:23], v[18:19] op_sel:[1,0]
	v_pk_mul_f32 v[12:13], v[26:27], v[12:13] op_sel_hi:[1,0]
	v_pk_fma_f32 v[18:19], v[46:47], v[22:23], v[18:19] op_sel_hi:[1,0,1]
	v_mul_f32_e64 v22, v11, -v17
	v_fmac_f32_e32 v22, v16, v10
	v_pk_mul_f32 v[26:27], v[26:27], v[28:29] op_sel_hi:[1,0]
	v_xor_b32_e32 v10, 0x80000000, v47
	v_pk_fma_f32 v[22:23], v[46:47], v[22:23], v[26:27] op_sel_hi:[1,0,1] neg_lo:[1,0,0] neg_hi:[1,0,0]
	v_mov_b32_e32 v11, v46
	v_pk_mul_f32 v[26:27], v[22:23], v[20:21] op_sel:[1,1] op_sel_hi:[1,0] neg_lo:[0,1]
	v_pk_mul_f32 v[10:11], v[16:17], v[10:11] op_sel:[1,0]
	v_pk_fma_f32 v[26:27], v[20:21], v[22:23], v[26:27] op_sel_hi:[1,0,1]
	v_pk_fma_f32 v[10:11], v[46:47], v[16:17], v[10:11] op_sel_hi:[1,0,1]
	v_pk_add_f32 v[16:17], v[20:21], 0 neg_lo:[1,1] neg_hi:[1,1]
	v_pk_add_f32 v[8:9], v[8:9], v[26:27] neg_lo:[0,1] neg_hi:[0,1]
	ds_write2_b64 v7, v[8:9], v[22:23] offset1:8
	v_pk_mov_b32 v[8:9], v[20:21], v[16:17] op_sel:[1,0]
	v_pk_fma_f32 v[12:13], v[46:47], v[44:45], v[12:13] op_sel_hi:[1,0,1] neg_lo:[1,0,0] neg_hi:[1,0,0]
	v_pk_mul_f32 v[8:9], v[18:19], v[8:9] op_sel:[1,0]
	s_nop 0
	v_pk_fma_f32 v[8:9], v[20:21], v[18:19], v[8:9] op_sel_hi:[1,0,1] neg_lo:[1,0,0] neg_hi:[1,0,0]
	ds_write2_b64 v3, v[8:9], v[18:19] offset1:8
	v_xor_b32_e32 v8, 0x80000000, v13
	v_mov_b32_e32 v9, v12
	v_pk_mul_f32 v[8:9], v[24:25], v[8:9] op_sel:[1,0]
	s_nop 0
	v_pk_fma_f32 v[8:9], v[12:13], v[24:25], v[8:9] op_sel_hi:[1,0,1]
	s_nop 0
	v_pk_add_f32 v[8:9], v[14:15], v[8:9] neg_lo:[0,1] neg_hi:[0,1]
	ds_write2_b64 v45, v[12:13], v[8:9] offset0:7 offset1:15
	v_pk_add_f32 v[8:9], v[24:25], 0 neg_lo:[1,1] neg_hi:[1,1]
	s_nop 0
	v_pk_mov_b32 v[8:9], v[24:25], v[8:9] op_sel:[1,0]
	s_nop 0
	v_pk_mul_f32 v[8:9], v[10:11], v[8:9] op_sel:[1,0]
	s_nop 0
	v_pk_fma_f32 v[8:9], v[24:25], v[10:11], v[8:9] op_sel_hi:[1,0,1] neg_lo:[1,0,0] neg_hi:[1,0,0]
	ds_write2_b64 v48, v[10:11], v[8:9] offset0:7 offset1:15
.LBB243_20:
	s_or_b64 exec, exec, s[6:7]
	v_cmp_gt_u32_e32 vcc, 8, v0
	s_waitcnt lgkmcnt(0)
	s_barrier
	s_and_saveexec_b64 s[6:7], vcc
	s_cbranch_execz .LBB243_22
; %bb.21:
	v_lshlrev_b32_e32 v3, 8, v0
	v_add_u32_e32 v7, 0x1000, v3
	ds_read2_b64 v[8:11], v7 offset1:16
	v_add_u32_e32 v45, 0x800, v3
	ds_read2_b64 v[12:15], v45 offset0:15 offset1:31
	s_mov_b64 s[8:9], 0x3f800000
	v_add_u32_e32 v48, 0x1800, v3
	s_waitcnt lgkmcnt(1)
	v_xor_b32_e32 v16, 0x80000000, v11
	v_mov_b32_e32 v17, v10
	s_waitcnt lgkmcnt(0)
	v_pk_mul_f32 v[16:17], v[12:13], v[16:17] op_sel:[1,0]
	ds_read_b64 v[36:37], v3
	v_pk_fma_f32 v[16:17], v[10:11], v[12:13], v[16:17] op_sel_hi:[1,0,1]
	s_waitcnt lgkmcnt(0)
	v_xor_b32_e32 v40, 0x80000000, v37
	v_pk_add_f32 v[24:25], v[16:17], s[8:9] neg_lo:[1,0] neg_hi:[1,0]
	v_mov_b32_e32 v41, v36
	v_mul_f32_e32 v20, v25, v25
	v_fmac_f32_e32 v20, v24, v24
	v_div_scale_f32 v16, s[8:9], v20, v20, 1.0
	v_rcp_f32_e32 v21, v16
	v_fma_f32 v27, v24, 0, -v25
	v_fmac_f32_e32 v24, 0, v25
	v_mov_b32_e32 v25, v27
	v_fma_f32 v17, -v16, v21, 1.0
	v_fmac_f32_e32 v21, v17, v21
	v_div_scale_f32 v17, vcc, 1.0, v20, 1.0
	v_mul_f32_e32 v22, v17, v21
	v_fma_f32 v18, -v16, v22, v17
	v_fmac_f32_e32 v22, v18, v21
	v_fma_f32 v23, -v16, v22, v17
	v_add_u32_e32 v16, 0x2080, v3
	ds_read2_b64 v[16:19], v16 offset1:255
	v_div_fmas_f32 v21, v23, v21, v22
	v_div_fixup_f32 v26, v21, v20, 1.0
	v_pk_mul_f32 v[46:47], v[24:25], v[26:27] op_sel_hi:[1,0]
	s_waitcnt lgkmcnt(0)
	v_pk_mul_f32 v[20:21], v[16:17], v[12:13] op_sel:[1,1] op_sel_hi:[1,0] neg_lo:[0,1]
	s_nop 0
	v_pk_fma_f32 v[20:21], v[12:13], v[16:17], v[20:21] op_sel_hi:[1,0,1]
	s_nop 0
	v_pk_add_f32 v[28:29], v[18:19], v[20:21] neg_lo:[0,1] neg_hi:[0,1]
	v_pk_mul_f32 v[20:21], v[10:11], v[18:19] op_sel:[1,1] op_sel_hi:[1,0] neg_lo:[0,1]
	v_xor_b32_e32 v30, 0x80000000, v29
	v_pk_fma_f32 v[18:19], v[18:19], v[10:11], v[20:21] op_sel_hi:[1,0,1]
	v_mov_b32_e32 v31, v28
	v_pk_add_f32 v[32:33], v[16:17], v[18:19] neg_lo:[0,1] neg_hi:[0,1]
	ds_read2_b64 v[16:19], v48 offset0:15 offset1:31
	ds_read2_b64 v[20:23], v3 offset1:16
	ds_read_b64 v[38:39], v3 offset:10488
	v_pk_mul_f32 v[24:25], v[46:47], v[30:31] op_sel:[1,0]
	v_xor_b32_e32 v34, 0x80000000, v33
	v_mov_b32_e32 v35, v32
	s_waitcnt lgkmcnt(1)
	v_mul_f32_e64 v44, v23, -v13
	v_fmac_f32_e32 v44, v12, v22
	v_mul_f32_e32 v12, v23, v12
	v_fmac_f32_e32 v12, v13, v22
	v_add_u32_e32 v13, 0x1880, v3
	v_pk_fma_f32 v[28:29], v[28:29], v[46:47], v[24:25] op_sel_hi:[1,0,1]
	ds_read2_b64 v[24:27], v13 offset0:15 offset1:240
	v_pk_mul_f32 v[30:31], v[46:47], v[34:35] op_sel:[1,0]
	v_xor_b32_e32 v42, 0x80000000, v19
	v_pk_fma_f32 v[30:31], v[32:33], v[46:47], v[30:31] op_sel_hi:[1,0,1]
	v_mov_b32_e32 v43, v18
	v_pk_mul_f32 v[32:33], v[30:31], v[40:41] op_sel:[1,0]
	v_add_u32_e32 v13, 0x2000, v3
	v_pk_fma_f32 v[32:33], v[36:37], v[30:31], v[32:33] op_sel_hi:[1,0,1]
	s_waitcnt lgkmcnt(0)
	v_pk_add_f32 v[26:27], v[26:27], v[32:33] neg_lo:[0,1] neg_hi:[0,1]
	ds_write2_b64 v13, v[26:27], v[30:31] offset1:16
	v_pk_mul_f32 v[26:27], v[28:29], v[42:43] op_sel:[1,0]
	v_add_u32_e32 v13, 0x2800, v3
	v_pk_fma_f32 v[18:19], v[18:19], v[28:29], v[26:27] op_sel_hi:[1,0,1]
	s_nop 0
	v_pk_add_f32 v[18:19], v[38:39], v[18:19] neg_lo:[0,1] neg_hi:[0,1]
	ds_write2_b64 v13, v[28:29], v[18:19] offset0:15 offset1:31
	v_pk_add_f32 v[18:19], v[46:47], 0 neg_lo:[1,1] neg_hi:[1,1]
	v_mul_f32_e32 v28, v11, v16
	v_pk_mov_b32 v[26:27], v[46:47], v[18:19] op_sel:[1,0]
	v_pk_mov_b32 v[18:19], v[18:19], v[46:47] op_sel:[1,0]
	v_fmac_f32_e32 v28, v17, v10
	v_pk_mul_f32 v[18:19], v[22:23], v[18:19] op_sel:[1,0]
	v_pk_mul_f32 v[12:13], v[26:27], v[12:13] op_sel_hi:[1,0]
	v_pk_fma_f32 v[18:19], v[46:47], v[22:23], v[18:19] op_sel_hi:[1,0,1]
	v_mul_f32_e64 v22, v11, -v17
	v_fmac_f32_e32 v22, v16, v10
	v_pk_mul_f32 v[26:27], v[26:27], v[28:29] op_sel_hi:[1,0]
	v_xor_b32_e32 v10, 0x80000000, v47
	v_pk_fma_f32 v[22:23], v[46:47], v[22:23], v[26:27] op_sel_hi:[1,0,1] neg_lo:[1,0,0] neg_hi:[1,0,0]
	v_mov_b32_e32 v11, v46
	v_pk_mul_f32 v[26:27], v[22:23], v[20:21] op_sel:[1,1] op_sel_hi:[1,0] neg_lo:[0,1]
	v_pk_mul_f32 v[10:11], v[16:17], v[10:11] op_sel:[1,0]
	v_pk_fma_f32 v[26:27], v[20:21], v[22:23], v[26:27] op_sel_hi:[1,0,1]
	v_pk_fma_f32 v[10:11], v[46:47], v[16:17], v[10:11] op_sel_hi:[1,0,1]
	v_pk_add_f32 v[16:17], v[20:21], 0 neg_lo:[1,1] neg_hi:[1,1]
	v_pk_add_f32 v[8:9], v[8:9], v[26:27] neg_lo:[0,1] neg_hi:[0,1]
	ds_write2_b64 v7, v[8:9], v[22:23] offset1:16
	v_pk_mov_b32 v[8:9], v[20:21], v[16:17] op_sel:[1,0]
	v_pk_fma_f32 v[12:13], v[46:47], v[44:45], v[12:13] op_sel_hi:[1,0,1] neg_lo:[1,0,0] neg_hi:[1,0,0]
	v_pk_mul_f32 v[8:9], v[18:19], v[8:9] op_sel:[1,0]
	s_nop 0
	v_pk_fma_f32 v[8:9], v[20:21], v[18:19], v[8:9] op_sel_hi:[1,0,1] neg_lo:[1,0,0] neg_hi:[1,0,0]
	ds_write2_b64 v3, v[8:9], v[18:19] offset1:16
	v_xor_b32_e32 v8, 0x80000000, v13
	v_mov_b32_e32 v9, v12
	v_pk_mul_f32 v[8:9], v[24:25], v[8:9] op_sel:[1,0]
	s_nop 0
	v_pk_fma_f32 v[8:9], v[12:13], v[24:25], v[8:9] op_sel_hi:[1,0,1]
	s_nop 0
	v_pk_add_f32 v[8:9], v[14:15], v[8:9] neg_lo:[0,1] neg_hi:[0,1]
	ds_write2_b64 v45, v[12:13], v[8:9] offset0:15 offset1:31
	v_pk_add_f32 v[8:9], v[24:25], 0 neg_lo:[1,1] neg_hi:[1,1]
	s_nop 0
	v_pk_mov_b32 v[8:9], v[24:25], v[8:9] op_sel:[1,0]
	s_nop 0
	v_pk_mul_f32 v[8:9], v[10:11], v[8:9] op_sel:[1,0]
	s_nop 0
	v_pk_fma_f32 v[8:9], v[24:25], v[10:11], v[8:9] op_sel_hi:[1,0,1] neg_lo:[1,0,0] neg_hi:[1,0,0]
	ds_write2_b64 v48, v[10:11], v[8:9] offset0:15 offset1:31
.LBB243_22:
	s_or_b64 exec, exec, s[6:7]
	v_cmp_gt_u32_e32 vcc, 4, v0
	s_waitcnt lgkmcnt(0)
	s_barrier
	s_and_saveexec_b64 s[6:7], vcc
	s_cbranch_execz .LBB243_24
; %bb.23:
	v_lshlrev_b32_e32 v3, 9, v0
	v_add_u32_e32 v7, 0x1000, v3
	ds_read2_b64 v[8:11], v7 offset1:32
	v_add_u32_e32 v45, 0x800, v3
	ds_read2_b64 v[12:15], v45 offset0:31 offset1:63
	s_mov_b64 s[8:9], 0x3f800000
	v_add_u32_e32 v48, 0x1800, v3
	s_waitcnt lgkmcnt(1)
	v_xor_b32_e32 v16, 0x80000000, v11
	v_mov_b32_e32 v17, v10
	s_waitcnt lgkmcnt(0)
	v_pk_mul_f32 v[16:17], v[12:13], v[16:17] op_sel:[1,0]
	ds_read_b64 v[36:37], v3
	v_pk_fma_f32 v[16:17], v[10:11], v[12:13], v[16:17] op_sel_hi:[1,0,1]
	s_waitcnt lgkmcnt(0)
	v_xor_b32_e32 v40, 0x80000000, v37
	v_pk_add_f32 v[24:25], v[16:17], s[8:9] neg_lo:[1,0] neg_hi:[1,0]
	v_mov_b32_e32 v41, v36
	v_mul_f32_e32 v20, v25, v25
	v_fmac_f32_e32 v20, v24, v24
	v_div_scale_f32 v16, s[8:9], v20, v20, 1.0
	v_rcp_f32_e32 v21, v16
	v_fma_f32 v27, v24, 0, -v25
	v_fmac_f32_e32 v24, 0, v25
	v_mov_b32_e32 v25, v27
	v_fma_f32 v17, -v16, v21, 1.0
	v_fmac_f32_e32 v21, v17, v21
	v_div_scale_f32 v17, vcc, 1.0, v20, 1.0
	v_mul_f32_e32 v22, v17, v21
	v_fma_f32 v18, -v16, v22, v17
	v_fmac_f32_e32 v22, v18, v21
	v_fma_f32 v23, -v16, v22, v17
	v_add_u32_e32 v16, 0x2100, v3
	ds_read2_b64 v[16:19], v16 offset1:255
	v_div_fmas_f32 v21, v23, v21, v22
	v_div_fixup_f32 v26, v21, v20, 1.0
	v_pk_mul_f32 v[46:47], v[24:25], v[26:27] op_sel_hi:[1,0]
	s_waitcnt lgkmcnt(0)
	v_pk_mul_f32 v[20:21], v[16:17], v[12:13] op_sel:[1,1] op_sel_hi:[1,0] neg_lo:[0,1]
	s_nop 0
	v_pk_fma_f32 v[20:21], v[12:13], v[16:17], v[20:21] op_sel_hi:[1,0,1]
	s_nop 0
	v_pk_add_f32 v[28:29], v[18:19], v[20:21] neg_lo:[0,1] neg_hi:[0,1]
	v_pk_mul_f32 v[20:21], v[10:11], v[18:19] op_sel:[1,1] op_sel_hi:[1,0] neg_lo:[0,1]
	v_xor_b32_e32 v30, 0x80000000, v29
	v_pk_fma_f32 v[18:19], v[18:19], v[10:11], v[20:21] op_sel_hi:[1,0,1]
	v_mov_b32_e32 v31, v28
	v_pk_add_f32 v[32:33], v[16:17], v[18:19] neg_lo:[0,1] neg_hi:[0,1]
	ds_read2_b64 v[16:19], v48 offset0:31 offset1:63
	ds_read2_b64 v[20:23], v3 offset1:32
	ds_read_b64 v[38:39], v3 offset:10744
	v_pk_mul_f32 v[24:25], v[46:47], v[30:31] op_sel:[1,0]
	v_xor_b32_e32 v34, 0x80000000, v33
	v_mov_b32_e32 v35, v32
	s_waitcnt lgkmcnt(1)
	v_mul_f32_e64 v44, v23, -v13
	v_fmac_f32_e32 v44, v12, v22
	v_mul_f32_e32 v12, v23, v12
	v_fmac_f32_e32 v12, v13, v22
	v_add_u32_e32 v13, 0x1900, v3
	v_pk_fma_f32 v[28:29], v[28:29], v[46:47], v[24:25] op_sel_hi:[1,0,1]
	ds_read2_b64 v[24:27], v13 offset0:31 offset1:224
	v_pk_mul_f32 v[30:31], v[46:47], v[34:35] op_sel:[1,0]
	v_xor_b32_e32 v42, 0x80000000, v19
	v_pk_fma_f32 v[30:31], v[32:33], v[46:47], v[30:31] op_sel_hi:[1,0,1]
	v_mov_b32_e32 v43, v18
	v_pk_mul_f32 v[32:33], v[30:31], v[40:41] op_sel:[1,0]
	v_add_u32_e32 v13, 0x2000, v3
	v_pk_fma_f32 v[32:33], v[36:37], v[30:31], v[32:33] op_sel_hi:[1,0,1]
	s_waitcnt lgkmcnt(0)
	v_pk_add_f32 v[26:27], v[26:27], v[32:33] neg_lo:[0,1] neg_hi:[0,1]
	ds_write2_b64 v13, v[26:27], v[30:31] offset1:32
	v_pk_mul_f32 v[26:27], v[28:29], v[42:43] op_sel:[1,0]
	v_add_u32_e32 v13, 0x2800, v3
	v_pk_fma_f32 v[18:19], v[18:19], v[28:29], v[26:27] op_sel_hi:[1,0,1]
	s_nop 0
	v_pk_add_f32 v[18:19], v[38:39], v[18:19] neg_lo:[0,1] neg_hi:[0,1]
	ds_write2_b64 v13, v[28:29], v[18:19] offset0:31 offset1:63
	v_pk_add_f32 v[18:19], v[46:47], 0 neg_lo:[1,1] neg_hi:[1,1]
	v_mul_f32_e32 v28, v11, v16
	v_pk_mov_b32 v[26:27], v[46:47], v[18:19] op_sel:[1,0]
	v_pk_mov_b32 v[18:19], v[18:19], v[46:47] op_sel:[1,0]
	v_fmac_f32_e32 v28, v17, v10
	v_pk_mul_f32 v[18:19], v[22:23], v[18:19] op_sel:[1,0]
	v_pk_mul_f32 v[12:13], v[26:27], v[12:13] op_sel_hi:[1,0]
	v_pk_fma_f32 v[18:19], v[46:47], v[22:23], v[18:19] op_sel_hi:[1,0,1]
	v_mul_f32_e64 v22, v11, -v17
	v_fmac_f32_e32 v22, v16, v10
	v_pk_mul_f32 v[26:27], v[26:27], v[28:29] op_sel_hi:[1,0]
	v_xor_b32_e32 v10, 0x80000000, v47
	v_pk_fma_f32 v[22:23], v[46:47], v[22:23], v[26:27] op_sel_hi:[1,0,1] neg_lo:[1,0,0] neg_hi:[1,0,0]
	v_mov_b32_e32 v11, v46
	v_pk_mul_f32 v[26:27], v[22:23], v[20:21] op_sel:[1,1] op_sel_hi:[1,0] neg_lo:[0,1]
	v_pk_mul_f32 v[10:11], v[16:17], v[10:11] op_sel:[1,0]
	v_pk_fma_f32 v[26:27], v[20:21], v[22:23], v[26:27] op_sel_hi:[1,0,1]
	v_pk_fma_f32 v[10:11], v[46:47], v[16:17], v[10:11] op_sel_hi:[1,0,1]
	v_pk_add_f32 v[16:17], v[20:21], 0 neg_lo:[1,1] neg_hi:[1,1]
	v_pk_add_f32 v[8:9], v[8:9], v[26:27] neg_lo:[0,1] neg_hi:[0,1]
	ds_write2_b64 v7, v[8:9], v[22:23] offset1:32
	v_pk_mov_b32 v[8:9], v[20:21], v[16:17] op_sel:[1,0]
	v_pk_fma_f32 v[12:13], v[46:47], v[44:45], v[12:13] op_sel_hi:[1,0,1] neg_lo:[1,0,0] neg_hi:[1,0,0]
	v_pk_mul_f32 v[8:9], v[18:19], v[8:9] op_sel:[1,0]
	s_nop 0
	v_pk_fma_f32 v[8:9], v[20:21], v[18:19], v[8:9] op_sel_hi:[1,0,1] neg_lo:[1,0,0] neg_hi:[1,0,0]
	ds_write2_b64 v3, v[8:9], v[18:19] offset1:32
	v_xor_b32_e32 v8, 0x80000000, v13
	v_mov_b32_e32 v9, v12
	v_pk_mul_f32 v[8:9], v[24:25], v[8:9] op_sel:[1,0]
	s_nop 0
	v_pk_fma_f32 v[8:9], v[12:13], v[24:25], v[8:9] op_sel_hi:[1,0,1]
	s_nop 0
	v_pk_add_f32 v[8:9], v[14:15], v[8:9] neg_lo:[0,1] neg_hi:[0,1]
	ds_write2_b64 v45, v[12:13], v[8:9] offset0:31 offset1:63
	v_pk_add_f32 v[8:9], v[24:25], 0 neg_lo:[1,1] neg_hi:[1,1]
	s_nop 0
	v_pk_mov_b32 v[8:9], v[24:25], v[8:9] op_sel:[1,0]
	s_nop 0
	v_pk_mul_f32 v[8:9], v[10:11], v[8:9] op_sel:[1,0]
	s_nop 0
	v_pk_fma_f32 v[8:9], v[24:25], v[10:11], v[8:9] op_sel_hi:[1,0,1] neg_lo:[1,0,0] neg_hi:[1,0,0]
	ds_write2_b64 v48, v[10:11], v[8:9] offset0:31 offset1:63
.LBB243_24:
	s_or_b64 exec, exec, s[6:7]
	v_cmp_gt_u32_e32 vcc, 2, v0
	s_waitcnt lgkmcnt(0)
	s_barrier
	s_and_saveexec_b64 s[6:7], vcc
	s_cbranch_execz .LBB243_26
; %bb.25:
	v_lshlrev_b32_e32 v3, 10, v0
	ds_read2st64_b64 v[8:11], v3 offset0:8 offset1:9
	v_add_u32_e32 v7, 0x1f8, v3
	ds_read2st64_b64 v[12:15], v7 offset0:4 offset1:5
	ds_read_b64 v[28:29], v3 offset:11256
	s_mov_b64 s[8:9], 0x3f800000
	ds_read2st64_b64 v[16:19], v7 offset0:12 offset1:13
	s_waitcnt lgkmcnt(3)
	v_xor_b32_e32 v20, 0x80000000, v11
	v_mov_b32_e32 v21, v10
	s_waitcnt lgkmcnt(2)
	v_pk_mul_f32 v[20:21], v[12:13], v[20:21] op_sel:[1,0]
	s_waitcnt lgkmcnt(0)
	v_xor_b32_e32 v42, 0x80000000, v19
	v_pk_fma_f32 v[20:21], v[10:11], v[12:13], v[20:21] op_sel_hi:[1,0,1]
	v_mov_b32_e32 v43, v18
	v_pk_add_f32 v[24:25], v[20:21], s[8:9] neg_lo:[1,0] neg_hi:[1,0]
	s_nop 0
	v_mul_f32_e32 v26, v25, v25
	v_fmac_f32_e32 v26, v24, v24
	v_div_scale_f32 v20, s[8:9], v26, v26, 1.0
	v_rcp_f32_e32 v27, v20
	s_nop 0
	v_fma_f32 v21, -v20, v27, 1.0
	v_fmac_f32_e32 v27, v21, v27
	v_div_scale_f32 v21, vcc, 1.0, v26, 1.0
	v_mul_f32_e32 v30, v21, v27
	v_fma_f32 v22, -v20, v30, v21
	v_fmac_f32_e32 v30, v22, v27
	v_fma_f32 v31, -v20, v30, v21
	v_add_u32_e32 v20, 0x2200, v3
	ds_read2_b64 v[20:23], v20 offset1:255
	v_div_fmas_f32 v27, v31, v27, v30
	v_div_fixup_f32 v26, v27, v26, 1.0
	v_fma_f32 v27, v24, 0, -v25
	v_fmac_f32_e32 v24, 0, v25
	s_waitcnt lgkmcnt(0)
	v_pk_mul_f32 v[30:31], v[20:21], v[12:13] op_sel:[1,1] op_sel_hi:[1,0] neg_lo:[0,1]
	v_pk_mul_f32 v[34:35], v[10:11], v[22:23] op_sel:[1,1] op_sel_hi:[1,0] neg_lo:[0,1]
	v_pk_fma_f32 v[30:31], v[12:13], v[20:21], v[30:31] op_sel_hi:[1,0,1]
	v_mov_b32_e32 v25, v27
	v_pk_add_f32 v[30:31], v[22:23], v[30:31] neg_lo:[0,1] neg_hi:[0,1]
	v_pk_fma_f32 v[22:23], v[22:23], v[10:11], v[34:35] op_sel_hi:[1,0,1]
	ds_read_b64 v[34:35], v3
	v_pk_add_f32 v[36:37], v[20:21], v[22:23] neg_lo:[0,1] neg_hi:[0,1]
	ds_read2st64_b64 v[20:23], v3 offset1:1
	v_xor_b32_e32 v32, 0x80000000, v31
	v_mov_b32_e32 v33, v30
	v_pk_mul_f32 v[46:47], v[24:25], v[26:27] op_sel_hi:[1,0]
	v_xor_b32_e32 v38, 0x80000000, v37
	s_waitcnt lgkmcnt(0)
	v_mul_f32_e64 v44, v23, -v13
	v_fmac_f32_e32 v44, v12, v22
	v_mul_f32_e32 v12, v23, v12
	v_fmac_f32_e32 v12, v13, v22
	v_pk_mul_f32 v[24:25], v[46:47], v[32:33] op_sel:[1,0]
	v_add_u32_e32 v13, 0x1a00, v3
	v_mov_b32_e32 v39, v36
	v_pk_fma_f32 v[30:31], v[30:31], v[46:47], v[24:25] op_sel_hi:[1,0,1]
	ds_read2_b64 v[24:27], v13 offset0:63 offset1:192
	v_pk_mul_f32 v[32:33], v[46:47], v[38:39] op_sel:[1,0]
	v_xor_b32_e32 v40, 0x80000000, v35
	v_mov_b32_e32 v41, v34
	v_pk_fma_f32 v[32:33], v[36:37], v[46:47], v[32:33] op_sel_hi:[1,0,1]
	s_nop 0
	v_pk_mul_f32 v[36:37], v[32:33], v[40:41] op_sel:[1,0]
	s_nop 0
	v_pk_fma_f32 v[34:35], v[34:35], v[32:33], v[36:37] op_sel_hi:[1,0,1]
	s_waitcnt lgkmcnt(0)
	v_pk_add_f32 v[26:27], v[26:27], v[34:35] neg_lo:[0,1] neg_hi:[0,1]
	ds_write2st64_b64 v3, v[26:27], v[32:33] offset0:16 offset1:17
	v_pk_mul_f32 v[26:27], v[30:31], v[42:43] op_sel:[1,0]
	s_nop 0
	v_pk_fma_f32 v[18:19], v[18:19], v[30:31], v[26:27] op_sel_hi:[1,0,1]
	s_nop 0
	v_pk_add_f32 v[18:19], v[28:29], v[18:19] neg_lo:[0,1] neg_hi:[0,1]
	ds_write2st64_b64 v7, v[30:31], v[18:19] offset0:20 offset1:21
	v_pk_add_f32 v[18:19], v[46:47], 0 neg_lo:[1,1] neg_hi:[1,1]
	v_mul_f32_e32 v28, v11, v16
	v_pk_mov_b32 v[26:27], v[46:47], v[18:19] op_sel:[1,0]
	v_pk_mov_b32 v[18:19], v[18:19], v[46:47] op_sel:[1,0]
	v_fmac_f32_e32 v28, v17, v10
	v_pk_mul_f32 v[18:19], v[22:23], v[18:19] op_sel:[1,0]
	v_pk_mul_f32 v[12:13], v[26:27], v[12:13] op_sel_hi:[1,0]
	v_pk_fma_f32 v[18:19], v[46:47], v[22:23], v[18:19] op_sel_hi:[1,0,1]
	v_mul_f32_e64 v22, v11, -v17
	v_fmac_f32_e32 v22, v16, v10
	v_pk_mul_f32 v[26:27], v[26:27], v[28:29] op_sel_hi:[1,0]
	v_xor_b32_e32 v10, 0x80000000, v47
	v_pk_fma_f32 v[22:23], v[46:47], v[22:23], v[26:27] op_sel_hi:[1,0,1] neg_lo:[1,0,0] neg_hi:[1,0,0]
	v_mov_b32_e32 v11, v46
	v_pk_mul_f32 v[26:27], v[22:23], v[20:21] op_sel:[1,1] op_sel_hi:[1,0] neg_lo:[0,1]
	v_pk_mul_f32 v[10:11], v[16:17], v[10:11] op_sel:[1,0]
	v_pk_fma_f32 v[26:27], v[20:21], v[22:23], v[26:27] op_sel_hi:[1,0,1]
	v_pk_fma_f32 v[10:11], v[46:47], v[16:17], v[10:11] op_sel_hi:[1,0,1]
	v_pk_add_f32 v[16:17], v[20:21], 0 neg_lo:[1,1] neg_hi:[1,1]
	v_pk_add_f32 v[8:9], v[8:9], v[26:27] neg_lo:[0,1] neg_hi:[0,1]
	ds_write2st64_b64 v3, v[8:9], v[22:23] offset0:8 offset1:9
	v_pk_mov_b32 v[8:9], v[20:21], v[16:17] op_sel:[1,0]
	v_pk_fma_f32 v[12:13], v[46:47], v[44:45], v[12:13] op_sel_hi:[1,0,1] neg_lo:[1,0,0] neg_hi:[1,0,0]
	v_pk_mul_f32 v[8:9], v[18:19], v[8:9] op_sel:[1,0]
	s_nop 0
	v_pk_fma_f32 v[8:9], v[20:21], v[18:19], v[8:9] op_sel_hi:[1,0,1] neg_lo:[1,0,0] neg_hi:[1,0,0]
	ds_write2st64_b64 v3, v[8:9], v[18:19] offset1:1
	v_xor_b32_e32 v8, 0x80000000, v13
	v_mov_b32_e32 v9, v12
	v_pk_mul_f32 v[8:9], v[24:25], v[8:9] op_sel:[1,0]
	s_nop 0
	v_pk_fma_f32 v[8:9], v[12:13], v[24:25], v[8:9] op_sel_hi:[1,0,1]
	s_nop 0
	v_pk_add_f32 v[8:9], v[14:15], v[8:9] neg_lo:[0,1] neg_hi:[0,1]
	ds_write2st64_b64 v7, v[12:13], v[8:9] offset0:4 offset1:5
	v_pk_add_f32 v[8:9], v[24:25], 0 neg_lo:[1,1] neg_hi:[1,1]
	s_nop 0
	v_pk_mov_b32 v[8:9], v[24:25], v[8:9] op_sel:[1,0]
	s_nop 0
	v_pk_mul_f32 v[8:9], v[10:11], v[8:9] op_sel:[1,0]
	s_nop 0
	v_pk_fma_f32 v[8:9], v[24:25], v[10:11], v[8:9] op_sel_hi:[1,0,1] neg_lo:[1,0,0] neg_hi:[1,0,0]
	ds_write2st64_b64 v7, v[10:11], v[8:9] offset0:12 offset1:13
.LBB243_26:
	s_or_b64 exec, exec, s[6:7]
	s_mov_b32 s11, 0
	v_cmp_eq_u32_e64 s[6:7], 0, v0
	s_waitcnt lgkmcnt(0)
	s_barrier
	s_and_saveexec_b64 s[8:9], s[6:7]
	s_cbranch_execz .LBB243_28
; %bb.27:
	v_mov_b32_e32 v3, 0
	s_movk_i32 s10, 0x1f8
	ds_read2st64_b64 v[8:11], v3 offset0:8 offset1:10
	v_add_u32_e64 v7, s10, 0
	ds_read2st64_b64 v[12:15], v7 offset0:5 offset1:7
	s_mov_b32 s10, 1.0
	s_waitcnt lgkmcnt(1)
	v_xor_b32_e32 v16, 0x80000000, v11
	v_mov_b32_e32 v17, v10
	s_waitcnt lgkmcnt(0)
	v_pk_mul_f32 v[16:17], v[12:13], v[16:17] op_sel:[1,0]
	s_nop 0
	v_pk_fma_f32 v[16:17], v[10:11], v[12:13], v[16:17] op_sel_hi:[1,0,1]
	s_nop 0
	v_pk_add_f32 v[26:27], v[16:17], s[10:11] neg_lo:[1,0] neg_hi:[1,0]
	s_nop 0
	v_mul_f32_e32 v0, v27, v27
	v_fmac_f32_e32 v0, v26, v26
	v_div_scale_f32 v16, s[10:11], v0, v0, 1.0
	v_rcp_f32_e32 v20, v16
	s_movk_i32 s10, 0x2400
	v_add_u32_e64 v39, s10, 0
	v_fma_f32 v40, v26, 0, -v27
	v_fma_f32 v17, -v16, v20, 1.0
	v_fmac_f32_e32 v20, v17, v20
	v_div_scale_f32 v17, vcc, 1.0, v0, 1.0
	v_mul_f32_e32 v21, v17, v20
	v_fma_f32 v18, -v16, v21, v17
	v_fmac_f32_e32 v21, v18, v20
	v_fma_f32 v22, -v16, v21, v17
	ds_read2_b64 v[16:19], v39 offset1:255
	v_div_fmas_f32 v20, v22, v20, v21
	v_div_fixup_f32 v0, v20, v0, 1.0
	v_fmac_f32_e32 v26, 0, v27
	v_mov_b32_e32 v27, v40
	s_waitcnt lgkmcnt(0)
	v_pk_mul_f32 v[20:21], v[16:17], v[12:13] op_sel:[1,1] op_sel_hi:[1,0] neg_lo:[0,1]
	v_pk_mul_f32 v[40:41], v[26:27], v[0:1] op_sel_hi:[1,0]
	v_pk_fma_f32 v[20:21], v[12:13], v[16:17], v[20:21] op_sel_hi:[1,0,1]
	s_movk_i32 s10, 0x1400
	v_pk_add_f32 v[28:29], v[18:19], v[20:21] neg_lo:[0,1] neg_hi:[0,1]
	v_pk_mul_f32 v[20:21], v[10:11], v[18:19] op_sel:[1,1] op_sel_hi:[1,0] neg_lo:[0,1]
	v_xor_b32_e32 v30, 0x80000000, v29
	v_pk_fma_f32 v[22:23], v[18:19], v[10:11], v[20:21] op_sel_hi:[1,0,1]
	ds_read2st64_b64 v[18:21], v3 offset1:2
	v_mov_b32_e32 v31, v28
	v_pk_add_f32 v[16:17], v[16:17], v[22:23] neg_lo:[0,1] neg_hi:[0,1]
	v_pk_mul_f32 v[26:27], v[40:41], v[30:31] op_sel:[1,0]
	v_xor_b32_e32 v32, 0x80000000, v17
	v_mov_b32_e32 v33, v16
	ds_read2st64_b64 v[22:25], v7 offset0:13 offset1:15
	v_pk_fma_f32 v[30:31], v[28:29], v[40:41], v[26:27] op_sel_hi:[1,0,1]
	v_pk_mul_f32 v[26:27], v[40:41], v[32:33] op_sel:[1,0]
	v_mov_b32_e32 v7, 0x1ff8
	v_pk_fma_f32 v[16:17], v[16:17], v[40:41], v[26:27] op_sel_hi:[1,0,1]
	ds_read2_b64 v[26:29], v7 offset1:1
	s_waitcnt lgkmcnt(2)
	v_xor_b32_e32 v34, 0x80000000, v19
	v_mov_b32_e32 v35, v18
	v_pk_mul_f32 v[32:33], v[16:17], v[34:35] op_sel:[1,0]
	ds_read_b64 v[34:35], v3 offset:12280
	s_waitcnt lgkmcnt(2)
	v_xor_b32_e32 v36, 0x80000000, v25
	v_mov_b32_e32 v37, v24
	ds_write2_b64 v39, v[16:17], v[30:31] offset1:255
	v_pk_fma_f32 v[16:17], v[18:19], v[16:17], v[32:33] op_sel_hi:[1,0,1]
	v_mul_f32_e64 v38, v21, -v13
	s_waitcnt lgkmcnt(2)
	v_pk_add_f32 v[16:17], v[28:29], v[16:17] neg_lo:[0,1] neg_hi:[0,1]
	v_pk_mul_f32 v[28:29], v[30:31], v[36:37] op_sel:[1,0]
	v_fmac_f32_e32 v38, v12, v20
	v_pk_fma_f32 v[24:25], v[24:25], v[30:31], v[28:29] op_sel_hi:[1,0,1]
	v_mul_f32_e32 v12, v21, v12
	s_waitcnt lgkmcnt(1)
	v_pk_add_f32 v[24:25], v[34:35], v[24:25] neg_lo:[0,1] neg_hi:[0,1]
	ds_write_b64 v3, v[24:25] offset:12280
	v_xor_b32_e32 v24, 0x80000000, v41
	v_mov_b32_e32 v25, v40
	v_pk_mul_f32 v[30:31], v[20:21], v[24:25] op_sel:[1,0]
	v_fmac_f32_e32 v12, v13, v20
	v_pk_fma_f32 v[20:21], v[40:41], v[20:21], v[30:31] op_sel_hi:[1,0,1]
	v_mul_f32_e32 v30, v11, v22
	v_xor_b32_e32 v29, 0x80000000, v40
	v_mov_b32_e32 v28, v41
	v_mul_f32_e64 v0, v11, -v23
	v_fmac_f32_e32 v30, v23, v10
	v_fmac_f32_e32 v0, v22, v10
	v_pk_mul_f32 v[10:11], v[28:29], v[30:31] op_sel_hi:[1,0]
	v_pk_mul_f32 v[24:25], v[22:23], v[24:25] op_sel:[1,0]
	v_pk_fma_f32 v[10:11], v[40:41], v[0:1], v[10:11] op_sel_hi:[1,0,1] neg_lo:[1,0,0] neg_hi:[1,0,0]
	v_pk_mul_f32 v[12:13], v[28:29], v[12:13] op_sel_hi:[1,0]
	v_pk_fma_f32 v[22:23], v[40:41], v[22:23], v[24:25] op_sel_hi:[1,0,1]
	v_add_u32_e64 v0, s10, 0
	v_pk_mul_f32 v[28:29], v[10:11], v[18:19] op_sel:[1,1] op_sel_hi:[1,0] neg_lo:[0,1]
	ds_write2_b64 v0, v[10:11], v[22:23] offset1:255
	v_xor_b32_e32 v25, 0x80000000, v18
	v_pk_fma_f32 v[10:11], v[18:19], v[10:11], v[28:29] op_sel_hi:[1,0,1]
	v_mov_b32_e32 v24, v19
	v_pk_add_f32 v[8:9], v[8:9], v[10:11] neg_lo:[0,1] neg_hi:[0,1]
	v_pk_mul_f32 v[10:11], v[20:21], v[24:25] op_sel:[1,0]
	v_pk_fma_f32 v[12:13], v[40:41], v[38:39], v[12:13] op_sel_hi:[1,0,1] neg_lo:[1,0,0] neg_hi:[1,0,0]
	v_pk_fma_f32 v[10:11], v[18:19], v[20:21], v[10:11] op_sel_hi:[1,0,1] neg_lo:[1,0,0] neg_hi:[1,0,0]
	ds_write2st64_b64 v3, v[10:11], v[20:21] offset1:2
	v_xor_b32_e32 v10, 0x80000000, v13
	v_mov_b32_e32 v11, v12
	v_pk_mul_f32 v[10:11], v[26:27], v[10:11] op_sel:[1,0]
	v_mov_b32_e32 v0, 0xff8
	v_pk_fma_f32 v[10:11], v[12:13], v[26:27], v[10:11] op_sel_hi:[1,0,1]
	ds_write_b64 v3, v[12:13] offset:3064
	v_pk_add_f32 v[10:11], v[14:15], v[10:11] neg_lo:[0,1] neg_hi:[0,1]
	ds_write2_b64 v0, v[10:11], v[8:9] offset1:1
	v_xor_b32_e32 v9, 0x80000000, v26
	v_mov_b32_e32 v8, v27
	v_pk_mul_f32 v[8:9], v[22:23], v[8:9] op_sel:[1,0]
	s_nop 0
	v_pk_fma_f32 v[8:9], v[26:27], v[22:23], v[8:9] op_sel_hi:[1,0,1] neg_lo:[1,0,0] neg_hi:[1,0,0]
	ds_write2_b64 v7, v[8:9], v[16:17] offset1:1
.LBB243_28:
	s_or_b64 exec, exec, s[8:9]
	s_load_dwordx2 s[14:15], s[0:1], 0x48
	s_load_dwordx4 s[8:11], s[0:1], 0x38
	s_waitcnt lgkmcnt(0)
	s_barrier
	s_and_saveexec_b64 s[16:17], s[4:5]
	s_cbranch_execnz .LBB243_31
; %bb.29:
	s_or_b64 exec, exec, s[16:17]
	s_and_saveexec_b64 s[4:5], s[6:7]
	s_cbranch_execnz .LBB243_35
.LBB243_30:
	s_endpgm
.LBB243_31:
	s_cmp_eq_u32 s3, 0
	s_cbranch_scc1 .LBB243_39
; %bb.32:
	s_mul_i32 s18, s18, 63
	s_cbranch_execnz .LBB243_34
.LBB243_33:
	s_load_dwordx4 s[20:23], s[0:1], 0x28
	ds_read2st64_b64 v[6:9], v6 offset1:4
	v_ashrrev_i32_e32 v3, 31, v2
	v_lshlrev_b64 v[12:13], 3, v[2:3]
	v_add_u32_e32 v10, s19, v2
	s_waitcnt lgkmcnt(0)
	v_lshl_add_u64 v[2:3], s[20:21], 0, v[12:13]
	global_store_dwordx2 v[2:3], v[6:7], off
	ds_read2st64_b64 v[0:3], v1 offset1:4
	v_mov_b32_e32 v11, 0
	v_lshlrev_b64 v[6:7], 3, v[10:11]
	v_lshl_add_u64 v[10:11], s[20:21], 0, v[6:7]
	global_store_dwordx2 v[10:11], v[8:9], off
	v_lshl_add_u64 v[8:9], s[22:23], 0, v[12:13]
	s_waitcnt lgkmcnt(0)
	global_store_dwordx2 v[8:9], v[0:1], off
	v_lshl_add_u64 v[0:1], s[22:23], 0, v[6:7]
	s_mov_b32 s18, s19
	global_store_dwordx2 v[0:1], v[2:3], off
.LBB243_34:
	ds_read2st64_b64 v[0:3], v5 offset1:4
	v_ashrrev_i32_e32 v5, 31, v4
	v_add_u32_e32 v6, s18, v4
	v_mov_b32_e32 v7, 0
	v_lshl_add_u64 v[4:5], v[4:5], 3, s[12:13]
	s_waitcnt lgkmcnt(0)
	global_store_dwordx2 v[4:5], v[0:1], off
	v_lshl_add_u64 v[0:1], v[6:7], 3, s[12:13]
	global_store_dwordx2 v[0:1], v[2:3], off
	s_or_b64 exec, exec, s[16:17]
	s_and_saveexec_b64 s[4:5], s[6:7]
	s_cbranch_execz .LBB243_30
.LBB243_35:
	s_cmp_eq_u32 s3, 0
	s_cbranch_scc1 .LBB243_40
; %bb.36:
	s_load_dword s6, s[0:1], 0x50
	s_cbranch_execnz .LBB243_38
.LBB243_37:
	s_waitcnt lgkmcnt(0)
	s_load_dword s6, s[0:1], 0x50
	v_mov_b32_e32 v0, 0xff8
	s_mov_b32 s4, s3
	s_ashr_i32 s3, s2, 31
	ds_read2_b64 v[6:9], v0 offset1:1
	s_lshl_b64 s[12:13], s[2:3], 3
	v_mov_b32_e32 v4, 0
	s_mov_b32 s3, s4
	s_add_u32 s4, s10, s12
	ds_read_b64 v[2:3], v4 offset:8184
	s_addc_u32 s5, s11, s13
	s_waitcnt lgkmcnt(0)
	s_add_i32 s0, s6, s2
	s_mov_b32 s1, 0
	s_lshl_b64 s[0:1], s[0:1], 3
	global_store_dwordx2 v4, v[8:9], s[4:5]
	s_add_u32 s4, s10, s0
	ds_read_b64 v[0:1], v4
	s_addc_u32 s5, s11, s1
	global_store_dwordx2 v4, v[2:3], s[4:5]
	s_add_u32 s4, s14, s12
	s_addc_u32 s5, s15, s13
	s_add_u32 s0, s14, s0
	s_addc_u32 s1, s15, s1
	s_waitcnt lgkmcnt(0)
	global_store_dwordx2 v4, v[0:1], s[4:5]
	global_store_dwordx2 v4, v[6:7], s[0:1]
.LBB243_38:
	s_waitcnt lgkmcnt(0)
	s_mul_i32 s0, s6, s3
	s_lshl_b32 s0, s0, 1
	s_add_i32 s0, s0, s2
	s_mov_b32 s1, 0
	v_mov_b32_e32 v4, 0
	s_lshl_b64 s[2:3], s[0:1], 3
	ds_read_b64 v[0:1], v4 offset:8192
	ds_read_b64 v[2:3], v4 offset:12280
	s_add_u32 s2, s8, s2
	s_addc_u32 s3, s9, s3
	s_add_i32 s0, s0, s6
	s_lshl_b64 s[0:1], s[0:1], 3
	s_add_u32 s0, s8, s0
	s_addc_u32 s1, s9, s1
	s_waitcnt lgkmcnt(1)
	global_store_dwordx2 v4, v[0:1], s[2:3]
	s_waitcnt lgkmcnt(0)
	global_store_dwordx2 v4, v[2:3], s[0:1]
	s_endpgm
.LBB243_39:
                                        ; implicit-def: $sgpr18
	s_branch .LBB243_33
.LBB243_40:
                                        ; implicit-def: $sgpr6
	s_branch .LBB243_37
	.section	.rodata,"a",@progbits
	.p2align	6, 0x0
	.amdhsa_kernel _ZN9rocsparseL29gtsv_spike_block_level_kernelILj256ELj64E21rocsparse_complex_numIfEEEviiiPT1_PKS3_S6_S4_S4_S4_S4_S4_
		.amdhsa_group_segment_fixed_size 12288
		.amdhsa_private_segment_fixed_size 0
		.amdhsa_kernarg_size 336
		.amdhsa_user_sgpr_count 2
		.amdhsa_user_sgpr_dispatch_ptr 0
		.amdhsa_user_sgpr_queue_ptr 0
		.amdhsa_user_sgpr_kernarg_segment_ptr 1
		.amdhsa_user_sgpr_dispatch_id 0
		.amdhsa_user_sgpr_kernarg_preload_length 0
		.amdhsa_user_sgpr_kernarg_preload_offset 0
		.amdhsa_user_sgpr_private_segment_size 0
		.amdhsa_uses_dynamic_stack 0
		.amdhsa_enable_private_segment 0
		.amdhsa_system_sgpr_workgroup_id_x 1
		.amdhsa_system_sgpr_workgroup_id_y 1
		.amdhsa_system_sgpr_workgroup_id_z 0
		.amdhsa_system_sgpr_workgroup_info 0
		.amdhsa_system_vgpr_workitem_id 0
		.amdhsa_next_free_vgpr 50
		.amdhsa_next_free_sgpr 24
		.amdhsa_accum_offset 52
		.amdhsa_reserve_vcc 1
		.amdhsa_float_round_mode_32 0
		.amdhsa_float_round_mode_16_64 0
		.amdhsa_float_denorm_mode_32 3
		.amdhsa_float_denorm_mode_16_64 3
		.amdhsa_dx10_clamp 1
		.amdhsa_ieee_mode 1
		.amdhsa_fp16_overflow 0
		.amdhsa_tg_split 0
		.amdhsa_exception_fp_ieee_invalid_op 0
		.amdhsa_exception_fp_denorm_src 0
		.amdhsa_exception_fp_ieee_div_zero 0
		.amdhsa_exception_fp_ieee_overflow 0
		.amdhsa_exception_fp_ieee_underflow 0
		.amdhsa_exception_fp_ieee_inexact 0
		.amdhsa_exception_int_div_zero 0
	.end_amdhsa_kernel
	.section	.text._ZN9rocsparseL29gtsv_spike_block_level_kernelILj256ELj64E21rocsparse_complex_numIfEEEviiiPT1_PKS3_S6_S4_S4_S4_S4_S4_,"axG",@progbits,_ZN9rocsparseL29gtsv_spike_block_level_kernelILj256ELj64E21rocsparse_complex_numIfEEEviiiPT1_PKS3_S6_S4_S4_S4_S4_S4_,comdat
.Lfunc_end243:
	.size	_ZN9rocsparseL29gtsv_spike_block_level_kernelILj256ELj64E21rocsparse_complex_numIfEEEviiiPT1_PKS3_S6_S4_S4_S4_S4_S4_, .Lfunc_end243-_ZN9rocsparseL29gtsv_spike_block_level_kernelILj256ELj64E21rocsparse_complex_numIfEEEviiiPT1_PKS3_S6_S4_S4_S4_S4_S4_
                                        ; -- End function
	.set _ZN9rocsparseL29gtsv_spike_block_level_kernelILj256ELj64E21rocsparse_complex_numIfEEEviiiPT1_PKS3_S6_S4_S4_S4_S4_S4_.num_vgpr, 50
	.set _ZN9rocsparseL29gtsv_spike_block_level_kernelILj256ELj64E21rocsparse_complex_numIfEEEviiiPT1_PKS3_S6_S4_S4_S4_S4_S4_.num_agpr, 0
	.set _ZN9rocsparseL29gtsv_spike_block_level_kernelILj256ELj64E21rocsparse_complex_numIfEEEviiiPT1_PKS3_S6_S4_S4_S4_S4_S4_.numbered_sgpr, 24
	.set _ZN9rocsparseL29gtsv_spike_block_level_kernelILj256ELj64E21rocsparse_complex_numIfEEEviiiPT1_PKS3_S6_S4_S4_S4_S4_S4_.num_named_barrier, 0
	.set _ZN9rocsparseL29gtsv_spike_block_level_kernelILj256ELj64E21rocsparse_complex_numIfEEEviiiPT1_PKS3_S6_S4_S4_S4_S4_S4_.private_seg_size, 0
	.set _ZN9rocsparseL29gtsv_spike_block_level_kernelILj256ELj64E21rocsparse_complex_numIfEEEviiiPT1_PKS3_S6_S4_S4_S4_S4_S4_.uses_vcc, 1
	.set _ZN9rocsparseL29gtsv_spike_block_level_kernelILj256ELj64E21rocsparse_complex_numIfEEEviiiPT1_PKS3_S6_S4_S4_S4_S4_S4_.uses_flat_scratch, 0
	.set _ZN9rocsparseL29gtsv_spike_block_level_kernelILj256ELj64E21rocsparse_complex_numIfEEEviiiPT1_PKS3_S6_S4_S4_S4_S4_S4_.has_dyn_sized_stack, 0
	.set _ZN9rocsparseL29gtsv_spike_block_level_kernelILj256ELj64E21rocsparse_complex_numIfEEEviiiPT1_PKS3_S6_S4_S4_S4_S4_S4_.has_recursion, 0
	.set _ZN9rocsparseL29gtsv_spike_block_level_kernelILj256ELj64E21rocsparse_complex_numIfEEEviiiPT1_PKS3_S6_S4_S4_S4_S4_S4_.has_indirect_call, 0
	.section	.AMDGPU.csdata,"",@progbits
; Kernel info:
; codeLenInByte = 7624
; TotalNumSgprs: 30
; NumVgprs: 50
; NumAgprs: 0
; TotalNumVgprs: 50
; ScratchSize: 0
; MemoryBound: 0
; FloatMode: 240
; IeeeMode: 1
; LDSByteSize: 12288 bytes/workgroup (compile time only)
; SGPRBlocks: 3
; VGPRBlocks: 6
; NumSGPRsForWavesPerEU: 30
; NumVGPRsForWavesPerEU: 50
; AccumOffset: 52
; Occupancy: 8
; WaveLimiterHint : 0
; COMPUTE_PGM_RSRC2:SCRATCH_EN: 0
; COMPUTE_PGM_RSRC2:USER_SGPR: 2
; COMPUTE_PGM_RSRC2:TRAP_HANDLER: 0
; COMPUTE_PGM_RSRC2:TGID_X_EN: 1
; COMPUTE_PGM_RSRC2:TGID_Y_EN: 1
; COMPUTE_PGM_RSRC2:TGID_Z_EN: 0
; COMPUTE_PGM_RSRC2:TIDIG_COMP_CNT: 0
; COMPUTE_PGM_RSRC3_GFX90A:ACCUM_OFFSET: 12
; COMPUTE_PGM_RSRC3_GFX90A:TG_SPLIT: 0
	.section	.text._ZN9rocsparseL33gtsv_solve_spike_propagate_kernelILj256ELj64E21rocsparse_complex_numIfEEEviiiPT1_PKS3_S6_S6_,"axG",@progbits,_ZN9rocsparseL33gtsv_solve_spike_propagate_kernelILj256ELj64E21rocsparse_complex_numIfEEEviiiPT1_PKS3_S6_S6_,comdat
	.globl	_ZN9rocsparseL33gtsv_solve_spike_propagate_kernelILj256ELj64E21rocsparse_complex_numIfEEEviiiPT1_PKS3_S6_S6_ ; -- Begin function _ZN9rocsparseL33gtsv_solve_spike_propagate_kernelILj256ELj64E21rocsparse_complex_numIfEEEviiiPT1_PKS3_S6_S6_
	.p2align	8
	.type	_ZN9rocsparseL33gtsv_solve_spike_propagate_kernelILj256ELj64E21rocsparse_complex_numIfEEEviiiPT1_PKS3_S6_S6_,@function
_ZN9rocsparseL33gtsv_solve_spike_propagate_kernelILj256ELj64E21rocsparse_complex_numIfEEEviiiPT1_PKS3_S6_S6_: ; @_ZN9rocsparseL33gtsv_solve_spike_propagate_kernelILj256ELj64E21rocsparse_complex_numIfEEEviiiPT1_PKS3_S6_S6_
; %bb.0:
	s_load_dword s8, s[0:1], 0x0
	v_lshl_or_b32 v2, s2, 8, v0
	v_lshlrev_b32_e32 v1, 3, v0
	s_waitcnt lgkmcnt(0)
	s_lshr_b32 s14, s8, 6
	v_cmp_gt_i32_e32 vcc, s14, v2
	v_cmp_le_i32_e64 s[4:5], s14, v2
	s_and_saveexec_b64 s[6:7], s[4:5]
	s_xor_b64 s[6:7], exec, s[6:7]
; %bb.1:
	v_mov_b32_e32 v4, 0
	v_mov_b32_e32 v5, v4
	ds_write_b64 v1, v[4:5] offset:8208
; %bb.2:
	s_or_saveexec_b64 s[6:7], s[6:7]
	v_mov_b32_e32 v4, 0
	v_ashrrev_i32_e32 v3, 31, v2
	v_mov_b32_e32 v5, 0
	s_xor_b64 exec, exec, s[6:7]
	s_cbranch_execz .LBB244_4
; %bb.3:
	s_load_dwordx2 s[10:11], s[0:1], 0x18
	v_mad_u64_u32 v[4:5], s[12:13], s14, 63, v[2:3]
	v_mov_b32_e32 v5, 0
	s_waitcnt lgkmcnt(0)
	v_lshl_add_u64 v[6:7], v[2:3], 3, s[10:11]
	v_lshl_add_u64 v[8:9], v[4:5], 3, s[10:11]
	global_load_dwordx2 v[10:11], v[6:7], off
	global_load_dwordx2 v[4:5], v[8:9], off
	s_waitcnt vmcnt(1)
	ds_write_b64 v1, v[10:11] offset:8208
.LBB244_4:
	s_or_b64 exec, exec, s[6:7]
	s_load_dwordx2 s[6:7], s[0:1], 0x10
	s_waitcnt vmcnt(0)
	ds_write_b64 v1, v[4:5] offset:10256
	s_and_saveexec_b64 s[10:11], s[4:5]
	s_xor_b64 s[4:5], exec, s[10:11]
; %bb.5:
	s_mov_b32 s10, 0
	s_mov_b32 s11, s10
	v_mov_b64_e32 v[4:5], s[10:11]
	v_add_u32_e32 v3, 16, v1
	ds_write2st64_b64 v3, v[4:5], v[4:5] offset0:8 offset1:12
; %bb.6:
	s_or_saveexec_b64 s[4:5], s[4:5]
	v_mov_b32_e32 v4, 0
	s_mul_i32 s8, s8, s3
	v_mov_b32_e32 v6, 0
	v_mov_b32_e32 v7, 0
	s_xor_b64 exec, exec, s[4:5]
	s_cbranch_execz .LBB244_8
; %bb.7:
	s_load_dwordx2 s[10:11], s[0:1], 0x20
	v_mad_u64_u32 v[6:7], s[12:13], s14, 63, v[2:3]
	v_mov_b32_e32 v7, 0
	s_waitcnt lgkmcnt(0)
	v_lshl_add_u64 v[10:11], v[6:7], 3, s[10:11]
	v_add_u32_e32 v6, s8, v6
	v_lshl_add_u64 v[8:9], v[2:3], 3, s[10:11]
	v_lshl_add_u64 v[6:7], v[6:7], 3, s[6:7]
	global_load_dwordx2 v[12:13], v[8:9], off
	global_load_dwordx2 v[14:15], v[10:11], off
	v_add_u32_e32 v3, 16, v1
	global_load_dwordx2 v[6:7], v[6:7], off
	s_waitcnt vmcnt(1)
	ds_write2st64_b64 v3, v[12:13], v[14:15] offset0:8 offset1:12
.LBB244_8:
	s_or_b64 exec, exec, s[4:5]
	v_add_u32_e32 v2, s8, v2
	v_mov_b32_e32 v5, 0
	s_waitcnt vmcnt(0)
	ds_write_b64 v1, v[6:7] offset:8
	s_and_saveexec_b64 s[4:5], vcc
	s_cbranch_execz .LBB244_10
; %bb.9:
	v_ashrrev_i32_e32 v3, 31, v2
	s_waitcnt lgkmcnt(0)
	v_lshl_add_u64 v[4:5], v[2:3], 3, s[6:7]
	global_load_dwordx2 v[4:5], v[4:5], off
.LBB244_10:
	s_or_b64 exec, exec, s[4:5]
	s_mov_b32 s12, 0
	v_cmp_eq_u32_e64 s[4:5], 0, v0
	s_waitcnt vmcnt(0)
	ds_write_b64 v1, v[4:5] offset:2056
	s_waitcnt lgkmcnt(0)
	s_barrier
	s_and_saveexec_b64 s[8:9], s[4:5]
	s_cbranch_execz .LBB244_16
; %bb.11:
	s_load_dword s15, s[0:1], 0x30
	s_load_dwordx2 s[10:11], s[0:1], 0x28
	s_cmp_lt_i32 s2, 1
	s_mov_b32 s13, 0
	s_waitcnt lgkmcnt(0)
	s_mul_i32 s3, s3, s15
	s_cbranch_scc1 .LBB244_13
; %bb.12:
	s_lshl_b32 s0, s3, 1
	s_add_i32 s1, s2, s15
	s_add_i32 s0, s1, s0
	s_add_i32 s0, s0, -1
	s_mov_b32 s1, 0
	s_lshl_b64 s[0:1], s[0:1], 3
	s_add_u32 s0, s10, s0
	s_addc_u32 s1, s11, s1
	s_load_dwordx2 s[12:13], s[0:1], 0x0
.LBB244_13:
	s_add_i32 s0, s15, -1
	s_waitcnt lgkmcnt(0)
	v_mov_b32_e32 v4, s12
	v_mov_b32_e32 v5, s13
	v_mov_b32_e32 v3, 0
	s_mov_b32 s1, 0
	s_cmp_ge_u32 s2, s0
	s_mov_b32 s12, 0
	s_mov_b32 s13, 0
	ds_write_b64 v3, v[4:5]
	s_cbranch_scc1 .LBB244_15
; %bb.14:
	s_lshl_b32 s0, s3, 1
	s_add_i32 s0, s2, s0
	s_add_i32 s12, s0, 1
	s_lshl_b64 s[12:13], s[12:13], 3
	s_add_u32 s16, s10, s12
	s_addc_u32 s17, s11, s13
	s_load_dwordx2 s[12:13], s[16:17], 0x0
.LBB244_15:
	s_lshl_b32 s0, s3, 1
	s_add_i32 s0, s0, s2
	s_lshl_b64 s[2:3], s[0:1], 3
	s_add_u32 s2, s10, s2
	s_addc_u32 s3, s11, s3
	s_add_i32 s0, s0, s15
	s_lshl_b64 s[0:1], s[0:1], 3
	s_add_u32 s0, s10, s0
	s_addc_u32 s1, s11, s1
	s_load_dwordx2 s[10:11], s[0:1], 0x0
	s_load_dwordx2 s[16:17], s[2:3], 0x0
	s_waitcnt lgkmcnt(0)
	v_mov_b32_e32 v4, s12
	v_mov_b32_e32 v5, s13
	ds_write_b64 v3, v[4:5] offset:4104
	v_mov_b32_e32 v4, s10
	v_mov_b32_e32 v5, s11
	v_mov_b32_e32 v6, s16
	v_mov_b32_e32 v7, s17
	ds_write_b128 v3, v[4:7] offset:2048
.LBB244_16:
	s_or_b64 exec, exec, s[8:9]
	s_waitcnt lgkmcnt(0)
	s_barrier
	s_and_saveexec_b64 s[0:1], s[4:5]
	s_cbranch_execz .LBB244_18
; %bb.17:
	s_movk_i32 s2, 0x1410
	v_add_u32_e64 v3, s2, 0
	ds_read2_b64 v[4:7], v3 offset1:255
	v_add_u32_e64 v8, 8, 0
	s_movk_i32 s2, 0x2410
	v_mov_b32_e32 v3, 0
	ds_read2st64_b64 v[8:11], v8 offset0:6 offset1:8
	ds_read2st64_b64 v[12:15], v3 offset1:2
	v_add_u32_e64 v16, s2, 0
	ds_read2_b64 v[16:19], v16 offset1:255
	s_waitcnt lgkmcnt(3)
	v_xor_b32_e32 v20, 0x80000000, v7
	v_mov_b32_e32 v21, v6
	s_waitcnt lgkmcnt(2)
	v_pk_mul_f32 v[20:21], v[10:11], v[20:21] op_sel:[1,0]
	s_nop 0
	v_pk_fma_f32 v[6:7], v[6:7], v[10:11], v[20:21] op_sel_hi:[1,0,1]
	s_waitcnt lgkmcnt(1)
	v_pk_add_f32 v[6:7], v[14:15], v[6:7] neg_lo:[0,1] neg_hi:[0,1]
	s_waitcnt lgkmcnt(0)
	v_xor_b32_e32 v14, 0x80000000, v19
	v_mov_b32_e32 v15, v18
	v_pk_mul_f32 v[14:15], v[12:13], v[14:15] op_sel:[1,0]
	s_nop 0
	v_pk_fma_f32 v[14:15], v[18:19], v[12:13], v[14:15] op_sel_hi:[1,0,1]
	s_nop 0
	v_pk_add_f32 v[6:7], v[6:7], v[14:15] neg_lo:[0,1] neg_hi:[0,1]
	ds_write_b64 v3, v[6:7] offset:1024
	v_xor_b32_e32 v6, 0x80000000, v5
	v_mov_b32_e32 v7, v4
	v_pk_mul_f32 v[6:7], v[10:11], v[6:7] op_sel:[1,0]
	s_nop 0
	v_pk_fma_f32 v[4:5], v[4:5], v[10:11], v[6:7] op_sel_hi:[1,0,1]
	v_xor_b32_e32 v6, 0x80000000, v17
	v_mov_b32_e32 v7, v16
	v_pk_mul_f32 v[6:7], v[12:13], v[6:7] op_sel:[1,0]
	v_pk_add_f32 v[4:5], v[8:9], v[4:5] neg_lo:[0,1] neg_hi:[0,1]
	v_pk_fma_f32 v[6:7], v[16:17], v[12:13], v[6:7] op_sel_hi:[1,0,1]
	s_nop 0
	v_pk_add_f32 v[4:5], v[4:5], v[6:7] neg_lo:[0,1] neg_hi:[0,1]
	ds_write_b64 v3, v[4:5] offset:3080
.LBB244_18:
	s_or_b64 exec, exec, s[0:1]
	v_cmp_gt_u32_e64 s[0:1], 2, v0
	s_waitcnt lgkmcnt(0)
	s_barrier
	s_and_saveexec_b64 s[2:3], s[0:1]
	s_cbranch_execz .LBB244_20
; %bb.19:
	v_lshlrev_b32_e32 v3, 10, v0
	v_add_u32_e32 v4, 0x1210, v3
	ds_read2_b64 v[4:7], v4 offset1:255
	v_add_u32_e32 v12, 8, v3
	ds_read2st64_b64 v[8:11], v3 offset1:1
	ds_read2st64_b64 v[12:15], v12 offset0:5 offset1:6
	v_add_u32_e32 v16, 0x2210, v3
	ds_read2_b64 v[16:19], v16 offset1:255
	s_waitcnt lgkmcnt(3)
	v_xor_b32_e32 v20, 0x80000000, v7
	v_mov_b32_e32 v21, v6
	s_waitcnt lgkmcnt(1)
	v_pk_mul_f32 v[20:21], v[14:15], v[20:21] op_sel:[1,0]
	s_nop 0
	v_pk_fma_f32 v[6:7], v[6:7], v[14:15], v[20:21] op_sel_hi:[1,0,1]
	s_nop 0
	v_pk_add_f32 v[6:7], v[10:11], v[6:7] neg_lo:[0,1] neg_hi:[0,1]
	s_waitcnt lgkmcnt(0)
	v_xor_b32_e32 v10, 0x80000000, v19
	v_mov_b32_e32 v11, v18
	v_pk_mul_f32 v[10:11], v[8:9], v[10:11] op_sel:[1,0]
	s_nop 0
	v_pk_fma_f32 v[10:11], v[18:19], v[8:9], v[10:11] op_sel_hi:[1,0,1]
	s_nop 0
	v_pk_add_f32 v[6:7], v[6:7], v[10:11] neg_lo:[0,1] neg_hi:[0,1]
	ds_write_b64 v3, v[6:7] offset:512
	v_xor_b32_e32 v6, 0x80000000, v5
	v_mov_b32_e32 v7, v4
	v_pk_mul_f32 v[6:7], v[14:15], v[6:7] op_sel:[1,0]
	s_nop 0
	v_pk_fma_f32 v[4:5], v[4:5], v[14:15], v[6:7] op_sel_hi:[1,0,1]
	v_xor_b32_e32 v6, 0x80000000, v17
	v_mov_b32_e32 v7, v16
	v_pk_mul_f32 v[6:7], v[8:9], v[6:7] op_sel:[1,0]
	v_pk_add_f32 v[4:5], v[12:13], v[4:5] neg_lo:[0,1] neg_hi:[0,1]
	v_pk_fma_f32 v[6:7], v[16:17], v[8:9], v[6:7] op_sel_hi:[1,0,1]
	s_nop 0
	v_pk_add_f32 v[4:5], v[4:5], v[6:7] neg_lo:[0,1] neg_hi:[0,1]
	ds_write_b64 v3, v[4:5] offset:2568
.LBB244_20:
	s_or_b64 exec, exec, s[2:3]
	v_cmp_gt_u32_e64 s[0:1], 4, v0
	s_waitcnt lgkmcnt(0)
	s_barrier
	s_and_saveexec_b64 s[2:3], s[0:1]
	s_cbranch_execz .LBB244_22
; %bb.21:
	v_lshlrev_b32_e32 v3, 9, v0
	v_add_u32_e32 v4, 0x1110, v3
	ds_read2_b64 v[4:7], v4 offset1:255
	v_add_u32_e32 v12, 0x800, v3
	ds_read2_b64 v[8:11], v3 offset1:32
	ds_read2_b64 v[12:15], v12 offset0:33 offset1:65
	v_add_u32_e32 v16, 0x2110, v3
	ds_read2_b64 v[16:19], v16 offset1:255
	s_waitcnt lgkmcnt(3)
	v_xor_b32_e32 v20, 0x80000000, v7
	v_mov_b32_e32 v21, v6
	s_waitcnt lgkmcnt(1)
	v_pk_mul_f32 v[20:21], v[14:15], v[20:21] op_sel:[1,0]
	s_nop 0
	v_pk_fma_f32 v[6:7], v[6:7], v[14:15], v[20:21] op_sel_hi:[1,0,1]
	s_nop 0
	v_pk_add_f32 v[6:7], v[10:11], v[6:7] neg_lo:[0,1] neg_hi:[0,1]
	s_waitcnt lgkmcnt(0)
	v_xor_b32_e32 v10, 0x80000000, v19
	v_mov_b32_e32 v11, v18
	v_pk_mul_f32 v[10:11], v[8:9], v[10:11] op_sel:[1,0]
	s_nop 0
	v_pk_fma_f32 v[10:11], v[18:19], v[8:9], v[10:11] op_sel_hi:[1,0,1]
	s_nop 0
	v_pk_add_f32 v[6:7], v[6:7], v[10:11] neg_lo:[0,1] neg_hi:[0,1]
	ds_write_b64 v3, v[6:7] offset:256
	v_xor_b32_e32 v6, 0x80000000, v5
	v_mov_b32_e32 v7, v4
	v_pk_mul_f32 v[6:7], v[14:15], v[6:7] op_sel:[1,0]
	s_nop 0
	v_pk_fma_f32 v[4:5], v[4:5], v[14:15], v[6:7] op_sel_hi:[1,0,1]
	v_xor_b32_e32 v6, 0x80000000, v17
	v_mov_b32_e32 v7, v16
	v_pk_mul_f32 v[6:7], v[8:9], v[6:7] op_sel:[1,0]
	v_pk_add_f32 v[4:5], v[12:13], v[4:5] neg_lo:[0,1] neg_hi:[0,1]
	v_pk_fma_f32 v[6:7], v[16:17], v[8:9], v[6:7] op_sel_hi:[1,0,1]
	s_nop 0
	v_pk_add_f32 v[4:5], v[4:5], v[6:7] neg_lo:[0,1] neg_hi:[0,1]
	ds_write_b64 v3, v[4:5] offset:2312
.LBB244_22:
	s_or_b64 exec, exec, s[2:3]
	v_cmp_gt_u32_e64 s[0:1], 8, v0
	s_waitcnt lgkmcnt(0)
	s_barrier
	s_and_saveexec_b64 s[2:3], s[0:1]
	s_cbranch_execz .LBB244_24
; %bb.23:
	v_lshlrev_b32_e32 v3, 8, v0
	v_add_u32_e32 v4, 0x1090, v3
	ds_read2_b64 v[4:7], v4 offset1:255
	v_add_u32_e32 v12, 0x800, v3
	ds_read2_b64 v[8:11], v3 offset1:16
	ds_read2_b64 v[12:15], v12 offset0:17 offset1:33
	v_add_u32_e32 v16, 0x2090, v3
	ds_read2_b64 v[16:19], v16 offset1:255
	s_waitcnt lgkmcnt(3)
	v_xor_b32_e32 v20, 0x80000000, v7
	v_mov_b32_e32 v21, v6
	s_waitcnt lgkmcnt(1)
	v_pk_mul_f32 v[20:21], v[14:15], v[20:21] op_sel:[1,0]
	s_nop 0
	v_pk_fma_f32 v[6:7], v[6:7], v[14:15], v[20:21] op_sel_hi:[1,0,1]
	s_nop 0
	v_pk_add_f32 v[6:7], v[10:11], v[6:7] neg_lo:[0,1] neg_hi:[0,1]
	s_waitcnt lgkmcnt(0)
	v_xor_b32_e32 v10, 0x80000000, v19
	v_mov_b32_e32 v11, v18
	v_pk_mul_f32 v[10:11], v[8:9], v[10:11] op_sel:[1,0]
	s_nop 0
	v_pk_fma_f32 v[10:11], v[18:19], v[8:9], v[10:11] op_sel_hi:[1,0,1]
	s_nop 0
	v_pk_add_f32 v[6:7], v[6:7], v[10:11] neg_lo:[0,1] neg_hi:[0,1]
	ds_write_b64 v3, v[6:7] offset:128
	v_xor_b32_e32 v6, 0x80000000, v5
	v_mov_b32_e32 v7, v4
	v_pk_mul_f32 v[6:7], v[14:15], v[6:7] op_sel:[1,0]
	s_nop 0
	v_pk_fma_f32 v[4:5], v[4:5], v[14:15], v[6:7] op_sel_hi:[1,0,1]
	v_xor_b32_e32 v6, 0x80000000, v17
	v_mov_b32_e32 v7, v16
	v_pk_mul_f32 v[6:7], v[8:9], v[6:7] op_sel:[1,0]
	v_pk_add_f32 v[4:5], v[12:13], v[4:5] neg_lo:[0,1] neg_hi:[0,1]
	v_pk_fma_f32 v[6:7], v[16:17], v[8:9], v[6:7] op_sel_hi:[1,0,1]
	s_nop 0
	v_pk_add_f32 v[4:5], v[4:5], v[6:7] neg_lo:[0,1] neg_hi:[0,1]
	ds_write_b64 v3, v[4:5] offset:2184
.LBB244_24:
	;; [unrolled: 47-line block ×5, first 2 shown]
	s_or_b64 exec, exec, s[2:3]
	s_movk_i32 s0, 0x80
	v_cmp_gt_u32_e64 s[0:1], s0, v0
	s_waitcnt lgkmcnt(0)
	s_barrier
	s_and_saveexec_b64 s[2:3], s[0:1]
	s_cbranch_execz .LBB244_32
; %bb.31:
	v_lshlrev_b32_e32 v3, 4, v0
	v_add_u32_e32 v0, 0x1018, v3
	ds_read_b128 v[4:7], v3 offset:2064
	ds_read2_b64 v[8:11], v0 offset1:255
	ds_read_b128 v[12:15], v3
	v_add_u32_e32 v16, 0x2018, v3
	ds_read2_b64 v[16:19], v16 offset1:255
	s_waitcnt lgkmcnt(3)
	v_mov_b32_e32 v0, v7
	s_waitcnt lgkmcnt(2)
	v_xor_b32_e32 v20, 0x80000000, v11
	v_mov_b32_e32 v21, v10
	v_pk_mul_f32 v[20:21], v[0:1], v[20:21] op_sel_hi:[0,1]
	v_pk_fma_f32 v[10:11], v[10:11], v[6:7], v[20:21] op_sel_hi:[1,0,1]
	s_waitcnt lgkmcnt(1)
	v_pk_add_f32 v[10:11], v[14:15], v[10:11] neg_lo:[0,1] neg_hi:[0,1]
	s_waitcnt lgkmcnt(0)
	v_xor_b32_e32 v14, 0x80000000, v19
	v_mov_b32_e32 v15, v18
	v_pk_mul_f32 v[14:15], v[12:13], v[14:15] op_sel:[1,0]
	s_nop 0
	v_pk_fma_f32 v[14:15], v[18:19], v[12:13], v[14:15] op_sel_hi:[1,0,1]
	s_nop 0
	v_pk_add_f32 v[10:11], v[10:11], v[14:15] neg_lo:[0,1] neg_hi:[0,1]
	ds_write_b64 v3, v[10:11] offset:8
	v_xor_b32_e32 v10, 0x80000000, v9
	v_mov_b32_e32 v11, v8
	v_pk_mul_f32 v[10:11], v[0:1], v[10:11] op_sel_hi:[0,1]
	v_pk_fma_f32 v[6:7], v[8:9], v[6:7], v[10:11] op_sel_hi:[1,0,1]
	s_nop 0
	v_pk_add_f32 v[4:5], v[4:5], v[6:7] neg_lo:[0,1] neg_hi:[0,1]
	v_xor_b32_e32 v6, 0x80000000, v17
	v_mov_b32_e32 v7, v16
	v_pk_mul_f32 v[6:7], v[12:13], v[6:7] op_sel:[1,0]
	s_nop 0
	v_pk_fma_f32 v[6:7], v[16:17], v[12:13], v[6:7] op_sel_hi:[1,0,1]
	s_nop 0
	v_pk_add_f32 v[4:5], v[4:5], v[6:7] neg_lo:[0,1] neg_hi:[0,1]
	ds_write_b64 v3, v[4:5] offset:2064
.LBB244_32:
	s_or_b64 exec, exec, s[2:3]
	s_waitcnt lgkmcnt(0)
	s_barrier
	s_and_saveexec_b64 s[0:1], vcc
	s_cbranch_execz .LBB244_34
; %bb.33:
	v_add_u32_e32 v0, 8, v1
	ds_read2st64_b64 v[4:7], v0 offset1:4
	v_ashrrev_i32_e32 v3, 31, v2
	v_lshl_add_u64 v[0:1], v[2:3], 3, s[6:7]
	v_mad_u64_u32 v[2:3], s[0:1], s14, 63, v[2:3]
	v_mov_b32_e32 v3, 0
	s_waitcnt lgkmcnt(0)
	global_store_dwordx2 v[0:1], v[6:7], off
	v_lshl_add_u64 v[0:1], v[2:3], 3, s[6:7]
	global_store_dwordx2 v[0:1], v[4:5], off
.LBB244_34:
	s_endpgm
	.section	.rodata,"a",@progbits
	.p2align	6, 0x0
	.amdhsa_kernel _ZN9rocsparseL33gtsv_solve_spike_propagate_kernelILj256ELj64E21rocsparse_complex_numIfEEEviiiPT1_PKS3_S6_S6_
		.amdhsa_group_segment_fixed_size 12304
		.amdhsa_private_segment_fixed_size 0
		.amdhsa_kernarg_size 304
		.amdhsa_user_sgpr_count 2
		.amdhsa_user_sgpr_dispatch_ptr 0
		.amdhsa_user_sgpr_queue_ptr 0
		.amdhsa_user_sgpr_kernarg_segment_ptr 1
		.amdhsa_user_sgpr_dispatch_id 0
		.amdhsa_user_sgpr_kernarg_preload_length 0
		.amdhsa_user_sgpr_kernarg_preload_offset 0
		.amdhsa_user_sgpr_private_segment_size 0
		.amdhsa_uses_dynamic_stack 0
		.amdhsa_enable_private_segment 0
		.amdhsa_system_sgpr_workgroup_id_x 1
		.amdhsa_system_sgpr_workgroup_id_y 1
		.amdhsa_system_sgpr_workgroup_id_z 0
		.amdhsa_system_sgpr_workgroup_info 0
		.amdhsa_system_vgpr_workitem_id 0
		.amdhsa_next_free_vgpr 22
		.amdhsa_next_free_sgpr 18
		.amdhsa_accum_offset 24
		.amdhsa_reserve_vcc 1
		.amdhsa_float_round_mode_32 0
		.amdhsa_float_round_mode_16_64 0
		.amdhsa_float_denorm_mode_32 3
		.amdhsa_float_denorm_mode_16_64 3
		.amdhsa_dx10_clamp 1
		.amdhsa_ieee_mode 1
		.amdhsa_fp16_overflow 0
		.amdhsa_tg_split 0
		.amdhsa_exception_fp_ieee_invalid_op 0
		.amdhsa_exception_fp_denorm_src 0
		.amdhsa_exception_fp_ieee_div_zero 0
		.amdhsa_exception_fp_ieee_overflow 0
		.amdhsa_exception_fp_ieee_underflow 0
		.amdhsa_exception_fp_ieee_inexact 0
		.amdhsa_exception_int_div_zero 0
	.end_amdhsa_kernel
	.section	.text._ZN9rocsparseL33gtsv_solve_spike_propagate_kernelILj256ELj64E21rocsparse_complex_numIfEEEviiiPT1_PKS3_S6_S6_,"axG",@progbits,_ZN9rocsparseL33gtsv_solve_spike_propagate_kernelILj256ELj64E21rocsparse_complex_numIfEEEviiiPT1_PKS3_S6_S6_,comdat
.Lfunc_end244:
	.size	_ZN9rocsparseL33gtsv_solve_spike_propagate_kernelILj256ELj64E21rocsparse_complex_numIfEEEviiiPT1_PKS3_S6_S6_, .Lfunc_end244-_ZN9rocsparseL33gtsv_solve_spike_propagate_kernelILj256ELj64E21rocsparse_complex_numIfEEEviiiPT1_PKS3_S6_S6_
                                        ; -- End function
	.set _ZN9rocsparseL33gtsv_solve_spike_propagate_kernelILj256ELj64E21rocsparse_complex_numIfEEEviiiPT1_PKS3_S6_S6_.num_vgpr, 22
	.set _ZN9rocsparseL33gtsv_solve_spike_propagate_kernelILj256ELj64E21rocsparse_complex_numIfEEEviiiPT1_PKS3_S6_S6_.num_agpr, 0
	.set _ZN9rocsparseL33gtsv_solve_spike_propagate_kernelILj256ELj64E21rocsparse_complex_numIfEEEviiiPT1_PKS3_S6_S6_.numbered_sgpr, 18
	.set _ZN9rocsparseL33gtsv_solve_spike_propagate_kernelILj256ELj64E21rocsparse_complex_numIfEEEviiiPT1_PKS3_S6_S6_.num_named_barrier, 0
	.set _ZN9rocsparseL33gtsv_solve_spike_propagate_kernelILj256ELj64E21rocsparse_complex_numIfEEEviiiPT1_PKS3_S6_S6_.private_seg_size, 0
	.set _ZN9rocsparseL33gtsv_solve_spike_propagate_kernelILj256ELj64E21rocsparse_complex_numIfEEEviiiPT1_PKS3_S6_S6_.uses_vcc, 1
	.set _ZN9rocsparseL33gtsv_solve_spike_propagate_kernelILj256ELj64E21rocsparse_complex_numIfEEEviiiPT1_PKS3_S6_S6_.uses_flat_scratch, 0
	.set _ZN9rocsparseL33gtsv_solve_spike_propagate_kernelILj256ELj64E21rocsparse_complex_numIfEEEviiiPT1_PKS3_S6_S6_.has_dyn_sized_stack, 0
	.set _ZN9rocsparseL33gtsv_solve_spike_propagate_kernelILj256ELj64E21rocsparse_complex_numIfEEEviiiPT1_PKS3_S6_S6_.has_recursion, 0
	.set _ZN9rocsparseL33gtsv_solve_spike_propagate_kernelILj256ELj64E21rocsparse_complex_numIfEEEviiiPT1_PKS3_S6_S6_.has_indirect_call, 0
	.section	.AMDGPU.csdata,"",@progbits
; Kernel info:
; codeLenInByte = 3040
; TotalNumSgprs: 24
; NumVgprs: 22
; NumAgprs: 0
; TotalNumVgprs: 22
; ScratchSize: 0
; MemoryBound: 0
; FloatMode: 240
; IeeeMode: 1
; LDSByteSize: 12304 bytes/workgroup (compile time only)
; SGPRBlocks: 2
; VGPRBlocks: 2
; NumSGPRsForWavesPerEU: 24
; NumVGPRsForWavesPerEU: 22
; AccumOffset: 24
; Occupancy: 8
; WaveLimiterHint : 0
; COMPUTE_PGM_RSRC2:SCRATCH_EN: 0
; COMPUTE_PGM_RSRC2:USER_SGPR: 2
; COMPUTE_PGM_RSRC2:TRAP_HANDLER: 0
; COMPUTE_PGM_RSRC2:TGID_X_EN: 1
; COMPUTE_PGM_RSRC2:TGID_Y_EN: 1
; COMPUTE_PGM_RSRC2:TGID_Z_EN: 0
; COMPUTE_PGM_RSRC2:TIDIG_COMP_CNT: 0
; COMPUTE_PGM_RSRC3_GFX90A:ACCUM_OFFSET: 5
; COMPUTE_PGM_RSRC3_GFX90A:TG_SPLIT: 0
	.section	.text._ZN9rocsparseL39gtsv_spike_backward_substitution_kernelILj256ELj64E21rocsparse_complex_numIfEEEviiiPT1_PKS3_S6_,"axG",@progbits,_ZN9rocsparseL39gtsv_spike_backward_substitution_kernelILj256ELj64E21rocsparse_complex_numIfEEEviiiPT1_PKS3_S6_,comdat
	.globl	_ZN9rocsparseL39gtsv_spike_backward_substitution_kernelILj256ELj64E21rocsparse_complex_numIfEEEviiiPT1_PKS3_S6_ ; -- Begin function _ZN9rocsparseL39gtsv_spike_backward_substitution_kernelILj256ELj64E21rocsparse_complex_numIfEEEviiiPT1_PKS3_S6_
	.p2align	8
	.type	_ZN9rocsparseL39gtsv_spike_backward_substitution_kernelILj256ELj64E21rocsparse_complex_numIfEEEviiiPT1_PKS3_S6_,@function
_ZN9rocsparseL39gtsv_spike_backward_substitution_kernelILj256ELj64E21rocsparse_complex_numIfEEEviiiPT1_PKS3_S6_: ; @_ZN9rocsparseL39gtsv_spike_backward_substitution_kernelILj256ELj64E21rocsparse_complex_numIfEEEviiiPT1_PKS3_S6_
; %bb.0:
	s_load_dword s6, s[0:1], 0x0
	s_lshl_b32 s10, s2, 8
	v_or_b32_e32 v10, s10, v0
	s_waitcnt lgkmcnt(0)
	s_lshr_b32 s11, s6, 6
	v_cmp_gt_i32_e32 vcc, s11, v10
	s_and_saveexec_b64 s[4:5], vcc
	s_cbranch_execz .LBB245_7
; %bb.1:
	s_load_dwordx2 s[8:9], s[0:1], 0x10
	v_cmp_lt_i32_e32 vcc, 0, v10
	v_mov_b32_e32 v2, 0
	s_mul_i32 s2, s6, s3
	v_mov_b32_e32 v4, 0
	s_and_saveexec_b64 s[4:5], vcc
	s_cbranch_execz .LBB245_3
; %bb.2:
	s_mul_i32 s7, s11, 63
	s_mul_i32 s3, s6, s3
	s_add_i32 s7, s7, s3
	v_add3_u32 v2, v10, s7, -1
	v_mov_b32_e32 v3, 0
	s_waitcnt lgkmcnt(0)
	v_lshl_add_u64 v[2:3], v[2:3], 3, s[8:9]
	global_load_dwordx2 v[2:3], v[2:3], off
	s_waitcnt vmcnt(0)
	v_mov_b32_e32 v4, v3
.LBB245_3:
	s_or_b64 exec, exec, s[4:5]
	v_add_u32_e32 v1, 64, v10
	v_cmp_le_u32_e32 vcc, s6, v1
	s_and_saveexec_b64 s[4:5], vcc
	s_xor_b64 s[4:5], exec, s[4:5]
	s_or_saveexec_b64 s[4:5], s[4:5]
	v_mov_b32_e32 v6, 0
	v_mov_b32_e32 v12, s2
	;; [unrolled: 1-line block ×3, first 2 shown]
	s_xor_b64 exec, exec, s[4:5]
	s_cbranch_execz .LBB245_5
; %bb.4:
	s_ashr_i32 s3, s2, 31
	v_ashrrev_i32_e32 v11, 31, v10
	v_lshl_add_u64 v[6:7], v[10:11], 0, s[2:3]
	s_waitcnt lgkmcnt(0)
	v_lshl_add_u64 v[6:7], v[6:7], 3, s[8:9]
	global_load_dwordx2 v[6:7], v[6:7], off offset:8
	v_mov_b32_e32 v12, s2
	s_waitcnt vmcnt(0)
	v_mov_b32_e32 v8, v7
.LBB245_5:
	s_or_b64 exec, exec, s[4:5]
	s_load_dwordx4 s[4:7], s[0:1], 0x18
	s_lshl_b32 s0, s11, 1
	s_add_i32 s10, s10, s11
	v_mov_b32_e32 v7, v6
	v_mov_b32_e32 v3, v2
	;; [unrolled: 1-line block ×4, first 2 shown]
	v_add_u32_e32 v10, s0, v10
	v_add_u32_e32 v0, s10, v0
	s_mov_b32 s1, 62
.LBB245_6:                              ; =>This Inner Loop Header: Depth=1
	v_ashrrev_i32_e32 v1, 31, v0
	v_lshlrev_b64 v[16:17], 3, v[0:1]
	v_add_u32_e32 v14, v12, v0
	s_waitcnt lgkmcnt(0)
	v_lshl_add_u64 v[18:19], s[4:5], 0, v[16:17]
	v_ashrrev_i32_e32 v15, 31, v14
	v_lshl_add_u64 v[16:17], s[6:7], 0, v[16:17]
	global_load_dwordx2 v[20:21], v[18:19], off
	global_load_dwordx2 v[22:23], v[16:17], off
	v_lshl_add_u64 v[14:15], v[14:15], 3, s[8:9]
	global_load_dwordx2 v[16:17], v[14:15], off
	v_ashrrev_i32_e32 v11, 31, v10
	v_lshlrev_b64 v[24:25], 3, v[10:11]
	v_lshl_add_u64 v[26:27], s[4:5], 0, v[24:25]
	v_lshl_add_u64 v[24:25], s[6:7], 0, v[24:25]
	global_load_dwordx2 v[28:29], v[26:27], off
	global_load_dwordx2 v[30:31], v[24:25], off
	v_add_u32_e32 v18, v12, v10
	v_ashrrev_i32_e32 v19, 31, v18
	v_lshl_add_u64 v[18:19], v[18:19], 3, s[8:9]
	s_add_i32 s1, s1, -2
	v_add_u32_e32 v10, s0, v10
	v_add_u32_e32 v0, s0, v0
	s_cmp_lg_u32 s1, 0
	s_waitcnt vmcnt(4)
	v_xor_b32_e32 v24, 0x80000000, v21
	v_mov_b32_e32 v25, v20
	s_waitcnt vmcnt(3)
	v_xor_b32_e32 v26, 0x80000000, v23
	v_mov_b32_e32 v27, v22
	v_pk_mul_f32 v[24:25], v[4:5], v[24:25]
	v_pk_mul_f32 v[26:27], v[8:9], v[26:27]
	v_pk_fma_f32 v[20:21], v[20:21], v[2:3], v[24:25]
	v_pk_fma_f32 v[22:23], v[22:23], v[6:7], v[26:27]
	s_waitcnt vmcnt(2)
	v_pk_add_f32 v[16:17], v[16:17], v[20:21] neg_lo:[0,1] neg_hi:[0,1]
	s_waitcnt vmcnt(0)
	v_xor_b32_e32 v20, 0x80000000, v31
	v_pk_add_f32 v[16:17], v[16:17], v[22:23] neg_lo:[0,1] neg_hi:[0,1]
	global_store_dwordx2 v[14:15], v[16:17], off
	global_load_dwordx2 v[14:15], v[18:19], off
	v_xor_b32_e32 v16, 0x80000000, v29
	v_mov_b32_e32 v17, v28
	v_mov_b32_e32 v21, v30
	v_pk_mul_f32 v[16:17], v[4:5], v[16:17]
	v_pk_mul_f32 v[20:21], v[8:9], v[20:21]
	v_pk_fma_f32 v[16:17], v[28:29], v[2:3], v[16:17]
	v_pk_fma_f32 v[20:21], v[30:31], v[6:7], v[20:21]
	s_waitcnt vmcnt(0)
	v_pk_add_f32 v[14:15], v[14:15], v[16:17] neg_lo:[0,1] neg_hi:[0,1]
	s_nop 0
	v_pk_add_f32 v[14:15], v[14:15], v[20:21] neg_lo:[0,1] neg_hi:[0,1]
	global_store_dwordx2 v[18:19], v[14:15], off
	s_cbranch_scc1 .LBB245_6
.LBB245_7:
	s_endpgm
	.section	.rodata,"a",@progbits
	.p2align	6, 0x0
	.amdhsa_kernel _ZN9rocsparseL39gtsv_spike_backward_substitution_kernelILj256ELj64E21rocsparse_complex_numIfEEEviiiPT1_PKS3_S6_
		.amdhsa_group_segment_fixed_size 0
		.amdhsa_private_segment_fixed_size 0
		.amdhsa_kernarg_size 40
		.amdhsa_user_sgpr_count 2
		.amdhsa_user_sgpr_dispatch_ptr 0
		.amdhsa_user_sgpr_queue_ptr 0
		.amdhsa_user_sgpr_kernarg_segment_ptr 1
		.amdhsa_user_sgpr_dispatch_id 0
		.amdhsa_user_sgpr_kernarg_preload_length 0
		.amdhsa_user_sgpr_kernarg_preload_offset 0
		.amdhsa_user_sgpr_private_segment_size 0
		.amdhsa_uses_dynamic_stack 0
		.amdhsa_enable_private_segment 0
		.amdhsa_system_sgpr_workgroup_id_x 1
		.amdhsa_system_sgpr_workgroup_id_y 1
		.amdhsa_system_sgpr_workgroup_id_z 0
		.amdhsa_system_sgpr_workgroup_info 0
		.amdhsa_system_vgpr_workitem_id 0
		.amdhsa_next_free_vgpr 32
		.amdhsa_next_free_sgpr 12
		.amdhsa_accum_offset 32
		.amdhsa_reserve_vcc 1
		.amdhsa_float_round_mode_32 0
		.amdhsa_float_round_mode_16_64 0
		.amdhsa_float_denorm_mode_32 3
		.amdhsa_float_denorm_mode_16_64 3
		.amdhsa_dx10_clamp 1
		.amdhsa_ieee_mode 1
		.amdhsa_fp16_overflow 0
		.amdhsa_tg_split 0
		.amdhsa_exception_fp_ieee_invalid_op 0
		.amdhsa_exception_fp_denorm_src 0
		.amdhsa_exception_fp_ieee_div_zero 0
		.amdhsa_exception_fp_ieee_overflow 0
		.amdhsa_exception_fp_ieee_underflow 0
		.amdhsa_exception_fp_ieee_inexact 0
		.amdhsa_exception_int_div_zero 0
	.end_amdhsa_kernel
	.section	.text._ZN9rocsparseL39gtsv_spike_backward_substitution_kernelILj256ELj64E21rocsparse_complex_numIfEEEviiiPT1_PKS3_S6_,"axG",@progbits,_ZN9rocsparseL39gtsv_spike_backward_substitution_kernelILj256ELj64E21rocsparse_complex_numIfEEEviiiPT1_PKS3_S6_,comdat
.Lfunc_end245:
	.size	_ZN9rocsparseL39gtsv_spike_backward_substitution_kernelILj256ELj64E21rocsparse_complex_numIfEEEviiiPT1_PKS3_S6_, .Lfunc_end245-_ZN9rocsparseL39gtsv_spike_backward_substitution_kernelILj256ELj64E21rocsparse_complex_numIfEEEviiiPT1_PKS3_S6_
                                        ; -- End function
	.set _ZN9rocsparseL39gtsv_spike_backward_substitution_kernelILj256ELj64E21rocsparse_complex_numIfEEEviiiPT1_PKS3_S6_.num_vgpr, 32
	.set _ZN9rocsparseL39gtsv_spike_backward_substitution_kernelILj256ELj64E21rocsparse_complex_numIfEEEviiiPT1_PKS3_S6_.num_agpr, 0
	.set _ZN9rocsparseL39gtsv_spike_backward_substitution_kernelILj256ELj64E21rocsparse_complex_numIfEEEviiiPT1_PKS3_S6_.numbered_sgpr, 12
	.set _ZN9rocsparseL39gtsv_spike_backward_substitution_kernelILj256ELj64E21rocsparse_complex_numIfEEEviiiPT1_PKS3_S6_.num_named_barrier, 0
	.set _ZN9rocsparseL39gtsv_spike_backward_substitution_kernelILj256ELj64E21rocsparse_complex_numIfEEEviiiPT1_PKS3_S6_.private_seg_size, 0
	.set _ZN9rocsparseL39gtsv_spike_backward_substitution_kernelILj256ELj64E21rocsparse_complex_numIfEEEviiiPT1_PKS3_S6_.uses_vcc, 1
	.set _ZN9rocsparseL39gtsv_spike_backward_substitution_kernelILj256ELj64E21rocsparse_complex_numIfEEEviiiPT1_PKS3_S6_.uses_flat_scratch, 0
	.set _ZN9rocsparseL39gtsv_spike_backward_substitution_kernelILj256ELj64E21rocsparse_complex_numIfEEEviiiPT1_PKS3_S6_.has_dyn_sized_stack, 0
	.set _ZN9rocsparseL39gtsv_spike_backward_substitution_kernelILj256ELj64E21rocsparse_complex_numIfEEEviiiPT1_PKS3_S6_.has_recursion, 0
	.set _ZN9rocsparseL39gtsv_spike_backward_substitution_kernelILj256ELj64E21rocsparse_complex_numIfEEEviiiPT1_PKS3_S6_.has_indirect_call, 0
	.section	.AMDGPU.csdata,"",@progbits
; Kernel info:
; codeLenInByte = 608
; TotalNumSgprs: 18
; NumVgprs: 32
; NumAgprs: 0
; TotalNumVgprs: 32
; ScratchSize: 0
; MemoryBound: 0
; FloatMode: 240
; IeeeMode: 1
; LDSByteSize: 0 bytes/workgroup (compile time only)
; SGPRBlocks: 2
; VGPRBlocks: 3
; NumSGPRsForWavesPerEU: 18
; NumVGPRsForWavesPerEU: 32
; AccumOffset: 32
; Occupancy: 8
; WaveLimiterHint : 0
; COMPUTE_PGM_RSRC2:SCRATCH_EN: 0
; COMPUTE_PGM_RSRC2:USER_SGPR: 2
; COMPUTE_PGM_RSRC2:TRAP_HANDLER: 0
; COMPUTE_PGM_RSRC2:TGID_X_EN: 1
; COMPUTE_PGM_RSRC2:TGID_Y_EN: 1
; COMPUTE_PGM_RSRC2:TGID_Z_EN: 0
; COMPUTE_PGM_RSRC2:TIDIG_COMP_CNT: 0
; COMPUTE_PGM_RSRC3_GFX90A:ACCUM_OFFSET: 7
; COMPUTE_PGM_RSRC3_GFX90A:TG_SPLIT: 0
	.section	.text._ZN9rocsparseL32gtsv_transpose_back_array_kernelILj256ELj64E21rocsparse_complex_numIfEEEviiiPKT1_PS3_,"axG",@progbits,_ZN9rocsparseL32gtsv_transpose_back_array_kernelILj256ELj64E21rocsparse_complex_numIfEEEviiiPKT1_PS3_,comdat
	.globl	_ZN9rocsparseL32gtsv_transpose_back_array_kernelILj256ELj64E21rocsparse_complex_numIfEEEviiiPKT1_PS3_ ; -- Begin function _ZN9rocsparseL32gtsv_transpose_back_array_kernelILj256ELj64E21rocsparse_complex_numIfEEEviiiPKT1_PS3_
	.p2align	8
	.type	_ZN9rocsparseL32gtsv_transpose_back_array_kernelILj256ELj64E21rocsparse_complex_numIfEEEviiiPKT1_PS3_,@function
_ZN9rocsparseL32gtsv_transpose_back_array_kernelILj256ELj64E21rocsparse_complex_numIfEEEviiiPKT1_PS3_: ; @_ZN9rocsparseL32gtsv_transpose_back_array_kernelILj256ELj64E21rocsparse_complex_numIfEEEviiiPKT1_PS3_
; %bb.0:
	s_load_dwordx4 s[4:7], s[0:1], 0x0
	v_lshl_or_b32 v0, s2, 8, v0
	v_lshlrev_b32_e32 v2, 6, v0
	s_waitcnt lgkmcnt(0)
	v_cvt_f32_u32_e32 v1, s5
	s_sub_i32 s2, 0, s5
	v_rcp_iflag_f32_e32 v1, v1
	s_nop 0
	v_mul_f32_e32 v1, 0x4f7ffffe, v1
	v_cvt_u32_f32_e32 v1, v1
	v_mul_lo_u32 v3, s2, v1
	v_mul_hi_u32 v3, v1, v3
	v_add_u32_e32 v1, v1, v3
	v_mul_hi_u32 v1, v2, v1
	v_mul_lo_u32 v3, v1, s5
	v_sub_u32_e32 v3, v2, v3
	v_add_u32_e32 v4, 1, v1
	v_cmp_le_u32_e32 vcc, s5, v3
	s_nop 1
	v_cndmask_b32_e32 v1, v1, v4, vcc
	v_subrev_u32_e32 v4, s5, v3
	v_cndmask_b32_e32 v3, v3, v4, vcc
	v_add_u32_e32 v4, 1, v1
	v_cmp_le_u32_e32 vcc, s5, v3
	s_nop 1
	v_cndmask_b32_e32 v1, v1, v4, vcc
	v_mul_lo_u32 v3, v1, s5
	v_sub_u32_e32 v2, v2, v3
	v_add_u32_e32 v1, v1, v2
	v_cmp_gt_i32_e32 vcc, s4, v1
	s_and_saveexec_b64 s[8:9], vcc
	s_cbranch_execz .LBB246_2
; %bb.1:
	s_load_dwordx4 s[8:11], s[0:1], 0x10
	s_mul_i32 s0, s5, s3
	v_add_u32_e32 v2, s0, v0
	v_ashrrev_i32_e32 v3, 31, v2
	s_mul_i32 s0, s6, s3
	s_waitcnt lgkmcnt(0)
	v_lshl_add_u64 v[2:3], v[2:3], 3, s[8:9]
	global_load_dwordx2 v[2:3], v[2:3], off
	v_add_u32_e32 v0, s0, v1
	v_ashrrev_i32_e32 v1, 31, v0
	v_lshl_add_u64 v[0:1], v[0:1], 3, s[10:11]
	s_waitcnt vmcnt(0)
	global_store_dwordx2 v[0:1], v[2:3], off
.LBB246_2:
	s_endpgm
	.section	.rodata,"a",@progbits
	.p2align	6, 0x0
	.amdhsa_kernel _ZN9rocsparseL32gtsv_transpose_back_array_kernelILj256ELj64E21rocsparse_complex_numIfEEEviiiPKT1_PS3_
		.amdhsa_group_segment_fixed_size 0
		.amdhsa_private_segment_fixed_size 0
		.amdhsa_kernarg_size 32
		.amdhsa_user_sgpr_count 2
		.amdhsa_user_sgpr_dispatch_ptr 0
		.amdhsa_user_sgpr_queue_ptr 0
		.amdhsa_user_sgpr_kernarg_segment_ptr 1
		.amdhsa_user_sgpr_dispatch_id 0
		.amdhsa_user_sgpr_kernarg_preload_length 0
		.amdhsa_user_sgpr_kernarg_preload_offset 0
		.amdhsa_user_sgpr_private_segment_size 0
		.amdhsa_uses_dynamic_stack 0
		.amdhsa_enable_private_segment 0
		.amdhsa_system_sgpr_workgroup_id_x 1
		.amdhsa_system_sgpr_workgroup_id_y 1
		.amdhsa_system_sgpr_workgroup_id_z 0
		.amdhsa_system_sgpr_workgroup_info 0
		.amdhsa_system_vgpr_workitem_id 0
		.amdhsa_next_free_vgpr 5
		.amdhsa_next_free_sgpr 12
		.amdhsa_accum_offset 8
		.amdhsa_reserve_vcc 1
		.amdhsa_float_round_mode_32 0
		.amdhsa_float_round_mode_16_64 0
		.amdhsa_float_denorm_mode_32 3
		.amdhsa_float_denorm_mode_16_64 3
		.amdhsa_dx10_clamp 1
		.amdhsa_ieee_mode 1
		.amdhsa_fp16_overflow 0
		.amdhsa_tg_split 0
		.amdhsa_exception_fp_ieee_invalid_op 0
		.amdhsa_exception_fp_denorm_src 0
		.amdhsa_exception_fp_ieee_div_zero 0
		.amdhsa_exception_fp_ieee_overflow 0
		.amdhsa_exception_fp_ieee_underflow 0
		.amdhsa_exception_fp_ieee_inexact 0
		.amdhsa_exception_int_div_zero 0
	.end_amdhsa_kernel
	.section	.text._ZN9rocsparseL32gtsv_transpose_back_array_kernelILj256ELj64E21rocsparse_complex_numIfEEEviiiPKT1_PS3_,"axG",@progbits,_ZN9rocsparseL32gtsv_transpose_back_array_kernelILj256ELj64E21rocsparse_complex_numIfEEEviiiPKT1_PS3_,comdat
.Lfunc_end246:
	.size	_ZN9rocsparseL32gtsv_transpose_back_array_kernelILj256ELj64E21rocsparse_complex_numIfEEEviiiPKT1_PS3_, .Lfunc_end246-_ZN9rocsparseL32gtsv_transpose_back_array_kernelILj256ELj64E21rocsparse_complex_numIfEEEviiiPKT1_PS3_
                                        ; -- End function
	.set _ZN9rocsparseL32gtsv_transpose_back_array_kernelILj256ELj64E21rocsparse_complex_numIfEEEviiiPKT1_PS3_.num_vgpr, 5
	.set _ZN9rocsparseL32gtsv_transpose_back_array_kernelILj256ELj64E21rocsparse_complex_numIfEEEviiiPKT1_PS3_.num_agpr, 0
	.set _ZN9rocsparseL32gtsv_transpose_back_array_kernelILj256ELj64E21rocsparse_complex_numIfEEEviiiPKT1_PS3_.numbered_sgpr, 12
	.set _ZN9rocsparseL32gtsv_transpose_back_array_kernelILj256ELj64E21rocsparse_complex_numIfEEEviiiPKT1_PS3_.num_named_barrier, 0
	.set _ZN9rocsparseL32gtsv_transpose_back_array_kernelILj256ELj64E21rocsparse_complex_numIfEEEviiiPKT1_PS3_.private_seg_size, 0
	.set _ZN9rocsparseL32gtsv_transpose_back_array_kernelILj256ELj64E21rocsparse_complex_numIfEEEviiiPKT1_PS3_.uses_vcc, 1
	.set _ZN9rocsparseL32gtsv_transpose_back_array_kernelILj256ELj64E21rocsparse_complex_numIfEEEviiiPKT1_PS3_.uses_flat_scratch, 0
	.set _ZN9rocsparseL32gtsv_transpose_back_array_kernelILj256ELj64E21rocsparse_complex_numIfEEEviiiPKT1_PS3_.has_dyn_sized_stack, 0
	.set _ZN9rocsparseL32gtsv_transpose_back_array_kernelILj256ELj64E21rocsparse_complex_numIfEEEviiiPKT1_PS3_.has_recursion, 0
	.set _ZN9rocsparseL32gtsv_transpose_back_array_kernelILj256ELj64E21rocsparse_complex_numIfEEEviiiPKT1_PS3_.has_indirect_call, 0
	.section	.AMDGPU.csdata,"",@progbits
; Kernel info:
; codeLenInByte = 236
; TotalNumSgprs: 18
; NumVgprs: 5
; NumAgprs: 0
; TotalNumVgprs: 5
; ScratchSize: 0
; MemoryBound: 0
; FloatMode: 240
; IeeeMode: 1
; LDSByteSize: 0 bytes/workgroup (compile time only)
; SGPRBlocks: 2
; VGPRBlocks: 0
; NumSGPRsForWavesPerEU: 18
; NumVGPRsForWavesPerEU: 5
; AccumOffset: 8
; Occupancy: 8
; WaveLimiterHint : 0
; COMPUTE_PGM_RSRC2:SCRATCH_EN: 0
; COMPUTE_PGM_RSRC2:USER_SGPR: 2
; COMPUTE_PGM_RSRC2:TRAP_HANDLER: 0
; COMPUTE_PGM_RSRC2:TGID_X_EN: 1
; COMPUTE_PGM_RSRC2:TGID_Y_EN: 1
; COMPUTE_PGM_RSRC2:TGID_Z_EN: 0
; COMPUTE_PGM_RSRC2:TIDIG_COMP_CNT: 0
; COMPUTE_PGM_RSRC3_GFX90A:ACCUM_OFFSET: 1
; COMPUTE_PGM_RSRC3_GFX90A:TG_SPLIT: 0
	.section	.text._ZN9rocsparseL42gtsv_transpose_and_pad_array_shared_kernelILj256ELj128E21rocsparse_complex_numIfEEEviiiPKT1_PS3_S3_,"axG",@progbits,_ZN9rocsparseL42gtsv_transpose_and_pad_array_shared_kernelILj256ELj128E21rocsparse_complex_numIfEEEviiiPKT1_PS3_S3_,comdat
	.globl	_ZN9rocsparseL42gtsv_transpose_and_pad_array_shared_kernelILj256ELj128E21rocsparse_complex_numIfEEEviiiPKT1_PS3_S3_ ; -- Begin function _ZN9rocsparseL42gtsv_transpose_and_pad_array_shared_kernelILj256ELj128E21rocsparse_complex_numIfEEEviiiPKT1_PS3_S3_
	.p2align	8
	.type	_ZN9rocsparseL42gtsv_transpose_and_pad_array_shared_kernelILj256ELj128E21rocsparse_complex_numIfEEEviiiPKT1_PS3_S3_,@function
_ZN9rocsparseL42gtsv_transpose_and_pad_array_shared_kernelILj256ELj128E21rocsparse_complex_numIfEEEviiiPKT1_PS3_S3_: ; @_ZN9rocsparseL42gtsv_transpose_and_pad_array_shared_kernelILj256ELj128E21rocsparse_complex_numIfEEEviiiPKT1_PS3_S3_
; %bb.0:
	s_load_dwordx4 s[4:7], s[0:1], 0x0
	v_lshl_or_b32 v1, s2, 8, v0
                                        ; implicit-def: $sgpr10_sgpr11
	s_waitcnt lgkmcnt(0)
	v_cmp_le_i32_e32 vcc, s4, v1
	s_and_saveexec_b64 s[8:9], vcc
	s_xor_b64 s[8:9], exec, s[8:9]
; %bb.1:
	s_load_dwordx2 s[10:11], s[0:1], 0x20
                                        ; implicit-def: $vgpr1
; %bb.2:
	s_or_saveexec_b64 s[8:9], s[8:9]
	s_waitcnt lgkmcnt(0)
	v_mov_b64_e32 v[4:5], s[10:11]
	s_xor_b64 exec, exec, s[8:9]
	s_cbranch_execz .LBB247_4
; %bb.3:
	s_load_dwordx2 s[10:11], s[0:1], 0x10
	s_mul_i32 s4, s6, s3
	v_add_u32_e32 v2, s4, v1
	v_ashrrev_i32_e32 v3, 31, v2
	s_waitcnt lgkmcnt(0)
	v_lshl_add_u64 v[2:3], v[2:3], 3, s[10:11]
	global_load_dwordx2 v[4:5], v[2:3], off
.LBB247_4:
	s_or_b64 exec, exec, s[8:9]
	v_lshrrev_b32_e32 v2, 1, v0
	v_and_b32_e32 v3, 1, v0
	v_lshlrev_b32_e32 v0, 3, v0
	s_waitcnt vmcnt(0)
	ds_write_b64 v0, v[4:5]
	s_lshr_b32 s4, s5, 7
	v_lshl_or_b32 v0, s2, 1, v3
	v_mad_u64_u32 v[0:1], s[6:7], s4, v2, v[0:1]
	v_cmp_gt_i32_e32 vcc, s5, v0
	s_waitcnt lgkmcnt(0)
	s_barrier
	s_and_saveexec_b64 s[6:7], vcc
	s_cbranch_execz .LBB247_6
; %bb.5:
	v_lshlrev_b32_e32 v1, 3, v2
	s_load_dwordx2 s[0:1], s[0:1], 0x18
	v_lshl_or_b32 v1, v3, 10, v1
	ds_read_b64 v[2:3], v1
	s_mul_i32 s2, s5, s3
	v_add_u32_e32 v0, s2, v0
	v_ashrrev_i32_e32 v1, 31, v0
	s_waitcnt lgkmcnt(0)
	v_lshl_add_u64 v[0:1], v[0:1], 3, s[0:1]
	global_store_dwordx2 v[0:1], v[2:3], off
.LBB247_6:
	s_endpgm
	.section	.rodata,"a",@progbits
	.p2align	6, 0x0
	.amdhsa_kernel _ZN9rocsparseL42gtsv_transpose_and_pad_array_shared_kernelILj256ELj128E21rocsparse_complex_numIfEEEviiiPKT1_PS3_S3_
		.amdhsa_group_segment_fixed_size 2048
		.amdhsa_private_segment_fixed_size 0
		.amdhsa_kernarg_size 40
		.amdhsa_user_sgpr_count 2
		.amdhsa_user_sgpr_dispatch_ptr 0
		.amdhsa_user_sgpr_queue_ptr 0
		.amdhsa_user_sgpr_kernarg_segment_ptr 1
		.amdhsa_user_sgpr_dispatch_id 0
		.amdhsa_user_sgpr_kernarg_preload_length 0
		.amdhsa_user_sgpr_kernarg_preload_offset 0
		.amdhsa_user_sgpr_private_segment_size 0
		.amdhsa_uses_dynamic_stack 0
		.amdhsa_enable_private_segment 0
		.amdhsa_system_sgpr_workgroup_id_x 1
		.amdhsa_system_sgpr_workgroup_id_y 1
		.amdhsa_system_sgpr_workgroup_id_z 0
		.amdhsa_system_sgpr_workgroup_info 0
		.amdhsa_system_vgpr_workitem_id 0
		.amdhsa_next_free_vgpr 6
		.amdhsa_next_free_sgpr 12
		.amdhsa_accum_offset 8
		.amdhsa_reserve_vcc 1
		.amdhsa_float_round_mode_32 0
		.amdhsa_float_round_mode_16_64 0
		.amdhsa_float_denorm_mode_32 3
		.amdhsa_float_denorm_mode_16_64 3
		.amdhsa_dx10_clamp 1
		.amdhsa_ieee_mode 1
		.amdhsa_fp16_overflow 0
		.amdhsa_tg_split 0
		.amdhsa_exception_fp_ieee_invalid_op 0
		.amdhsa_exception_fp_denorm_src 0
		.amdhsa_exception_fp_ieee_div_zero 0
		.amdhsa_exception_fp_ieee_overflow 0
		.amdhsa_exception_fp_ieee_underflow 0
		.amdhsa_exception_fp_ieee_inexact 0
		.amdhsa_exception_int_div_zero 0
	.end_amdhsa_kernel
	.section	.text._ZN9rocsparseL42gtsv_transpose_and_pad_array_shared_kernelILj256ELj128E21rocsparse_complex_numIfEEEviiiPKT1_PS3_S3_,"axG",@progbits,_ZN9rocsparseL42gtsv_transpose_and_pad_array_shared_kernelILj256ELj128E21rocsparse_complex_numIfEEEviiiPKT1_PS3_S3_,comdat
.Lfunc_end247:
	.size	_ZN9rocsparseL42gtsv_transpose_and_pad_array_shared_kernelILj256ELj128E21rocsparse_complex_numIfEEEviiiPKT1_PS3_S3_, .Lfunc_end247-_ZN9rocsparseL42gtsv_transpose_and_pad_array_shared_kernelILj256ELj128E21rocsparse_complex_numIfEEEviiiPKT1_PS3_S3_
                                        ; -- End function
	.set _ZN9rocsparseL42gtsv_transpose_and_pad_array_shared_kernelILj256ELj128E21rocsparse_complex_numIfEEEviiiPKT1_PS3_S3_.num_vgpr, 6
	.set _ZN9rocsparseL42gtsv_transpose_and_pad_array_shared_kernelILj256ELj128E21rocsparse_complex_numIfEEEviiiPKT1_PS3_S3_.num_agpr, 0
	.set _ZN9rocsparseL42gtsv_transpose_and_pad_array_shared_kernelILj256ELj128E21rocsparse_complex_numIfEEEviiiPKT1_PS3_S3_.numbered_sgpr, 12
	.set _ZN9rocsparseL42gtsv_transpose_and_pad_array_shared_kernelILj256ELj128E21rocsparse_complex_numIfEEEviiiPKT1_PS3_S3_.num_named_barrier, 0
	.set _ZN9rocsparseL42gtsv_transpose_and_pad_array_shared_kernelILj256ELj128E21rocsparse_complex_numIfEEEviiiPKT1_PS3_S3_.private_seg_size, 0
	.set _ZN9rocsparseL42gtsv_transpose_and_pad_array_shared_kernelILj256ELj128E21rocsparse_complex_numIfEEEviiiPKT1_PS3_S3_.uses_vcc, 1
	.set _ZN9rocsparseL42gtsv_transpose_and_pad_array_shared_kernelILj256ELj128E21rocsparse_complex_numIfEEEviiiPKT1_PS3_S3_.uses_flat_scratch, 0
	.set _ZN9rocsparseL42gtsv_transpose_and_pad_array_shared_kernelILj256ELj128E21rocsparse_complex_numIfEEEviiiPKT1_PS3_S3_.has_dyn_sized_stack, 0
	.set _ZN9rocsparseL42gtsv_transpose_and_pad_array_shared_kernelILj256ELj128E21rocsparse_complex_numIfEEEviiiPKT1_PS3_S3_.has_recursion, 0
	.set _ZN9rocsparseL42gtsv_transpose_and_pad_array_shared_kernelILj256ELj128E21rocsparse_complex_numIfEEEviiiPKT1_PS3_S3_.has_indirect_call, 0
	.section	.AMDGPU.csdata,"",@progbits
; Kernel info:
; codeLenInByte = 232
; TotalNumSgprs: 18
; NumVgprs: 6
; NumAgprs: 0
; TotalNumVgprs: 6
; ScratchSize: 0
; MemoryBound: 0
; FloatMode: 240
; IeeeMode: 1
; LDSByteSize: 2048 bytes/workgroup (compile time only)
; SGPRBlocks: 2
; VGPRBlocks: 0
; NumSGPRsForWavesPerEU: 18
; NumVGPRsForWavesPerEU: 6
; AccumOffset: 8
; Occupancy: 8
; WaveLimiterHint : 0
; COMPUTE_PGM_RSRC2:SCRATCH_EN: 0
; COMPUTE_PGM_RSRC2:USER_SGPR: 2
; COMPUTE_PGM_RSRC2:TRAP_HANDLER: 0
; COMPUTE_PGM_RSRC2:TGID_X_EN: 1
; COMPUTE_PGM_RSRC2:TGID_Y_EN: 1
; COMPUTE_PGM_RSRC2:TGID_Z_EN: 0
; COMPUTE_PGM_RSRC2:TIDIG_COMP_CNT: 0
; COMPUTE_PGM_RSRC3_GFX90A:ACCUM_OFFSET: 1
; COMPUTE_PGM_RSRC3_GFX90A:TG_SPLIT: 0
	.section	.text._ZN9rocsparseL18gtsv_LBM_wv_kernelILj256ELj128E21rocsparse_complex_numIfEEEviiiPKT1_S5_S5_PS3_S6_S6_Pi,"axG",@progbits,_ZN9rocsparseL18gtsv_LBM_wv_kernelILj256ELj128E21rocsparse_complex_numIfEEEviiiPKT1_S5_S5_PS3_S6_S6_Pi,comdat
	.globl	_ZN9rocsparseL18gtsv_LBM_wv_kernelILj256ELj128E21rocsparse_complex_numIfEEEviiiPKT1_S5_S5_PS3_S6_S6_Pi ; -- Begin function _ZN9rocsparseL18gtsv_LBM_wv_kernelILj256ELj128E21rocsparse_complex_numIfEEEviiiPKT1_S5_S5_PS3_S6_S6_Pi
	.p2align	8
	.type	_ZN9rocsparseL18gtsv_LBM_wv_kernelILj256ELj128E21rocsparse_complex_numIfEEEviiiPKT1_S5_S5_PS3_S6_S6_Pi,@function
_ZN9rocsparseL18gtsv_LBM_wv_kernelILj256ELj128E21rocsparse_complex_numIfEEEviiiPKT1_S5_S5_PS3_S6_S6_Pi: ; @_ZN9rocsparseL18gtsv_LBM_wv_kernelILj256ELj128E21rocsparse_complex_numIfEEEviiiPKT1_S5_S5_PS3_S6_S6_Pi
; %bb.0:
	s_load_dword s29, s[0:1], 0x0
	v_lshl_or_b32 v0, s2, 8, v0
	s_waitcnt lgkmcnt(0)
	s_lshr_b32 s28, s29, 7
	v_cmp_gt_i32_e32 vcc, s28, v0
	s_and_saveexec_b64 s[2:3], vcc
	s_cbranch_execz .LBB248_72
; %bb.1:
	s_load_dwordx2 s[16:17], s[0:1], 0x10
	s_load_dwordx8 s[8:15], s[0:1], 0x20
	v_ashrrev_i32_e32 v1, 31, v0
	s_mul_i32 s30, s28, 0x7f
	v_lshlrev_b64 v[2:3], 3, v[0:1]
	v_add_u32_e32 v6, s30, v0
	v_mov_b32_e32 v7, 0
	s_waitcnt lgkmcnt(0)
	v_lshl_add_u64 v[4:5], s[16:17], 0, v[2:3]
	v_lshlrev_b64 v[8:9], 3, v[6:7]
	global_load_dwordx2 v[4:5], v[4:5], off
	v_lshl_add_u64 v[10:11], s[8:9], 0, v[8:9]
	global_load_dwordx2 v[10:11], v[10:11], off
	s_load_dwordx2 s[6:7], s[0:1], 0x40
	v_lshl_add_u64 v[2:3], s[10:11], 0, v[2:3]
	s_cmp_lt_i32 s29, 1
	v_add_u32_e32 v46, s28, v0
	v_lshl_add_u64 v[8:9], s[12:13], 0, v[8:9]
	s_waitcnt vmcnt(1)
	global_store_dwordx2 v[2:3], v[4:5], off
	s_waitcnt vmcnt(1)
	global_store_dwordx2 v[8:9], v[10:11], off
	v_mov_b32_e32 v4, v7
	s_cbranch_scc1 .LBB248_65
; %bb.2:
	s_load_dwordx2 s[18:19], s[0:1], 0x18
	s_mov_b32 s22, 0x372fe950
	s_mul_i32 s31, s28, 0x7e
	s_lshl_b32 s33, s28, 1
	v_mov_b32_e32 v50, 0
	s_waitcnt lgkmcnt(0)
	v_lshl_add_u64 v[4:5], v[0:1], 3, s[18:19]
	global_load_dwordx2 v[6:7], v[4:5], off
	v_add_u32_e32 v1, s28, v46
	s_mov_b64 s[20:21], 0
	s_mov_b32 s34, 0xf800000
	v_mov_b32_e32 v47, 0x260
	s_mov_b32 s23, 0x3fe3c6ef
	v_mov_b32_e32 v48, 2
	v_mov_b32_e32 v49, 1
	v_mov_b32_e32 v4, 0
	s_branch .LBB248_5
.LBB248_3:                              ;   in Loop: Header=BB248_5 Depth=1
	s_or_b64 exec, exec, s[4:5]
	v_xor_b32_e32 v8, 0x80000000, v25
	v_mov_b32_e32 v9, v24
	v_pk_mul_f32 v[8:9], v[16:17], v[8:9] op_sel_hi:[0,1]
	v_pk_fma_f32 v[6:7], v[24:25], v[6:7], v[8:9] op_sel_hi:[1,0,1]
	v_mov_b32_e32 v5, s28
	v_pk_add_f32 v[6:7], v[12:13], v[6:7] neg_lo:[0,1] neg_hi:[0,1]
.LBB248_4:                              ;   in Loop: Header=BB248_5 Depth=1
	s_or_b64 exec, exec, s[2:3]
	v_add_u32_e32 v4, v5, v4
	v_cmp_le_i32_e32 vcc, s29, v4
	s_or_b64 s[20:21], vcc, s[20:21]
	s_andn2_b64 exec, exec, s[20:21]
	s_cbranch_execz .LBB248_64
.LBB248_5:                              ; =>This Inner Loop Header: Depth=1
	v_add_u32_e32 v20, v4, v0
	v_ashrrev_i32_e32 v21, 31, v20
	v_lshl_add_u64 v[8:9], v[20:21], 3, s[8:9]
	global_load_dwordx2 v[14:15], v[8:9], off
	v_cmp_gt_u32_e64 s[0:1], s30, v4
	v_mov_b32_e32 v8, 0
	v_mov_b32_e32 v9, 0
	s_and_saveexec_b64 s[2:3], s[0:1]
	s_cbranch_execz .LBB248_7
; %bb.6:                                ;   in Loop: Header=BB248_5 Depth=1
	v_add_u32_e32 v8, v46, v4
	v_ashrrev_i32_e32 v9, 31, v8
	v_lshl_add_u64 v[8:9], v[8:9], 3, s[16:17]
	global_load_dwordx2 v[8:9], v[8:9], off
.LBB248_7:                              ;   in Loop: Header=BB248_5 Depth=1
	s_or_b64 exec, exec, s[2:3]
	v_mov_b32_e32 v11, 0
	v_mov_b32_e32 v12, 0
	v_mov_b32_e32 v13, 0
	s_and_saveexec_b64 s[2:3], s[0:1]
	s_cbranch_execz .LBB248_9
; %bb.8:                                ;   in Loop: Header=BB248_5 Depth=1
	v_add_u32_e32 v12, v46, v4
	v_ashrrev_i32_e32 v13, 31, v12
	v_lshl_add_u64 v[12:13], v[12:13], 3, s[18:19]
	global_load_dwordx2 v[12:13], v[12:13], off
.LBB248_9:                              ;   in Loop: Header=BB248_5 Depth=1
	s_or_b64 exec, exec, s[2:3]
	v_mov_b32_e32 v16, 0
	s_and_saveexec_b64 s[2:3], s[0:1]
	s_cbranch_execz .LBB248_11
; %bb.10:                               ;   in Loop: Header=BB248_5 Depth=1
	v_add_u32_e32 v10, v46, v4
	v_ashrrev_i32_e32 v11, 31, v10
	v_lshl_add_u64 v[10:11], v[10:11], 3, s[8:9]
	global_load_dwordx2 v[16:17], v[10:11], off
	s_waitcnt vmcnt(0)
	v_mov_b32_e32 v11, v16
	v_mov_b32_e32 v16, v17
.LBB248_11:                             ;   in Loop: Header=BB248_5 Depth=1
	s_or_b64 exec, exec, s[2:3]
	v_cmp_gt_u32_e64 s[2:3], s31, v4
	v_mov_b32_e32 v18, 0
	v_mov_b32_e32 v19, 0
	s_and_saveexec_b64 s[4:5], s[2:3]
	s_cbranch_execz .LBB248_13
; %bb.12:                               ;   in Loop: Header=BB248_5 Depth=1
	v_add_u32_e32 v18, v1, v4
	v_ashrrev_i32_e32 v19, 31, v18
	v_lshl_add_u64 v[18:19], v[18:19], 3, s[16:17]
	global_load_dwordx2 v[18:19], v[18:19], off
.LBB248_13:                             ;   in Loop: Header=BB248_5 Depth=1
	s_or_b64 exec, exec, s[4:5]
	s_waitcnt vmcnt(0)
	v_cmp_gt_f32_e32 vcc, 0, v8
                                        ; implicit-def: $vgpr5
	s_nop 1
	v_cndmask_b32_e64 v10, v8, -v8, vcc
	v_cmp_gt_f32_e32 vcc, 0, v9
	s_nop 1
	v_cndmask_b32_e64 v17, v9, -v9, vcc
	v_cmp_ngt_f32_e32 vcc, v10, v17
	s_and_saveexec_b64 s[4:5], vcc
	s_xor_b64 s[24:25], exec, s[4:5]
	s_cbranch_execz .LBB248_17
; %bb.14:                               ;   in Loop: Header=BB248_5 Depth=1
	v_mov_b32_e32 v5, 0
	v_cmp_neq_f32_e32 vcc, 0, v9
	s_and_saveexec_b64 s[26:27], vcc
	s_cbranch_execz .LBB248_16
; %bb.15:                               ;   in Loop: Header=BB248_5 Depth=1
	v_div_scale_f32 v5, s[4:5], v17, v17, v10
	v_rcp_f32_e32 v22, v5
	v_div_scale_f32 v23, vcc, v10, v17, v10
	v_fma_f32 v24, -v5, v22, 1.0
	v_fmac_f32_e32 v22, v24, v22
	v_mul_f32_e32 v24, v23, v22
	v_fma_f32 v25, -v5, v24, v23
	v_fmac_f32_e32 v24, v25, v22
	v_fma_f32 v5, -v5, v24, v23
	v_div_fmas_f32 v5, v5, v22, v24
	v_div_fixup_f32 v5, v5, v17, v10
	v_fma_f32 v5, v5, v5, 1.0
	v_mul_f32_e32 v10, 0x4f800000, v5
	v_cmp_gt_f32_e32 vcc, s34, v5
	s_nop 1
	v_cndmask_b32_e32 v5, v5, v10, vcc
	v_sqrt_f32_e32 v10, v5
	s_nop 0
	v_add_u32_e32 v22, -1, v10
	v_fma_f32 v23, -v22, v10, v5
	v_cmp_ge_f32_e64 s[4:5], 0, v23
	v_add_u32_e32 v23, 1, v10
	s_nop 0
	v_cndmask_b32_e64 v22, v10, v22, s[4:5]
	v_fma_f32 v10, -v23, v10, v5
	v_cmp_lt_f32_e64 s[4:5], 0, v10
	s_nop 1
	v_cndmask_b32_e64 v10, v22, v23, s[4:5]
	v_mul_f32_e32 v22, 0x37800000, v10
	v_cndmask_b32_e32 v10, v10, v22, vcc
	v_cmp_class_f32_e32 vcc, v5, v47
	s_nop 1
	v_cndmask_b32_e32 v5, v10, v5, vcc
	v_mul_f32_e32 v5, v17, v5
.LBB248_16:                             ;   in Loop: Header=BB248_5 Depth=1
	s_or_b64 exec, exec, s[26:27]
                                        ; implicit-def: $vgpr10
                                        ; implicit-def: $vgpr17
.LBB248_17:                             ;   in Loop: Header=BB248_5 Depth=1
	s_andn2_saveexec_b64 s[24:25], s[24:25]
	s_cbranch_execz .LBB248_19
; %bb.18:                               ;   in Loop: Header=BB248_5 Depth=1
	v_div_scale_f32 v5, s[4:5], v10, v10, v17
	v_rcp_f32_e32 v22, v5
	v_div_scale_f32 v23, vcc, v17, v10, v17
	v_fma_f32 v24, -v5, v22, 1.0
	v_fmac_f32_e32 v22, v24, v22
	v_mul_f32_e32 v24, v23, v22
	v_fma_f32 v25, -v5, v24, v23
	v_fmac_f32_e32 v24, v25, v22
	v_fma_f32 v5, -v5, v24, v23
	v_div_fmas_f32 v5, v5, v22, v24
	v_div_fixup_f32 v5, v5, v10, v17
	v_fma_f32 v5, v5, v5, 1.0
	v_mul_f32_e32 v17, 0x4f800000, v5
	v_cmp_gt_f32_e32 vcc, s34, v5
	s_nop 1
	v_cndmask_b32_e32 v5, v5, v17, vcc
	v_sqrt_f32_e32 v17, v5
	s_nop 0
	v_add_u32_e32 v22, -1, v17
	v_fma_f32 v23, -v22, v17, v5
	v_cmp_ge_f32_e64 s[4:5], 0, v23
	v_add_u32_e32 v23, 1, v17
	s_nop 0
	v_cndmask_b32_e64 v22, v17, v22, s[4:5]
	v_fma_f32 v17, -v23, v17, v5
	v_cmp_lt_f32_e64 s[4:5], 0, v17
	s_nop 1
	v_cndmask_b32_e64 v17, v22, v23, s[4:5]
	v_mul_f32_e32 v22, 0x37800000, v17
	v_cndmask_b32_e32 v17, v17, v22, vcc
	v_cmp_class_f32_e32 vcc, v5, v47
	s_nop 1
	v_cndmask_b32_e32 v5, v17, v5, vcc
	v_mul_f32_e32 v5, v10, v5
.LBB248_19:                             ;   in Loop: Header=BB248_5 Depth=1
	s_or_b64 exec, exec, s[24:25]
	v_cmp_gt_f32_e32 vcc, 0, v18
                                        ; implicit-def: $vgpr10
	s_nop 1
	v_cndmask_b32_e64 v17, v18, -v18, vcc
	v_cmp_gt_f32_e32 vcc, 0, v19
	s_nop 1
	v_cndmask_b32_e64 v22, v19, -v19, vcc
	v_cmp_ngt_f32_e32 vcc, v17, v22
	s_and_saveexec_b64 s[4:5], vcc
	s_xor_b64 s[24:25], exec, s[4:5]
	s_cbranch_execz .LBB248_23
; %bb.20:                               ;   in Loop: Header=BB248_5 Depth=1
	v_mov_b32_e32 v10, 0
	v_cmp_neq_f32_e32 vcc, 0, v19
	s_and_saveexec_b64 s[26:27], vcc
	s_cbranch_execz .LBB248_22
; %bb.21:                               ;   in Loop: Header=BB248_5 Depth=1
	v_div_scale_f32 v10, s[4:5], v22, v22, v17
	v_rcp_f32_e32 v23, v10
	v_div_scale_f32 v24, vcc, v17, v22, v17
	v_fma_f32 v25, -v10, v23, 1.0
	v_fmac_f32_e32 v23, v25, v23
	v_mul_f32_e32 v25, v24, v23
	v_fma_f32 v26, -v10, v25, v24
	v_fmac_f32_e32 v25, v26, v23
	v_fma_f32 v10, -v10, v25, v24
	v_div_fmas_f32 v10, v10, v23, v25
	v_div_fixup_f32 v10, v10, v22, v17
	v_fma_f32 v10, v10, v10, 1.0
	v_mul_f32_e32 v17, 0x4f800000, v10
	v_cmp_gt_f32_e32 vcc, s34, v10
	s_nop 1
	v_cndmask_b32_e32 v10, v10, v17, vcc
	v_sqrt_f32_e32 v17, v10
	s_nop 0
	v_add_u32_e32 v23, -1, v17
	v_fma_f32 v24, -v23, v17, v10
	v_cmp_ge_f32_e64 s[4:5], 0, v24
	v_add_u32_e32 v24, 1, v17
	s_nop 0
	v_cndmask_b32_e64 v23, v17, v23, s[4:5]
	v_fma_f32 v17, -v24, v17, v10
	v_cmp_lt_f32_e64 s[4:5], 0, v17
	s_nop 1
	v_cndmask_b32_e64 v17, v23, v24, s[4:5]
	v_mul_f32_e32 v23, 0x37800000, v17
	v_cndmask_b32_e32 v17, v17, v23, vcc
	v_cmp_class_f32_e32 vcc, v10, v47
	s_nop 1
	v_cndmask_b32_e32 v10, v17, v10, vcc
	v_mul_f32_e32 v10, v22, v10
.LBB248_22:                             ;   in Loop: Header=BB248_5 Depth=1
	s_or_b64 exec, exec, s[26:27]
                                        ; implicit-def: $vgpr17
                                        ; implicit-def: $vgpr22
.LBB248_23:                             ;   in Loop: Header=BB248_5 Depth=1
	s_andn2_saveexec_b64 s[24:25], s[24:25]
	s_cbranch_execz .LBB248_25
; %bb.24:                               ;   in Loop: Header=BB248_5 Depth=1
	v_div_scale_f32 v10, s[4:5], v17, v17, v22
	v_rcp_f32_e32 v23, v10
	v_div_scale_f32 v24, vcc, v22, v17, v22
	v_fma_f32 v25, -v10, v23, 1.0
	v_fmac_f32_e32 v23, v25, v23
	v_mul_f32_e32 v25, v24, v23
	v_fma_f32 v26, -v10, v25, v24
	v_fmac_f32_e32 v25, v26, v23
	v_fma_f32 v10, -v10, v25, v24
	v_div_fmas_f32 v10, v10, v23, v25
	v_div_fixup_f32 v10, v10, v17, v22
	v_fma_f32 v10, v10, v10, 1.0
	v_mul_f32_e32 v22, 0x4f800000, v10
	v_cmp_gt_f32_e32 vcc, s34, v10
	s_nop 1
	v_cndmask_b32_e32 v10, v10, v22, vcc
	v_sqrt_f32_e32 v22, v10
	s_nop 0
	v_add_u32_e32 v23, -1, v22
	v_fma_f32 v24, -v23, v22, v10
	v_cmp_ge_f32_e64 s[4:5], 0, v24
	v_add_u32_e32 v24, 1, v22
	s_nop 0
	v_cndmask_b32_e64 v23, v22, v23, s[4:5]
	v_fma_f32 v22, -v24, v22, v10
	v_cmp_lt_f32_e64 s[4:5], 0, v22
	s_nop 1
	v_cndmask_b32_e64 v22, v23, v24, s[4:5]
	v_mul_f32_e32 v23, 0x37800000, v22
	v_cndmask_b32_e32 v22, v22, v23, vcc
	v_cmp_class_f32_e32 vcc, v10, v47
	s_nop 1
	v_cndmask_b32_e32 v10, v22, v10, vcc
	v_mul_f32_e32 v10, v17, v10
.LBB248_25:                             ;   in Loop: Header=BB248_5 Depth=1
	s_or_b64 exec, exec, s[24:25]
	v_cmp_gt_f32_e32 vcc, 0, v12
                                        ; implicit-def: $vgpr17
	s_nop 1
	v_cndmask_b32_e64 v22, v12, -v12, vcc
	v_cmp_gt_f32_e32 vcc, 0, v13
	s_nop 1
	v_cndmask_b32_e64 v23, v13, -v13, vcc
	v_cmp_ngt_f32_e32 vcc, v22, v23
	s_and_saveexec_b64 s[4:5], vcc
	s_xor_b64 s[24:25], exec, s[4:5]
	s_cbranch_execz .LBB248_29
; %bb.26:                               ;   in Loop: Header=BB248_5 Depth=1
	v_mov_b32_e32 v17, 0
	v_cmp_neq_f32_e32 vcc, 0, v13
	s_and_saveexec_b64 s[26:27], vcc
	s_cbranch_execz .LBB248_28
; %bb.27:                               ;   in Loop: Header=BB248_5 Depth=1
	v_div_scale_f32 v17, s[4:5], v23, v23, v22
	v_rcp_f32_e32 v24, v17
	v_div_scale_f32 v25, vcc, v22, v23, v22
	v_fma_f32 v26, -v17, v24, 1.0
	v_fmac_f32_e32 v24, v26, v24
	v_mul_f32_e32 v26, v25, v24
	v_fma_f32 v27, -v17, v26, v25
	v_fmac_f32_e32 v26, v27, v24
	v_fma_f32 v17, -v17, v26, v25
	v_div_fmas_f32 v17, v17, v24, v26
	v_div_fixup_f32 v17, v17, v23, v22
	v_fma_f32 v17, v17, v17, 1.0
	v_mul_f32_e32 v22, 0x4f800000, v17
	v_cmp_gt_f32_e32 vcc, s34, v17
	s_nop 1
	v_cndmask_b32_e32 v17, v17, v22, vcc
	v_sqrt_f32_e32 v22, v17
	s_nop 0
	v_add_u32_e32 v24, -1, v22
	v_fma_f32 v25, -v24, v22, v17
	v_cmp_ge_f32_e64 s[4:5], 0, v25
	v_add_u32_e32 v25, 1, v22
	s_nop 0
	v_cndmask_b32_e64 v24, v22, v24, s[4:5]
	v_fma_f32 v22, -v25, v22, v17
	v_cmp_lt_f32_e64 s[4:5], 0, v22
	s_nop 1
	v_cndmask_b32_e64 v22, v24, v25, s[4:5]
	v_mul_f32_e32 v24, 0x37800000, v22
	v_cndmask_b32_e32 v22, v22, v24, vcc
	v_cmp_class_f32_e32 vcc, v17, v47
	s_nop 1
	v_cndmask_b32_e32 v17, v22, v17, vcc
	v_mul_f32_e32 v17, v23, v17
.LBB248_28:                             ;   in Loop: Header=BB248_5 Depth=1
	s_or_b64 exec, exec, s[26:27]
                                        ; implicit-def: $vgpr22
                                        ; implicit-def: $vgpr23
.LBB248_29:                             ;   in Loop: Header=BB248_5 Depth=1
	s_andn2_saveexec_b64 s[24:25], s[24:25]
	s_cbranch_execz .LBB248_31
; %bb.30:                               ;   in Loop: Header=BB248_5 Depth=1
	v_div_scale_f32 v17, s[4:5], v22, v22, v23
	v_rcp_f32_e32 v24, v17
	v_div_scale_f32 v25, vcc, v23, v22, v23
	v_fma_f32 v26, -v17, v24, 1.0
	v_fmac_f32_e32 v24, v26, v24
	v_mul_f32_e32 v26, v25, v24
	v_fma_f32 v27, -v17, v26, v25
	v_fmac_f32_e32 v26, v27, v24
	v_fma_f32 v17, -v17, v26, v25
	v_div_fmas_f32 v17, v17, v24, v26
	v_div_fixup_f32 v17, v17, v22, v23
	v_fma_f32 v17, v17, v17, 1.0
	v_mul_f32_e32 v23, 0x4f800000, v17
	v_cmp_gt_f32_e32 vcc, s34, v17
	s_nop 1
	v_cndmask_b32_e32 v17, v17, v23, vcc
	v_sqrt_f32_e32 v23, v17
	s_nop 0
	v_add_u32_e32 v24, -1, v23
	v_fma_f32 v25, -v24, v23, v17
	v_cmp_ge_f32_e64 s[4:5], 0, v25
	v_add_u32_e32 v25, 1, v23
	s_nop 0
	v_cndmask_b32_e64 v24, v23, v24, s[4:5]
	v_fma_f32 v23, -v25, v23, v17
	v_cmp_lt_f32_e64 s[4:5], 0, v23
	s_nop 1
	v_cndmask_b32_e64 v23, v24, v25, s[4:5]
	v_mul_f32_e32 v24, 0x37800000, v23
	v_cndmask_b32_e32 v23, v23, v24, vcc
	v_cmp_class_f32_e32 vcc, v17, v47
	s_nop 1
	v_cndmask_b32_e32 v17, v23, v17, vcc
	v_mul_f32_e32 v17, v22, v17
.LBB248_31:                             ;   in Loop: Header=BB248_5 Depth=1
	s_or_b64 exec, exec, s[24:25]
	v_cmp_gt_f32_e32 vcc, 0, v14
                                        ; implicit-def: $vgpr28
	s_nop 1
	v_cndmask_b32_e64 v22, v14, -v14, vcc
	v_cmp_gt_f32_e32 vcc, 0, v15
	s_nop 1
	v_cndmask_b32_e64 v23, v15, -v15, vcc
	v_cmp_ngt_f32_e32 vcc, v22, v23
	s_and_saveexec_b64 s[4:5], vcc
	s_xor_b64 s[24:25], exec, s[4:5]
	s_cbranch_execz .LBB248_35
; %bb.32:                               ;   in Loop: Header=BB248_5 Depth=1
	v_mov_b32_e32 v28, 0
	v_cmp_neq_f32_e32 vcc, 0, v15
	s_and_saveexec_b64 s[26:27], vcc
	s_cbranch_execz .LBB248_34
; %bb.33:                               ;   in Loop: Header=BB248_5 Depth=1
	v_div_scale_f32 v24, s[4:5], v23, v23, v22
	v_rcp_f32_e32 v25, v24
	v_div_scale_f32 v26, vcc, v22, v23, v22
	v_fma_f32 v27, -v24, v25, 1.0
	v_fmac_f32_e32 v25, v27, v25
	v_mul_f32_e32 v27, v26, v25
	v_fma_f32 v28, -v24, v27, v26
	v_fmac_f32_e32 v27, v28, v25
	v_fma_f32 v24, -v24, v27, v26
	v_div_fmas_f32 v24, v24, v25, v27
	v_div_fixup_f32 v22, v24, v23, v22
	v_fma_f32 v22, v22, v22, 1.0
	v_mul_f32_e32 v24, 0x4f800000, v22
	v_cmp_gt_f32_e32 vcc, s34, v22
	s_nop 1
	v_cndmask_b32_e32 v22, v22, v24, vcc
	v_sqrt_f32_e32 v24, v22
	s_nop 0
	v_add_u32_e32 v25, -1, v24
	v_fma_f32 v26, -v25, v24, v22
	v_cmp_ge_f32_e64 s[4:5], 0, v26
	v_add_u32_e32 v26, 1, v24
	s_nop 0
	v_cndmask_b32_e64 v25, v24, v25, s[4:5]
	v_fma_f32 v24, -v26, v24, v22
	v_cmp_lt_f32_e64 s[4:5], 0, v24
	s_nop 1
	v_cndmask_b32_e64 v24, v25, v26, s[4:5]
	v_mul_f32_e32 v25, 0x37800000, v24
	v_cndmask_b32_e32 v24, v24, v25, vcc
	v_cmp_class_f32_e32 vcc, v22, v47
	s_nop 1
	v_cndmask_b32_e32 v22, v24, v22, vcc
	v_mul_f32_e32 v28, v23, v22
.LBB248_34:                             ;   in Loop: Header=BB248_5 Depth=1
	s_or_b64 exec, exec, s[26:27]
                                        ; implicit-def: $vgpr22
                                        ; implicit-def: $vgpr23
.LBB248_35:                             ;   in Loop: Header=BB248_5 Depth=1
	s_andn2_saveexec_b64 s[24:25], s[24:25]
	s_cbranch_execz .LBB248_37
; %bb.36:                               ;   in Loop: Header=BB248_5 Depth=1
	v_div_scale_f32 v24, s[4:5], v22, v22, v23
	v_rcp_f32_e32 v25, v24
	v_div_scale_f32 v26, vcc, v23, v22, v23
	v_fma_f32 v27, -v24, v25, 1.0
	v_fmac_f32_e32 v25, v27, v25
	v_mul_f32_e32 v27, v26, v25
	v_fma_f32 v28, -v24, v27, v26
	v_fmac_f32_e32 v27, v28, v25
	v_fma_f32 v24, -v24, v27, v26
	v_div_fmas_f32 v24, v24, v25, v27
	v_div_fixup_f32 v23, v24, v22, v23
	v_fma_f32 v23, v23, v23, 1.0
	v_mul_f32_e32 v24, 0x4f800000, v23
	v_cmp_gt_f32_e32 vcc, s34, v23
	s_nop 1
	v_cndmask_b32_e32 v23, v23, v24, vcc
	v_sqrt_f32_e32 v24, v23
	s_nop 0
	v_add_u32_e32 v25, -1, v24
	v_fma_f32 v26, -v25, v24, v23
	v_cmp_ge_f32_e64 s[4:5], 0, v26
	v_add_u32_e32 v26, 1, v24
	s_nop 0
	v_cndmask_b32_e64 v25, v24, v25, s[4:5]
	v_fma_f32 v24, -v26, v24, v23
	v_cmp_lt_f32_e64 s[4:5], 0, v24
	s_nop 1
	v_cndmask_b32_e64 v24, v25, v26, s[4:5]
	v_mul_f32_e32 v25, 0x37800000, v24
	v_cndmask_b32_e32 v24, v24, v25, vcc
	v_cmp_class_f32_e32 vcc, v23, v47
	s_nop 1
	v_cndmask_b32_e32 v23, v24, v23, vcc
	v_mul_f32_e32 v28, v22, v23
.LBB248_37:                             ;   in Loop: Header=BB248_5 Depth=1
	s_or_b64 exec, exec, s[24:25]
	v_cmp_gt_f32_e32 vcc, 0, v11
                                        ; implicit-def: $vgpr29
	s_nop 1
	v_cndmask_b32_e64 v22, v11, -v11, vcc
	v_cmp_gt_f32_e32 vcc, 0, v16
	s_nop 1
	v_cndmask_b32_e64 v23, v16, -v16, vcc
	v_cmp_ngt_f32_e32 vcc, v22, v23
	s_and_saveexec_b64 s[4:5], vcc
	s_xor_b64 s[24:25], exec, s[4:5]
	s_cbranch_execz .LBB248_41
; %bb.38:                               ;   in Loop: Header=BB248_5 Depth=1
	v_mov_b32_e32 v29, 0
	v_cmp_neq_f32_e32 vcc, 0, v16
	s_and_saveexec_b64 s[26:27], vcc
	s_cbranch_execz .LBB248_40
; %bb.39:                               ;   in Loop: Header=BB248_5 Depth=1
	v_div_scale_f32 v24, s[4:5], v23, v23, v22
	v_rcp_f32_e32 v25, v24
	v_div_scale_f32 v26, vcc, v22, v23, v22
	v_fma_f32 v27, -v24, v25, 1.0
	v_fmac_f32_e32 v25, v27, v25
	v_mul_f32_e32 v27, v26, v25
	v_fma_f32 v29, -v24, v27, v26
	v_fmac_f32_e32 v27, v29, v25
	v_fma_f32 v24, -v24, v27, v26
	v_div_fmas_f32 v24, v24, v25, v27
	v_div_fixup_f32 v22, v24, v23, v22
	v_fma_f32 v22, v22, v22, 1.0
	v_mul_f32_e32 v24, 0x4f800000, v22
	v_cmp_gt_f32_e32 vcc, s34, v22
	s_nop 1
	v_cndmask_b32_e32 v22, v22, v24, vcc
	v_sqrt_f32_e32 v24, v22
	s_nop 0
	v_add_u32_e32 v25, -1, v24
	v_fma_f32 v26, -v25, v24, v22
	v_cmp_ge_f32_e64 s[4:5], 0, v26
	v_add_u32_e32 v26, 1, v24
	s_nop 0
	v_cndmask_b32_e64 v25, v24, v25, s[4:5]
	v_fma_f32 v24, -v26, v24, v22
	v_cmp_lt_f32_e64 s[4:5], 0, v24
	s_nop 1
	v_cndmask_b32_e64 v24, v25, v26, s[4:5]
	v_mul_f32_e32 v25, 0x37800000, v24
	v_cndmask_b32_e32 v24, v24, v25, vcc
	v_cmp_class_f32_e32 vcc, v22, v47
	s_nop 1
	v_cndmask_b32_e32 v22, v24, v22, vcc
	v_mul_f32_e32 v29, v23, v22
.LBB248_40:                             ;   in Loop: Header=BB248_5 Depth=1
	s_or_b64 exec, exec, s[26:27]
                                        ; implicit-def: $vgpr22
                                        ; implicit-def: $vgpr23
.LBB248_41:                             ;   in Loop: Header=BB248_5 Depth=1
	s_andn2_saveexec_b64 s[24:25], s[24:25]
	s_cbranch_execz .LBB248_43
; %bb.42:                               ;   in Loop: Header=BB248_5 Depth=1
	v_div_scale_f32 v24, s[4:5], v22, v22, v23
	v_rcp_f32_e32 v25, v24
	v_div_scale_f32 v26, vcc, v23, v22, v23
	v_fma_f32 v27, -v24, v25, 1.0
	v_fmac_f32_e32 v25, v27, v25
	v_mul_f32_e32 v27, v26, v25
	v_fma_f32 v29, -v24, v27, v26
	v_fmac_f32_e32 v27, v29, v25
	v_fma_f32 v24, -v24, v27, v26
	v_div_fmas_f32 v24, v24, v25, v27
	v_div_fixup_f32 v23, v24, v22, v23
	v_fma_f32 v23, v23, v23, 1.0
	v_mul_f32_e32 v24, 0x4f800000, v23
	v_cmp_gt_f32_e32 vcc, s34, v23
	s_nop 1
	v_cndmask_b32_e32 v23, v23, v24, vcc
	v_sqrt_f32_e32 v24, v23
	s_nop 0
	v_add_u32_e32 v25, -1, v24
	v_fma_f32 v26, -v25, v24, v23
	v_cmp_ge_f32_e64 s[4:5], 0, v26
	v_add_u32_e32 v26, 1, v24
	s_nop 0
	v_cndmask_b32_e64 v25, v24, v25, s[4:5]
	v_fma_f32 v24, -v26, v24, v23
	v_cmp_lt_f32_e64 s[4:5], 0, v24
	s_nop 1
	v_cndmask_b32_e64 v24, v25, v26, s[4:5]
	v_mul_f32_e32 v25, 0x37800000, v24
	v_cndmask_b32_e32 v24, v24, v25, vcc
	v_cmp_class_f32_e32 vcc, v23, v47
	s_nop 1
	v_cndmask_b32_e32 v23, v24, v23, vcc
	v_mul_f32_e32 v29, v22, v23
.LBB248_43:                             ;   in Loop: Header=BB248_5 Depth=1
	s_or_b64 exec, exec, s[24:25]
	v_cmp_gt_f32_e32 vcc, 0, v6
                                        ; implicit-def: $vgpr30
	s_nop 1
	v_cndmask_b32_e64 v22, v6, -v6, vcc
	v_cmp_gt_f32_e32 vcc, 0, v7
	s_nop 1
	v_cndmask_b32_e64 v23, v7, -v7, vcc
	v_cmp_ngt_f32_e32 vcc, v22, v23
	s_and_saveexec_b64 s[4:5], vcc
	s_xor_b64 s[24:25], exec, s[4:5]
	s_cbranch_execz .LBB248_47
; %bb.44:                               ;   in Loop: Header=BB248_5 Depth=1
	v_mov_b32_e32 v30, 0
	v_cmp_neq_f32_e32 vcc, 0, v7
	s_and_saveexec_b64 s[26:27], vcc
	s_cbranch_execz .LBB248_46
; %bb.45:                               ;   in Loop: Header=BB248_5 Depth=1
	v_div_scale_f32 v24, s[4:5], v23, v23, v22
	v_rcp_f32_e32 v25, v24
	v_div_scale_f32 v26, vcc, v22, v23, v22
	v_fma_f32 v27, -v24, v25, 1.0
	v_fmac_f32_e32 v25, v27, v25
	v_mul_f32_e32 v27, v26, v25
	v_fma_f32 v30, -v24, v27, v26
	v_fmac_f32_e32 v27, v30, v25
	v_fma_f32 v24, -v24, v27, v26
	v_div_fmas_f32 v24, v24, v25, v27
	v_div_fixup_f32 v22, v24, v23, v22
	v_fma_f32 v22, v22, v22, 1.0
	v_mul_f32_e32 v24, 0x4f800000, v22
	v_cmp_gt_f32_e32 vcc, s34, v22
	s_nop 1
	v_cndmask_b32_e32 v22, v22, v24, vcc
	v_sqrt_f32_e32 v24, v22
	s_nop 0
	v_add_u32_e32 v25, -1, v24
	v_fma_f32 v26, -v25, v24, v22
	v_cmp_ge_f32_e64 s[4:5], 0, v26
	v_add_u32_e32 v26, 1, v24
	s_nop 0
	v_cndmask_b32_e64 v25, v24, v25, s[4:5]
	v_fma_f32 v24, -v26, v24, v22
	v_cmp_lt_f32_e64 s[4:5], 0, v24
	s_nop 1
	v_cndmask_b32_e64 v24, v25, v26, s[4:5]
	v_mul_f32_e32 v25, 0x37800000, v24
	v_cndmask_b32_e32 v24, v24, v25, vcc
	v_cmp_class_f32_e32 vcc, v22, v47
	s_nop 1
	v_cndmask_b32_e32 v22, v24, v22, vcc
	v_mul_f32_e32 v30, v23, v22
.LBB248_46:                             ;   in Loop: Header=BB248_5 Depth=1
	s_or_b64 exec, exec, s[26:27]
                                        ; implicit-def: $vgpr22
                                        ; implicit-def: $vgpr23
.LBB248_47:                             ;   in Loop: Header=BB248_5 Depth=1
	s_andn2_saveexec_b64 s[24:25], s[24:25]
	s_cbranch_execz .LBB248_49
; %bb.48:                               ;   in Loop: Header=BB248_5 Depth=1
	v_div_scale_f32 v24, s[4:5], v22, v22, v23
	v_rcp_f32_e32 v25, v24
	v_div_scale_f32 v26, vcc, v23, v22, v23
	v_fma_f32 v27, -v24, v25, 1.0
	v_fmac_f32_e32 v25, v27, v25
	v_mul_f32_e32 v27, v26, v25
	v_fma_f32 v30, -v24, v27, v26
	v_fmac_f32_e32 v27, v30, v25
	v_fma_f32 v24, -v24, v27, v26
	v_div_fmas_f32 v24, v24, v25, v27
	v_div_fixup_f32 v23, v24, v22, v23
	v_fma_f32 v23, v23, v23, 1.0
	v_mul_f32_e32 v24, 0x4f800000, v23
	v_cmp_gt_f32_e32 vcc, s34, v23
	s_nop 1
	v_cndmask_b32_e32 v23, v23, v24, vcc
	v_sqrt_f32_e32 v24, v23
	s_nop 0
	v_add_u32_e32 v25, -1, v24
	v_fma_f32 v26, -v25, v24, v23
	v_cmp_ge_f32_e64 s[4:5], 0, v26
	v_add_u32_e32 v26, 1, v24
	s_nop 0
	v_cndmask_b32_e64 v25, v24, v25, s[4:5]
	v_fma_f32 v24, -v26, v24, v23
	v_cmp_lt_f32_e64 s[4:5], 0, v24
	s_nop 1
	v_cndmask_b32_e64 v24, v25, v26, s[4:5]
	v_mul_f32_e32 v25, 0x37800000, v24
	v_cndmask_b32_e32 v24, v24, v25, vcc
	v_cmp_class_f32_e32 vcc, v23, v47
	s_nop 1
	v_cndmask_b32_e32 v23, v24, v23, vcc
	v_mul_f32_e32 v30, v22, v23
.LBB248_49:                             ;   in Loop: Header=BB248_5 Depth=1
	s_or_b64 exec, exec, s[24:25]
	v_pk_add_f32 v[22:23], v[8:9], 0 neg_lo:[1,1] neg_hi:[1,1]
                                        ; implicit-def: $vgpr33
	s_nop 0
	v_pk_mov_b32 v[26:27], v[22:23], v[8:9] op_sel:[1,0]
	s_nop 0
	v_pk_mul_f32 v[24:25], v[14:15], v[26:27] op_sel:[1,0]
	s_nop 0
	v_pk_fma_f32 v[24:25], v[8:9], v[14:15], v[24:25] op_sel_hi:[1,0,1]
	s_nop 0
	v_cmp_gt_f32_e32 vcc, 0, v24
	s_nop 1
	v_cndmask_b32_e64 v31, v24, -v24, vcc
	v_cmp_gt_f32_e32 vcc, 0, v25
	s_nop 1
	v_cndmask_b32_e64 v32, v25, -v25, vcc
	v_cmp_ngt_f32_e32 vcc, v31, v32
	s_and_saveexec_b64 s[4:5], vcc
	s_xor_b64 s[24:25], exec, s[4:5]
	s_cbranch_execz .LBB248_53
; %bb.50:                               ;   in Loop: Header=BB248_5 Depth=1
	v_mov_b32_e32 v33, 0
	v_cmp_neq_f32_e32 vcc, 0, v25
	s_and_saveexec_b64 s[26:27], vcc
	s_cbranch_execz .LBB248_52
; %bb.51:                               ;   in Loop: Header=BB248_5 Depth=1
	v_div_scale_f32 v33, s[4:5], v32, v32, v31
	v_rcp_f32_e32 v34, v33
	v_div_scale_f32 v35, vcc, v31, v32, v31
	v_fma_f32 v36, -v33, v34, 1.0
	v_fmac_f32_e32 v34, v36, v34
	v_mul_f32_e32 v36, v35, v34
	v_fma_f32 v37, -v33, v36, v35
	v_fmac_f32_e32 v36, v37, v34
	v_fma_f32 v33, -v33, v36, v35
	v_div_fmas_f32 v33, v33, v34, v36
	v_div_fixup_f32 v31, v33, v32, v31
	v_fma_f32 v31, v31, v31, 1.0
	v_mul_f32_e32 v33, 0x4f800000, v31
	v_cmp_gt_f32_e32 vcc, s34, v31
	s_nop 1
	v_cndmask_b32_e32 v31, v31, v33, vcc
	v_sqrt_f32_e32 v33, v31
	s_nop 0
	v_add_u32_e32 v34, -1, v33
	v_fma_f32 v35, -v34, v33, v31
	v_cmp_ge_f32_e64 s[4:5], 0, v35
	v_add_u32_e32 v35, 1, v33
	s_nop 0
	v_cndmask_b32_e64 v34, v33, v34, s[4:5]
	v_fma_f32 v33, -v35, v33, v31
	v_cmp_lt_f32_e64 s[4:5], 0, v33
	s_nop 1
	v_cndmask_b32_e64 v33, v34, v35, s[4:5]
	v_mul_f32_e32 v34, 0x37800000, v33
	v_cndmask_b32_e32 v33, v33, v34, vcc
	v_cmp_class_f32_e32 vcc, v31, v47
	s_nop 1
	v_cndmask_b32_e32 v31, v33, v31, vcc
	v_mul_f32_e32 v33, v32, v31
.LBB248_52:                             ;   in Loop: Header=BB248_5 Depth=1
	s_or_b64 exec, exec, s[26:27]
                                        ; implicit-def: $vgpr31
                                        ; implicit-def: $vgpr32
.LBB248_53:                             ;   in Loop: Header=BB248_5 Depth=1
	s_andn2_saveexec_b64 s[24:25], s[24:25]
	s_cbranch_execz .LBB248_55
; %bb.54:                               ;   in Loop: Header=BB248_5 Depth=1
	v_div_scale_f32 v33, s[4:5], v31, v31, v32
	v_rcp_f32_e32 v34, v33
	v_div_scale_f32 v35, vcc, v32, v31, v32
	v_fma_f32 v36, -v33, v34, 1.0
	v_fmac_f32_e32 v34, v36, v34
	v_mul_f32_e32 v36, v35, v34
	v_fma_f32 v37, -v33, v36, v35
	v_fmac_f32_e32 v36, v37, v34
	v_fma_f32 v33, -v33, v36, v35
	v_div_fmas_f32 v33, v33, v34, v36
	v_div_fixup_f32 v32, v33, v31, v32
	v_fma_f32 v32, v32, v32, 1.0
	v_mul_f32_e32 v33, 0x4f800000, v32
	v_cmp_gt_f32_e32 vcc, s34, v32
	s_nop 1
	v_cndmask_b32_e32 v32, v32, v33, vcc
	v_sqrt_f32_e32 v33, v32
	s_nop 0
	v_add_u32_e32 v34, -1, v33
	v_fma_f32 v35, -v34, v33, v32
	v_cmp_ge_f32_e64 s[4:5], 0, v35
	v_add_u32_e32 v35, 1, v33
	s_nop 0
	v_cndmask_b32_e64 v34, v33, v34, s[4:5]
	v_fma_f32 v33, -v35, v33, v32
	v_cmp_lt_f32_e64 s[4:5], 0, v33
	s_nop 1
	v_cndmask_b32_e64 v33, v34, v35, s[4:5]
	v_mul_f32_e32 v34, 0x37800000, v33
	v_cndmask_b32_e32 v33, v33, v34, vcc
	v_cmp_class_f32_e32 vcc, v32, v47
	s_nop 1
	v_cndmask_b32_e32 v32, v33, v32, vcc
	v_mul_f32_e32 v33, v31, v32
.LBB248_55:                             ;   in Loop: Header=BB248_5 Depth=1
	s_or_b64 exec, exec, s[24:25]
	v_cmp_lt_f32_e32 vcc, v5, v10
	v_cvt_f64_f32_e32 v[30:31], v30
	v_cmp_ne_u32_e64 s[4:5], s30, v4
	v_cndmask_b32_e32 v5, v5, v10, vcc
	v_cmp_lt_f32_e32 vcc, v17, v5
	s_nop 1
	v_cndmask_b32_e32 v5, v17, v5, vcc
	v_cmp_lt_f32_e32 vcc, v28, v5
	s_nop 1
	;; [unrolled: 3-line block ×3, first 2 shown]
	v_cndmask_b32_e32 v5, v29, v5, vcc
	v_cvt_f64_f32_e32 v[28:29], v5
	v_mul_f64 v[28:29], v[28:29], v[30:31]
	v_cvt_f64_f32_e32 v[30:31], v33
	v_mul_f64 v[30:31], v[30:31], s[22:23]
	v_cmp_nge_f64_e32 vcc, v[28:29], v[30:31]
	s_and_b64 s[4:5], s[4:5], vcc
	s_and_saveexec_b64 s[24:25], s[4:5]
	s_xor_b64 s[4:5], exec, s[24:25]
	s_cbranch_execz .LBB248_61
; %bb.56:                               ;   in Loop: Header=BB248_5 Depth=1
	v_add_u32_e32 v30, v46, v4
	v_ashrrev_i32_e32 v31, 31, v30
	v_ashrrev_i32_e32 v5, 31, v4
	v_lshlrev_b64 v[34:35], 3, v[20:21]
	v_lshlrev_b64 v[26:27], 3, v[30:31]
	v_lshl_add_u64 v[52:53], v[4:5], 3, v[2:3]
	v_lshl_add_u64 v[54:55], s[12:13], 0, v[34:35]
	;; [unrolled: 1-line block ×3, first 2 shown]
	global_load_dwordx2 v[44:45], v[52:53], off
	global_load_dwordx2 v[56:57], v[42:43], off
	;; [unrolled: 1-line block ×3, first 2 shown]
	v_lshl_add_u64 v[32:33], s[12:13], 0, v[26:27]
	global_load_dwordx2 v[40:41], v[32:33], off
	v_xor_b32_e32 v28, 0x80000000, v7
	v_mov_b32_e32 v29, v6
	v_lshl_add_u64 v[62:63], v[20:21], 2, s[6:7]
	v_pk_mul_f32 v[20:21], v[12:13], v[28:29] op_sel:[1,0]
	v_pk_add_f32 v[60:61], v[14:15], 0 neg_lo:[1,1] neg_hi:[1,1]
	v_pk_fma_f32 v[20:21], v[6:7], v[12:13], v[20:21] op_sel_hi:[1,0,1]
	v_mov_b32_e32 v36, v11
	v_pk_add_f32 v[20:21], v[20:21], v[24:25] neg_lo:[0,1] neg_hi:[0,1]
	v_mov_b32_e32 v37, v16
	v_mul_f32_e32 v5, v21, v21
	v_fmac_f32_e32 v5, v20, v20
	v_fma_f32 v24, 0, v21, v20
	v_fma_f32 v21, v20, 0, -v21
	v_div_scale_f32 v20, s[24:25], v5, v5, 1.0
	v_rcp_f32_e32 v25, v20
	v_div_scale_f32 v51, vcc, 1.0, v5, 1.0
	v_pk_mov_b32 v[64:65], v[60:61], v[14:15] op_sel:[1,0]
	v_fma_f32 v66, -v20, v25, 1.0
	v_fmac_f32_e32 v25, v66, v25
	v_mul_f32_e32 v66, v51, v25
	v_fma_f32 v67, -v20, v66, v51
	v_fmac_f32_e32 v66, v67, v25
	v_fma_f32 v20, -v20, v66, v51
	v_pk_mov_b32 v[60:61], v[14:15], v[60:61] op_sel:[1,0]
	v_div_fmas_f32 v20, v20, v25, v66
	v_pk_mul_f32 v[60:61], v[36:37], v[60:61] op_sel:[1,0]
	v_div_fixup_f32 v5, v20, v5, 1.0
	v_pk_fma_f32 v[36:37], v[14:15], v[36:37], v[60:61] op_sel_hi:[1,0,1] neg_lo:[1,0,0] neg_hi:[1,0,0]
	v_mul_f32_e32 v20, v24, v5
	v_mul_f32_e32 v24, v21, v5
	v_xor_b32_e32 v60, 0x80000000, v37
	v_mov_b32_e32 v61, v36
	v_mov_b32_e32 v25, v24
	v_xor_b32_e32 v58, 0x80000000, v13
	v_mov_b32_e32 v59, v12
	v_mov_b32_e32 v21, v20
	v_pk_mul_f32 v[60:61], v[24:25], v[60:61] op_sel_hi:[0,1]
	v_lshl_add_u64 v[34:35], s[14:15], 0, v[34:35]
	v_pk_fma_f32 v[36:37], v[36:37], v[20:21], v[60:61] op_sel_hi:[1,0,1]
	global_store_dwordx2 v[34:35], v[36:37], off
	v_mov_b32_e32 v26, v6
	v_mov_b32_e32 v27, v6
	;; [unrolled: 1-line block ×4, first 2 shown]
	s_waitcnt vmcnt(4)
	v_pk_mul_f32 v[60:61], v[44:45], v[58:59] op_sel:[1,0]
	s_waitcnt vmcnt(3)
	v_pk_mul_f32 v[66:67], v[56:57], v[64:65] op_sel:[1,0]
	;; [unrolled: 2-line block ×3, first 2 shown]
	v_mov_b32_e32 v36, v45
	v_mov_b32_e32 v37, v45
	;; [unrolled: 1-line block ×4, first 2 shown]
	v_pk_fma_f32 v[60:61], v[12:13], v[44:45], v[60:61] op_sel_hi:[1,0,1]
	v_pk_fma_f32 v[58:59], v[12:13], v[38:39], v[58:59] op_sel_hi:[1,0,1]
	v_mov_b32_e32 v44, v57
	v_mov_b32_e32 v45, v57
	;; [unrolled: 1-line block ×4, first 2 shown]
	s_waitcnt vmcnt(1)
	v_pk_mul_f32 v[64:65], v[40:41], v[64:65] op_sel:[1,0]
	v_pk_fma_f32 v[56:57], v[14:15], v[56:57], v[66:67] op_sel_hi:[1,0,1]
	v_pk_fma_f32 v[14:15], v[14:15], v[40:41], v[64:65] op_sel_hi:[1,0,1]
	v_pk_add_f32 v[56:57], v[60:61], v[56:57] neg_lo:[0,1] neg_hi:[0,1]
	v_pk_add_f32 v[14:15], v[58:59], v[14:15] neg_lo:[0,1] neg_hi:[0,1]
	v_xor_b32_e32 v58, 0x80000000, v57
	v_mov_b32_e32 v59, v56
	v_xor_b32_e32 v60, 0x80000000, v15
	v_mov_b32_e32 v61, v14
	v_pk_mul_f32 v[58:59], v[24:25], v[58:59] op_sel_hi:[0,1]
	v_pk_mul_f32 v[60:61], v[24:25], v[60:61] op_sel_hi:[0,1]
	v_pk_fma_f32 v[56:57], v[56:57], v[20:21], v[58:59] op_sel_hi:[1,0,1]
	v_pk_fma_f32 v[14:15], v[14:15], v[20:21], v[60:61] op_sel_hi:[1,0,1]
	global_store_dwordx2 v[52:53], v[56:57], off
	global_store_dwordx2 v[54:55], v[14:15], off
	global_store_dword v[62:63], v48, off
	s_and_saveexec_b64 s[24:25], s[0:1]
	s_cbranch_execz .LBB248_58
; %bb.57:                               ;   in Loop: Header=BB248_5 Depth=1
	v_mov_b32_e32 v14, v39
	v_mov_b32_e32 v15, v39
	v_pk_mov_b32 v[54:55], v[8:9], v[22:23] op_sel:[1,0]
	v_mov_b32_e32 v39, v38
	v_mov_b32_e32 v52, v41
	;; [unrolled: 1-line block ×3, first 2 shown]
	v_pk_mul_f32 v[14:15], v[54:55], v[14:15]
	v_mov_b32_e32 v41, v40
	v_pk_fma_f32 v[14:15], v[8:9], v[38:39], v[14:15] neg_lo:[1,0,0] neg_hi:[1,0,0]
	v_pk_mul_f32 v[38:39], v[52:53], v[28:29]
	v_pk_mul_f32 v[56:57], v[54:55], v[36:37]
	v_pk_fma_f32 v[38:39], v[6:7], v[40:41], v[38:39]
	v_pk_mul_f32 v[58:59], v[44:45], v[28:29]
	v_pk_add_f32 v[14:15], v[14:15], v[38:39]
	v_pk_fma_f32 v[56:57], v[8:9], v[34:35], v[56:57] neg_lo:[1,0,0] neg_hi:[1,0,0]
	v_xor_b32_e32 v38, 0x80000000, v15
	v_mov_b32_e32 v39, v14
	v_pk_mul_f32 v[38:39], v[24:25], v[38:39]
	v_pk_fma_f32 v[58:59], v[6:7], v[12:13], v[58:59]
	v_pk_fma_f32 v[14:15], v[14:15], v[20:21], v[38:39]
	global_store_dwordx2 v[32:33], v[14:15], off
	v_pk_mul_f32 v[32:33], v[16:17], v[28:29]
	v_pk_add_f32 v[56:57], v[56:57], v[58:59]
	v_pk_fma_f32 v[32:33], v[6:7], v[10:11], v[32:33]
	v_xor_b32_e32 v58, 0x80000000, v57
	v_xor_b32_e32 v38, 0x80000000, v33
	v_mov_b32_e32 v39, v32
	v_mov_b32_e32 v59, v56
	v_pk_mul_f32 v[38:39], v[24:25], v[38:39]
	v_pk_mul_f32 v[58:59], v[24:25], v[58:59]
	v_lshl_add_u64 v[14:15], v[30:31], 3, s[14:15]
	v_pk_fma_f32 v[32:33], v[32:33], v[20:21], v[38:39]
	v_pk_fma_f32 v[56:57], v[56:57], v[20:21], v[58:59]
	global_store_dwordx2 v[14:15], v[32:33], off
	v_lshl_add_u64 v[14:15], v[30:31], 2, s[6:7]
	global_store_dwordx2 v[42:43], v[56:57], off
	global_store_dword v[14:15], v48, off
.LBB248_58:                             ;   in Loop: Header=BB248_5 Depth=1
	s_or_b64 exec, exec, s[24:25]
	v_mov_b32_e32 v51, v50
	v_mov_b64_e32 v[14:15], v[50:51]
	s_and_saveexec_b64 s[24:25], s[2:3]
	s_cbranch_execz .LBB248_60
; %bb.59:                               ;   in Loop: Header=BB248_5 Depth=1
	v_add_u32_e32 v14, v1, v4
	v_ashrrev_i32_e32 v15, 31, v14
	v_lshlrev_b64 v[14:15], 3, v[14:15]
	v_lshl_add_u64 v[30:31], s[10:11], 0, v[14:15]
	v_lshl_add_u64 v[14:15], s[18:19], 0, v[14:15]
	global_load_dwordx2 v[32:33], v[30:31], off
	v_mov_b32_e32 v38, v19
	global_load_dwordx2 v[14:15], v[14:15], off
	v_pk_mov_b32 v[22:23], v[8:9], v[22:23] op_sel:[1,0]
	v_xor_b32_e32 v40, 0x80000000, v19
	v_mov_b32_e32 v41, v18
	v_pk_mul_f32 v[22:23], v[38:39], v[22:23] op_sel_hi:[0,1]
	v_pk_mul_f32 v[28:29], v[38:39], v[28:29] op_sel_hi:[0,1]
	v_pk_mul_f32 v[38:39], v[6:7], v[40:41] op_sel:[1,0]
	v_pk_fma_f32 v[8:9], v[8:9], v[18:19], v[22:23] op_sel_hi:[1,0,1] neg_lo:[1,0,0] neg_hi:[1,0,0]
	v_pk_fma_f32 v[6:7], v[6:7], v[18:19], v[28:29] op_sel_hi:[1,0,1]
	v_pk_fma_f32 v[18:19], v[18:19], v[26:27], v[38:39]
	v_xor_b32_e32 v22, 0x80000000, v9
	v_mov_b32_e32 v23, v8
	v_xor_b32_e32 v26, 0x80000000, v7
	v_mov_b32_e32 v27, v6
	v_xor_b32_e32 v28, 0x80000000, v19
	v_mov_b32_e32 v29, v18
	v_pk_mul_f32 v[22:23], v[24:25], v[22:23]
	v_pk_mul_f32 v[26:27], v[24:25], v[26:27]
	;; [unrolled: 1-line block ×3, first 2 shown]
	v_pk_fma_f32 v[8:9], v[8:9], v[20:21], v[22:23]
	v_pk_fma_f32 v[6:7], v[6:7], v[20:21], v[26:27]
	;; [unrolled: 1-line block ×3, first 2 shown]
	v_pk_add_f32 v[16:17], v[8:9], 0 neg_lo:[1,1] neg_hi:[1,1]
	v_xor_b32_e32 v18, 0x80000000, v7
	v_mov_b32_e32 v19, v6
	v_pk_mov_b32 v[16:17], v[8:9], v[16:17] op_sel:[1,0]
	v_xor_b32_e32 v22, 0x80000000, v11
	v_mov_b32_e32 v23, v10
	v_pk_mul_f32 v[18:19], v[44:45], v[18:19]
	v_pk_mul_f32 v[16:17], v[16:17], v[36:37]
	;; [unrolled: 1-line block ×3, first 2 shown]
	v_pk_fma_f32 v[6:7], v[6:7], v[12:13], v[18:19]
	v_pk_fma_f32 v[8:9], v[8:9], v[34:35], v[16:17] neg_lo:[1,0,0] neg_hi:[1,0,0]
	v_pk_fma_f32 v[10:11], v[10:11], v[20:21], v[22:23]
	v_pk_add_f32 v[6:7], v[8:9], v[6:7] neg_lo:[0,1] neg_hi:[0,1]
	s_waitcnt vmcnt(0)
	v_pk_add_f32 v[14:15], v[14:15], v[10:11] neg_lo:[0,1] neg_hi:[0,1]
	v_pk_add_f32 v[6:7], v[6:7], v[32:33]
	global_store_dwordx2 v[30:31], v[6:7], off
.LBB248_60:                             ;   in Loop: Header=BB248_5 Depth=1
	s_or_b64 exec, exec, s[24:25]
	v_mov_b64_e32 v[6:7], v[14:15]
                                        ; implicit-def: $vgpr24_vgpr25
                                        ; implicit-def: $vgpr12_vgpr13
                                        ; implicit-def: $vgpr20_vgpr21
                                        ; implicit-def: $vgpr14_vgpr15
                                        ; implicit-def: $vgpr26_vgpr27
                                        ; implicit-def: $vgpr8_vgpr9
.LBB248_61:                             ;   in Loop: Header=BB248_5 Depth=1
	s_or_saveexec_b64 s[2:3], s[4:5]
	v_mov_b32_e32 v5, s33
	s_xor_b64 exec, exec, s[2:3]
	s_cbranch_execz .LBB248_4
; %bb.62:                               ;   in Loop: Header=BB248_5 Depth=1
	v_ashrrev_i32_e32 v5, 31, v4
	v_lshlrev_b64 v[16:17], 3, v[20:21]
	v_lshl_add_u64 v[18:19], v[4:5], 3, v[2:3]
	v_lshl_add_u64 v[22:23], s[12:13], 0, v[16:17]
	global_load_dwordx2 v[10:11], v[18:19], off
	global_load_dwordx2 v[28:29], v[22:23], off
	v_mul_f32_e32 v5, v7, v7
	v_fmac_f32_e32 v5, v6, v6
	v_fma_f32 v34, 0, v7, v6
	v_fma_f32 v7, v6, 0, -v7
	v_div_scale_f32 v6, s[4:5], v5, v5, 1.0
	v_lshl_add_u64 v[32:33], s[14:15], 0, v[16:17]
	v_rcp_f32_e32 v16, v6
	v_div_scale_f32 v17, vcc, 1.0, v5, 1.0
	v_pk_add_f32 v[30:31], v[14:15], 0 neg_lo:[1,1] neg_hi:[1,1]
	v_fma_f32 v35, -v6, v16, 1.0
	v_fmac_f32_e32 v16, v35, v16
	v_mul_f32_e32 v35, v17, v16
	v_fma_f32 v36, -v6, v35, v17
	v_fmac_f32_e32 v35, v36, v16
	v_fma_f32 v6, -v6, v35, v17
	v_div_fmas_f32 v6, v6, v16, v35
	v_div_fixup_f32 v5, v6, v5, 1.0
	v_pk_mov_b32 v[30:31], v[30:31], v[14:15] op_sel:[1,0]
	v_mul_f32_e32 v16, v7, v5
	v_mul_f32_e32 v6, v34, v5
	v_pk_mul_f32 v[30:31], v[16:17], v[30:31] op_sel_hi:[0,1]
	v_pk_fma_f32 v[14:15], v[14:15], v[6:7], v[30:31] op_sel_hi:[1,0,1]
	global_store_dwordx2 v[32:33], v[14:15], off
	v_lshl_add_u64 v[20:21], v[20:21], 2, s[6:7]
	s_waitcnt vmcnt(2)
	v_xor_b32_e32 v30, 0x80000000, v11
	v_mov_b32_e32 v31, v10
	s_waitcnt vmcnt(1)
	v_pk_mul_f32 v[32:33], v[16:17], v[28:29] op_sel:[0,1] op_sel_hi:[0,0] neg_lo:[0,1]
	v_mov_b32_e32 v14, v10
	v_mov_b32_e32 v15, v10
	v_pk_mul_f32 v[30:31], v[16:17], v[30:31] op_sel_hi:[0,1]
	v_pk_fma_f32 v[28:29], v[28:29], v[6:7], v[32:33] op_sel_hi:[1,0,1]
	v_pk_fma_f32 v[30:31], v[10:11], v[6:7], v[30:31] op_sel_hi:[1,0,1]
	global_store_dwordx2 v[22:23], v[28:29], off
	global_store_dwordx2 v[18:19], v[30:31], off
	global_store_dword v[20:21], v49, off
	s_and_saveexec_b64 s[4:5], s[0:1]
	s_cbranch_execz .LBB248_3
; %bb.63:                               ;   in Loop: Header=BB248_5 Depth=1
	v_add_u32_e32 v18, v46, v4
	v_ashrrev_i32_e32 v19, 31, v18
	v_lshl_add_u64 v[18:19], v[18:19], 3, s[10:11]
	global_load_dwordx2 v[20:21], v[18:19], off
	v_mov_b32_e32 v17, v16
	v_mov_b32_e32 v7, v6
	v_pk_mul_f32 v[22:23], v[16:17], v[26:27]
	s_nop 0
	v_pk_fma_f32 v[8:9], v[8:9], v[6:7], v[22:23]
	s_nop 0
	v_pk_add_f32 v[22:23], v[8:9], 0 neg_lo:[1,1] neg_hi:[1,1]
	s_nop 0
	v_pk_mov_b32 v[22:23], v[8:9], v[22:23] op_sel:[1,0]
	s_nop 0
	v_pk_mul_f32 v[10:11], v[22:23], v[10:11] op_sel:[0,1]
	s_nop 0
	v_pk_fma_f32 v[8:9], v[8:9], v[14:15], v[10:11] neg_lo:[1,0,0] neg_hi:[1,0,0]
	s_waitcnt vmcnt(0)
	v_pk_add_f32 v[8:9], v[8:9], v[20:21]
	global_store_dwordx2 v[18:19], v[8:9], off
	s_branch .LBB248_3
.LBB248_64:
	s_or_b64 exec, exec, s[20:21]
.LBB248_65:
	v_subrev_u32_e32 v1, s28, v4
	v_add_u32_e32 v4, v1, v0
	v_ashrrev_i32_e32 v5, 31, v4
	s_waitcnt lgkmcnt(0)
	v_lshl_add_u64 v[4:5], v[4:5], 2, s[6:7]
	buffer_wbl2 sc1
	s_waitcnt vmcnt(0)
	buffer_inv sc1
	global_load_dword v4, v[4:5], off
	s_waitcnt vmcnt(0)
	v_mul_lo_u32 v4, v4, s28
	v_sub_u32_e32 v4, v1, v4
	v_cmp_lt_i32_e32 vcc, -1, v4
	s_and_b64 exec, exec, vcc
	s_cbranch_execz .LBB248_72
; %bb.66:
	v_subrev_u32_e32 v1, s28, v0
	s_lshl_b32 s4, s28, 1
	s_mov_b64 s[0:1], 0
	s_branch .LBB248_68
.LBB248_67:                             ;   in Loop: Header=BB248_68 Depth=1
	s_or_b64 exec, exec, s[2:3]
	v_lshl_add_u64 v[6:7], v[6:7], 3, s[12:13]
	global_load_dwordx2 v[8:9], v[6:7], off
	v_sub_u32_e32 v4, v4, v5
	v_cmp_gt_i32_e32 vcc, 0, v4
	s_or_b64 s[0:1], vcc, s[0:1]
	s_waitcnt vmcnt(0)
	v_pk_add_f32 v[8:9], v[8:9], v[10:11]
	global_store_dwordx2 v[6:7], v[8:9], off
	s_andn2_b64 exec, exec, s[0:1]
	s_cbranch_execz .LBB248_72
.LBB248_68:                             ; =>This Inner Loop Header: Depth=1
	v_add_u32_e32 v6, v4, v0
	v_ashrrev_i32_e32 v7, 31, v6
	v_lshl_add_u64 v[8:9], v[6:7], 2, s[6:7]
	global_load_dword v5, v[8:9], off
	v_lshl_add_u64 v[8:9], v[6:7], 3, s[14:15]
	global_load_dwordx2 v[8:9], v[8:9], off
                                        ; implicit-def: $vgpr10_vgpr11
	s_waitcnt vmcnt(1)
	v_cmp_ne_u32_e32 vcc, 1, v5
	s_and_saveexec_b64 s[2:3], vcc
	s_xor_b64 s[2:3], exec, s[2:3]
	s_cbranch_execz .LBB248_70
; %bb.69:                               ;   in Loop: Header=BB248_68 Depth=1
	v_add_u32_e32 v10, v46, v4
	v_ashrrev_i32_e32 v11, 31, v10
	v_lshlrev_b64 v[10:11], 3, v[10:11]
	v_lshl_add_u64 v[12:13], s[10:11], 0, v[10:11]
	global_load_dwordx2 v[14:15], v[12:13], off
	v_ashrrev_i32_e32 v5, 31, v4
	v_lshl_add_u64 v[10:11], s[12:13], 0, v[10:11]
	global_load_dwordx2 v[16:17], v[10:11], off
	v_lshl_add_u64 v[18:19], v[4:5], 3, v[2:3]
	global_load_dwordx2 v[20:21], v[18:19], off
	v_lshl_add_u64 v[6:7], v[6:7], 3, s[12:13]
	global_load_dwordx2 v[22:23], v[6:7], off
	v_add_u32_e32 v24, v1, v4
	s_waitcnt vmcnt(4)
	v_pk_add_f32 v[26:27], v[8:9], 0 neg_lo:[1,1] neg_hi:[1,1]
	v_ashrrev_i32_e32 v25, 31, v24
	v_pk_mov_b32 v[26:27], v[8:9], v[26:27] op_sel:[1,0]
	v_lshlrev_b64 v[28:29], 3, v[24:25]
	v_lshl_add_u64 v[30:31], s[14:15], 0, v[28:29]
	global_load_dwordx2 v[30:31], v[30:31], off
	s_waitcnt vmcnt(4)
	v_pk_mul_f32 v[32:33], v[26:27], v[14:15] op_sel:[0,1]
	s_nop 0
	v_pk_fma_f32 v[14:15], v[8:9], v[14:15], v[32:33] op_sel_hi:[1,0,1] neg_lo:[1,0,0] neg_hi:[1,0,0]
	s_waitcnt vmcnt(3)
	v_pk_mul_f32 v[26:27], v[26:27], v[16:17] op_sel:[0,1]
	s_nop 0
	v_pk_fma_f32 v[8:9], v[8:9], v[16:17], v[26:27] op_sel_hi:[1,0,1] neg_lo:[1,0,0] neg_hi:[1,0,0]
	s_waitcnt vmcnt(2)
	v_pk_add_f32 v[14:15], v[20:21], v[14:15]
	s_waitcnt vmcnt(1)
	v_pk_add_f32 v[8:9], v[22:23], v[8:9]
	global_store_dwordx2 v[18:19], v[14:15], off
	global_store_dwordx2 v[6:7], v[8:9], off
	global_load_dwordx2 v[6:7], v[12:13], off
	s_nop 0
	global_load_dwordx2 v[8:9], v[10:11], off
	v_lshl_add_u64 v[12:13], s[10:11], 0, v[28:29]
	global_load_dwordx2 v[14:15], v[12:13], off
	s_waitcnt vmcnt(5)
	v_pk_add_f32 v[10:11], v[30:31], 0 neg_lo:[1,1] neg_hi:[1,1]
	s_nop 0
	v_pk_mov_b32 v[10:11], v[30:31], v[10:11] op_sel:[1,0]
	s_waitcnt vmcnt(2)
	v_pk_mul_f32 v[16:17], v[10:11], v[6:7] op_sel:[0,1]
	s_nop 0
	v_pk_fma_f32 v[6:7], v[30:31], v[6:7], v[16:17] op_sel_hi:[1,0,1] neg_lo:[1,0,0] neg_hi:[1,0,0]
	s_waitcnt vmcnt(1)
	v_pk_mul_f32 v[10:11], v[8:9], v[10:11] op_sel:[1,0]
	s_waitcnt vmcnt(0)
	v_pk_add_f32 v[6:7], v[14:15], v[6:7]
	v_pk_fma_f32 v[10:11], v[30:31], v[8:9], v[10:11] op_sel_hi:[1,0,1] neg_lo:[1,0,0] neg_hi:[1,0,0]
	global_store_dwordx2 v[12:13], v[6:7], off
	v_mov_b64_e32 v[6:7], v[24:25]
                                        ; implicit-def: $vgpr8_vgpr9
.LBB248_70:                             ;   in Loop: Header=BB248_68 Depth=1
	s_or_saveexec_b64 s[2:3], s[2:3]
	v_mov_b32_e32 v5, s4
	s_xor_b64 exec, exec, s[2:3]
	s_cbranch_execz .LBB248_67
; %bb.71:                               ;   in Loop: Header=BB248_68 Depth=1
	v_add_u32_e32 v10, v46, v4
	v_ashrrev_i32_e32 v11, 31, v10
	v_lshlrev_b64 v[10:11], 3, v[10:11]
	v_lshl_add_u64 v[12:13], s[10:11], 0, v[10:11]
	global_load_dwordx2 v[12:13], v[12:13], off
	v_lshl_add_u64 v[10:11], s[12:13], 0, v[10:11]
	v_ashrrev_i32_e32 v5, 31, v4
	global_load_dwordx2 v[10:11], v[10:11], off
	v_lshl_add_u64 v[14:15], v[4:5], 3, v[2:3]
	global_load_dwordx2 v[16:17], v[14:15], off
	s_waitcnt vmcnt(3)
	v_pk_add_f32 v[18:19], v[8:9], 0 neg_lo:[1,1] neg_hi:[1,1]
	v_mov_b32_e32 v5, s28
	v_pk_mov_b32 v[18:19], v[8:9], v[18:19] op_sel:[1,0]
	s_waitcnt vmcnt(2)
	v_pk_mul_f32 v[20:21], v[18:19], v[12:13] op_sel:[0,1]
	s_nop 0
	v_pk_fma_f32 v[12:13], v[8:9], v[12:13], v[20:21] op_sel_hi:[1,0,1] neg_lo:[1,0,0] neg_hi:[1,0,0]
	s_waitcnt vmcnt(1)
	v_pk_mul_f32 v[18:19], v[18:19], v[10:11] op_sel:[0,1]
	s_nop 0
	v_pk_fma_f32 v[10:11], v[8:9], v[10:11], v[18:19] op_sel_hi:[1,0,1] neg_lo:[1,0,0] neg_hi:[1,0,0]
	s_waitcnt vmcnt(0)
	v_pk_add_f32 v[8:9], v[16:17], v[12:13]
	global_store_dwordx2 v[14:15], v[8:9], off
	s_branch .LBB248_67
.LBB248_72:
	s_endpgm
	.section	.rodata,"a",@progbits
	.p2align	6, 0x0
	.amdhsa_kernel _ZN9rocsparseL18gtsv_LBM_wv_kernelILj256ELj128E21rocsparse_complex_numIfEEEviiiPKT1_S5_S5_PS3_S6_S6_Pi
		.amdhsa_group_segment_fixed_size 0
		.amdhsa_private_segment_fixed_size 0
		.amdhsa_kernarg_size 72
		.amdhsa_user_sgpr_count 2
		.amdhsa_user_sgpr_dispatch_ptr 0
		.amdhsa_user_sgpr_queue_ptr 0
		.amdhsa_user_sgpr_kernarg_segment_ptr 1
		.amdhsa_user_sgpr_dispatch_id 0
		.amdhsa_user_sgpr_kernarg_preload_length 0
		.amdhsa_user_sgpr_kernarg_preload_offset 0
		.amdhsa_user_sgpr_private_segment_size 0
		.amdhsa_uses_dynamic_stack 0
		.amdhsa_enable_private_segment 0
		.amdhsa_system_sgpr_workgroup_id_x 1
		.amdhsa_system_sgpr_workgroup_id_y 0
		.amdhsa_system_sgpr_workgroup_id_z 0
		.amdhsa_system_sgpr_workgroup_info 0
		.amdhsa_system_vgpr_workitem_id 0
		.amdhsa_next_free_vgpr 68
		.amdhsa_next_free_sgpr 35
		.amdhsa_accum_offset 68
		.amdhsa_reserve_vcc 1
		.amdhsa_float_round_mode_32 0
		.amdhsa_float_round_mode_16_64 0
		.amdhsa_float_denorm_mode_32 3
		.amdhsa_float_denorm_mode_16_64 3
		.amdhsa_dx10_clamp 1
		.amdhsa_ieee_mode 1
		.amdhsa_fp16_overflow 0
		.amdhsa_tg_split 0
		.amdhsa_exception_fp_ieee_invalid_op 0
		.amdhsa_exception_fp_denorm_src 0
		.amdhsa_exception_fp_ieee_div_zero 0
		.amdhsa_exception_fp_ieee_overflow 0
		.amdhsa_exception_fp_ieee_underflow 0
		.amdhsa_exception_fp_ieee_inexact 0
		.amdhsa_exception_int_div_zero 0
	.end_amdhsa_kernel
	.section	.text._ZN9rocsparseL18gtsv_LBM_wv_kernelILj256ELj128E21rocsparse_complex_numIfEEEviiiPKT1_S5_S5_PS3_S6_S6_Pi,"axG",@progbits,_ZN9rocsparseL18gtsv_LBM_wv_kernelILj256ELj128E21rocsparse_complex_numIfEEEviiiPKT1_S5_S5_PS3_S6_S6_Pi,comdat
.Lfunc_end248:
	.size	_ZN9rocsparseL18gtsv_LBM_wv_kernelILj256ELj128E21rocsparse_complex_numIfEEEviiiPKT1_S5_S5_PS3_S6_S6_Pi, .Lfunc_end248-_ZN9rocsparseL18gtsv_LBM_wv_kernelILj256ELj128E21rocsparse_complex_numIfEEEviiiPKT1_S5_S5_PS3_S6_S6_Pi
                                        ; -- End function
	.set _ZN9rocsparseL18gtsv_LBM_wv_kernelILj256ELj128E21rocsparse_complex_numIfEEEviiiPKT1_S5_S5_PS3_S6_S6_Pi.num_vgpr, 68
	.set _ZN9rocsparseL18gtsv_LBM_wv_kernelILj256ELj128E21rocsparse_complex_numIfEEEviiiPKT1_S5_S5_PS3_S6_S6_Pi.num_agpr, 0
	.set _ZN9rocsparseL18gtsv_LBM_wv_kernelILj256ELj128E21rocsparse_complex_numIfEEEviiiPKT1_S5_S5_PS3_S6_S6_Pi.numbered_sgpr, 35
	.set _ZN9rocsparseL18gtsv_LBM_wv_kernelILj256ELj128E21rocsparse_complex_numIfEEEviiiPKT1_S5_S5_PS3_S6_S6_Pi.num_named_barrier, 0
	.set _ZN9rocsparseL18gtsv_LBM_wv_kernelILj256ELj128E21rocsparse_complex_numIfEEEviiiPKT1_S5_S5_PS3_S6_S6_Pi.private_seg_size, 0
	.set _ZN9rocsparseL18gtsv_LBM_wv_kernelILj256ELj128E21rocsparse_complex_numIfEEEviiiPKT1_S5_S5_PS3_S6_S6_Pi.uses_vcc, 1
	.set _ZN9rocsparseL18gtsv_LBM_wv_kernelILj256ELj128E21rocsparse_complex_numIfEEEviiiPKT1_S5_S5_PS3_S6_S6_Pi.uses_flat_scratch, 0
	.set _ZN9rocsparseL18gtsv_LBM_wv_kernelILj256ELj128E21rocsparse_complex_numIfEEEviiiPKT1_S5_S5_PS3_S6_S6_Pi.has_dyn_sized_stack, 0
	.set _ZN9rocsparseL18gtsv_LBM_wv_kernelILj256ELj128E21rocsparse_complex_numIfEEEviiiPKT1_S5_S5_PS3_S6_S6_Pi.has_recursion, 0
	.set _ZN9rocsparseL18gtsv_LBM_wv_kernelILj256ELj128E21rocsparse_complex_numIfEEEviiiPKT1_S5_S5_PS3_S6_S6_Pi.has_indirect_call, 0
	.section	.AMDGPU.csdata,"",@progbits
; Kernel info:
; codeLenInByte = 6488
; TotalNumSgprs: 41
; NumVgprs: 68
; NumAgprs: 0
; TotalNumVgprs: 68
; ScratchSize: 0
; MemoryBound: 0
; FloatMode: 240
; IeeeMode: 1
; LDSByteSize: 0 bytes/workgroup (compile time only)
; SGPRBlocks: 5
; VGPRBlocks: 8
; NumSGPRsForWavesPerEU: 41
; NumVGPRsForWavesPerEU: 68
; AccumOffset: 68
; Occupancy: 7
; WaveLimiterHint : 0
; COMPUTE_PGM_RSRC2:SCRATCH_EN: 0
; COMPUTE_PGM_RSRC2:USER_SGPR: 2
; COMPUTE_PGM_RSRC2:TRAP_HANDLER: 0
; COMPUTE_PGM_RSRC2:TGID_X_EN: 1
; COMPUTE_PGM_RSRC2:TGID_Y_EN: 0
; COMPUTE_PGM_RSRC2:TGID_Z_EN: 0
; COMPUTE_PGM_RSRC2:TIDIG_COMP_CNT: 0
; COMPUTE_PGM_RSRC3_GFX90A:ACCUM_OFFSET: 16
; COMPUTE_PGM_RSRC3_GFX90A:TG_SPLIT: 0
	.section	.text._ZN9rocsparseL19gtsv_LBM_rhs_kernelILj256ELj128ELj8E21rocsparse_complex_numIfEEEviiiPKT2_S5_S5_PS3_S5_PKi,"axG",@progbits,_ZN9rocsparseL19gtsv_LBM_rhs_kernelILj256ELj128ELj8E21rocsparse_complex_numIfEEEviiiPKT2_S5_S5_PS3_S5_PKi,comdat
	.globl	_ZN9rocsparseL19gtsv_LBM_rhs_kernelILj256ELj128ELj8E21rocsparse_complex_numIfEEEviiiPKT2_S5_S5_PS3_S5_PKi ; -- Begin function _ZN9rocsparseL19gtsv_LBM_rhs_kernelILj256ELj128ELj8E21rocsparse_complex_numIfEEEviiiPKT2_S5_S5_PS3_S5_PKi
	.p2align	8
	.type	_ZN9rocsparseL19gtsv_LBM_rhs_kernelILj256ELj128ELj8E21rocsparse_complex_numIfEEEviiiPKT2_S5_S5_PS3_S5_PKi,@function
_ZN9rocsparseL19gtsv_LBM_rhs_kernelILj256ELj128ELj8E21rocsparse_complex_numIfEEEviiiPKT2_S5_S5_PS3_S5_PKi: ; @_ZN9rocsparseL19gtsv_LBM_rhs_kernelILj256ELj128ELj8E21rocsparse_complex_numIfEEEviiiPKT2_S5_S5_PS3_S5_PKi
; %bb.0:
	s_load_dword s23, s[0:1], 0x0
	v_lshl_or_b32 v0, s2, 8, v0
	s_waitcnt lgkmcnt(0)
	s_lshr_b32 s22, s23, 7
	v_cmp_gt_i32_e32 vcc, s22, v0
	s_and_saveexec_b64 s[4:5], vcc
	s_cbranch_execz .LBB249_29
; %bb.1:
	s_load_dwordx4 s[8:11], s[0:1], 0x28
	s_load_dwordx2 s[6:7], s[0:1], 0x38
	s_cmp_lt_i32 s23, 1
	v_add_u32_e32 v92, s22, v0
	s_mul_i32 s24, s3, s23
	s_cbranch_scc1 .LBB249_21
; %bb.2:
	s_load_dwordx4 s[12:15], s[0:1], 0x10
	s_load_dwordx2 s[16:17], s[0:1], 0x20
	v_ashrrev_i32_e32 v1, 31, v0
	s_lshl_b32 s28, s24, 3
	s_add_i32 s29, s28, s23
	s_waitcnt lgkmcnt(0)
	v_lshl_add_u64 v[2:3], v[0:1], 3, s[14:15]
	global_load_dwordx2 v[4:5], v[2:3], off
	s_add_i32 s30, s29, s23
	s_add_i32 s31, s30, s23
	;; [unrolled: 1-line block ×5, first 2 shown]
	s_mul_i32 s25, s22, 0x7f
	s_mul_i32 s26, s22, 0x7e
	s_lshl_b32 s27, s22, 1
	v_add_u32_e32 v1, s22, v92
	s_add_i32 s36, s35, s23
	v_mov_b32_e32 v3, 0
	s_mov_b64 s[18:19], 0
	v_mov_b32_e32 v93, 0
	s_branch .LBB249_5
.LBB249_3:                              ;   in Loop: Header=BB249_5 Depth=1
	s_or_b64 exec, exec, s[4:5]
	v_mov_b32_e32 v19, v6
	v_pk_mul_f32 v[10:11], v[12:13], v[18:19] op_sel:[1,0]
	s_nop 0
	v_pk_fma_f32 v[6:7], v[6:7], v[12:13], v[10:11] op_sel_hi:[1,0,1]
	s_nop 0
	v_xor_b32_e32 v10, 0x80000000, v7
	v_mov_b32_e32 v11, v6
	v_pk_mul_f32 v[8:9], v[8:9], v[10:11] op_sel_hi:[0,1]
	v_pk_fma_f32 v[4:5], v[6:7], v[4:5], v[8:9] op_sel_hi:[1,0,1]
	v_mov_b32_e32 v8, s22
	v_pk_add_f32 v[4:5], v[14:15], v[4:5] neg_lo:[0,1] neg_hi:[0,1]
.LBB249_4:                              ;   in Loop: Header=BB249_5 Depth=1
	s_or_b64 exec, exec, s[2:3]
	v_add_u32_e32 v93, v8, v93
	v_cmp_le_i32_e32 vcc, s23, v93
	s_or_b64 s[18:19], vcc, s[18:19]
	s_andn2_b64 exec, exec, s[18:19]
	s_cbranch_execz .LBB249_20
.LBB249_5:                              ; =>This Inner Loop Header: Depth=1
	v_add_u32_e32 v16, v93, v0
	v_ashrrev_i32_e32 v17, 31, v16
	v_lshl_add_u64 v[6:7], v[16:17], 3, s[16:17]
	global_load_dwordx2 v[12:13], v[6:7], off
	v_cmp_gt_u32_e64 s[0:1], s25, v93
	v_mov_b32_e32 v6, 0
	v_mov_b32_e32 v7, 0
	s_and_saveexec_b64 s[2:3], s[0:1]
	s_cbranch_execz .LBB249_7
; %bb.6:                                ;   in Loop: Header=BB249_5 Depth=1
	v_add_u32_e32 v6, v92, v93
	v_ashrrev_i32_e32 v7, 31, v6
	v_lshl_add_u64 v[6:7], v[6:7], 3, s[12:13]
	global_load_dwordx2 v[6:7], v[6:7], off
.LBB249_7:                              ;   in Loop: Header=BB249_5 Depth=1
	s_or_b64 exec, exec, s[2:3]
	v_mov_b32_e32 v8, 0
	v_mov_b32_e32 v14, 0
	;; [unrolled: 1-line block ×3, first 2 shown]
	s_and_saveexec_b64 s[2:3], s[0:1]
	s_cbranch_execz .LBB249_9
; %bb.8:                                ;   in Loop: Header=BB249_5 Depth=1
	v_add_u32_e32 v10, v92, v93
	v_ashrrev_i32_e32 v11, 31, v10
	v_lshl_add_u64 v[10:11], v[10:11], 3, s[14:15]
	global_load_dwordx2 v[14:15], v[10:11], off
.LBB249_9:                              ;   in Loop: Header=BB249_5 Depth=1
	s_or_b64 exec, exec, s[2:3]
	v_mov_b32_e32 v9, 0
	s_and_saveexec_b64 s[2:3], s[0:1]
	s_cbranch_execz .LBB249_11
; %bb.10:                               ;   in Loop: Header=BB249_5 Depth=1
	v_add_u32_e32 v8, v92, v93
	v_ashrrev_i32_e32 v9, 31, v8
	v_lshl_add_u64 v[8:9], v[8:9], 3, s[16:17]
	global_load_dwordx2 v[8:9], v[8:9], off
.LBB249_11:                             ;   in Loop: Header=BB249_5 Depth=1
	s_or_b64 exec, exec, s[2:3]
	v_cmp_gt_u32_e64 s[2:3], s26, v93
	v_mov_b32_e32 v10, 0
	v_mov_b32_e32 v11, 0
	s_and_saveexec_b64 s[4:5], s[2:3]
	s_cbranch_execz .LBB249_13
; %bb.12:                               ;   in Loop: Header=BB249_5 Depth=1
	v_add_u32_e32 v10, v1, v93
	v_ashrrev_i32_e32 v11, 31, v10
	v_lshl_add_u64 v[10:11], v[10:11], 3, s[12:13]
	global_load_dwordx2 v[10:11], v[10:11], off
.LBB249_13:                             ;   in Loop: Header=BB249_5 Depth=1
	s_or_b64 exec, exec, s[4:5]
	v_lshl_add_u64 v[18:19], v[16:17], 2, s[6:7]
	global_load_dword v17, v[18:19], off
	v_cmp_ne_u32_e32 vcc, s25, v93
	v_add_u32_e32 v2, s28, v16
	v_add_u32_e32 v38, s29, v16
	;; [unrolled: 1-line block ×8, first 2 shown]
	s_waitcnt vmcnt(1)
	v_xor_b32_e32 v18, 0x80000000, v7
	s_waitcnt vmcnt(0)
	v_cmp_ne_u32_e64 s[4:5], 1, v17
	s_and_b64 s[4:5], vcc, s[4:5]
	s_and_saveexec_b64 s[20:21], s[4:5]
	s_xor_b64 s[4:5], exec, s[20:21]
	s_cbranch_execz .LBB249_17
; %bb.14:                               ;   in Loop: Header=BB249_5 Depth=1
	v_add_u32_e32 v46, v92, v93
	v_lshl_add_u64 v[30:31], v[2:3], 3, s[8:9]
	v_add_u32_e32 v2, s28, v46
	v_mov_b32_e32 v39, v3
	v_mov_b32_e32 v35, v3
	v_lshl_add_u64 v[22:23], v[2:3], 3, s[8:9]
	v_lshl_add_u64 v[38:39], v[38:39], 3, s[8:9]
	;; [unrolled: 1-line block ×3, first 2 shown]
	global_load_dwordx2 v[36:37], v[30:31], off
	global_load_dwordx2 v[42:43], v[38:39], off
	;; [unrolled: 1-line block ×4, first 2 shown]
	v_add_u32_e32 v2, s29, v46
	v_lshl_add_u64 v[90:91], v[2:3], 3, s[8:9]
	v_xor_b32_e32 v16, 0x80000000, v5
	v_mov_b32_e32 v33, v3
	v_mov_b32_e32 v17, v4
	;; [unrolled: 1-line block ×3, first 2 shown]
	global_load_dwordx2 v[44:45], v[90:91], off
	v_mov_b32_e32 v21, v3
	v_lshl_add_u64 v[48:49], v[32:33], 3, s[8:9]
	v_pk_mul_f32 v[32:33], v[14:15], v[16:17] op_sel:[1,0]
	v_pk_mul_f32 v[18:19], v[12:13], v[18:19] op_sel:[1,0]
	v_add_u32_e32 v2, s30, v46
	v_lshl_add_u64 v[96:97], v[2:3], 3, s[8:9]
	v_lshl_add_u64 v[98:99], v[20:21], 3, s[8:9]
	v_pk_fma_f32 v[20:21], v[4:5], v[14:15], v[32:33] op_sel_hi:[1,0,1]
	v_pk_fma_f32 v[18:19], v[6:7], v[12:13], v[18:19] op_sel_hi:[1,0,1]
	global_load_dwordx2 v[54:55], v[96:97], off
	v_pk_add_f32 v[18:19], v[20:21], v[18:19] neg_lo:[0,1] neg_hi:[0,1]
	v_add_u32_e32 v2, s31, v46
	v_mul_f32_e32 v20, v19, v19
	v_mov_b32_e32 v29, v3
	v_mov_b32_e32 v27, v3
	;; [unrolled: 1-line block ×3, first 2 shown]
	v_lshl_add_u64 v[102:103], v[2:3], 3, s[8:9]
	v_fmac_f32_e32 v20, v18, v18
	v_lshl_add_u64 v[28:29], v[28:29], 3, s[8:9]
	v_lshl_add_u64 v[26:27], v[26:27], 3, s[8:9]
	;; [unrolled: 1-line block ×3, first 2 shown]
	global_load_dwordx2 v[56:57], v[48:49], off
	global_load_dwordx2 v[58:59], v[28:29], off
	;; [unrolled: 1-line block ×5, first 2 shown]
	v_fma_f32 v21, 0, v19, v18
	v_fma_f32 v19, v18, 0, -v19
	v_add_u32_e32 v2, s33, v46
	v_div_scale_f32 v18, s[20:21], v20, v20, 1.0
	v_lshl_add_u64 v[104:105], v[2:3], 3, s[8:9]
	v_rcp_f32_e32 v33, v18
	global_load_dwordx2 v[80:81], v[104:105], off
	v_add_u32_e32 v2, s34, v46
	v_lshl_add_u64 v[106:107], v[2:3], 3, s[8:9]
	v_add_u32_e32 v2, s35, v46
	v_lshl_add_u64 v[108:109], v[2:3], 3, s[8:9]
	v_fma_f32 v2, -v18, v33, 1.0
	v_div_scale_f32 v32, vcc, 1.0, v20, 1.0
	global_load_dwordx2 v[110:111], v[106:107], off
	global_load_dwordx2 v[114:115], v[98:99], off
	v_fmac_f32_e32 v33, v2, v33
	v_mul_f32_e32 v2, v32, v33
	v_fma_f32 v47, -v18, v2, v32
	v_fmac_f32_e32 v2, v47, v33
	global_load_dwordx2 v[112:113], v[108:109], off
	v_fma_f32 v18, -v18, v2, v32
	v_div_fmas_f32 v2, v18, v33, v2
	v_div_fixup_f32 v2, v2, v20, 1.0
	v_mul_f32_e32 v18, v21, v2
	v_mul_f32_e32 v20, v19, v2
	v_add_u32_e32 v2, s36, v46
	v_lshl_add_u64 v[116:117], v[2:3], 3, s[8:9]
	global_load_dwordx2 v[118:119], v[116:117], off
	v_xor_b32_e32 v88, 0x80000000, v15
	v_mov_b32_e32 v89, v14
	v_xor_b32_e32 v94, 0x80000000, v13
	v_mov_b32_e32 v95, v12
	v_mov_b32_e32 v2, v3
	s_waitcnt vmcnt(15)
	v_mul_f32_e32 v78, v20, v36
	v_mul_f32_e64 v72, v20, -v37
	v_fmac_f32_e32 v78, v37, v18
	s_waitcnt vmcnt(12)
	v_mul_f32_e32 v86, v20, v40
	v_mul_f32_e64 v82, v20, -v41
	v_fmac_f32_e32 v86, v41, v18
	v_fmac_f32_e32 v72, v36, v18
	v_pk_mul_f32 v[32:33], v[78:79], v[88:89] op_sel_hi:[0,1]
	v_fmac_f32_e32 v82, v40, v18
	v_pk_mul_f32 v[36:37], v[86:87], v[94:95] op_sel_hi:[0,1]
	v_pk_fma_f32 v[32:33], v[14:15], v[72:73], v[32:33] op_sel_hi:[1,0,1]
	v_pk_fma_f32 v[36:37], v[12:13], v[82:83], v[36:37] op_sel_hi:[1,0,1]
	v_mul_f32_e32 v46, v20, v42
	s_waitcnt vmcnt(11)
	v_mul_f32_e32 v60, v20, v44
	v_pk_add_f32 v[32:33], v[32:33], v[36:37] neg_lo:[0,1] neg_hi:[0,1]
	v_mul_f32_e64 v36, v20, -v43
	v_fmac_f32_e32 v46, v43, v18
	v_mul_f32_e64 v50, v20, -v45
	v_fmac_f32_e32 v60, v45, v18
	global_store_dwordx2 v[30:31], v[32:33], off
	v_fmac_f32_e32 v36, v42, v18
	v_fmac_f32_e32 v50, v44, v18
	v_pk_mul_f32 v[30:31], v[46:47], v[88:89] op_sel_hi:[0,1]
	v_pk_mul_f32 v[32:33], v[60:61], v[94:95] op_sel_hi:[0,1]
	v_pk_fma_f32 v[30:31], v[14:15], v[36:37], v[30:31] op_sel_hi:[1,0,1]
	v_pk_fma_f32 v[32:33], v[12:13], v[50:51], v[32:33] op_sel_hi:[1,0,1]
	v_mul_f32_e32 v74, v20, v52
	s_waitcnt vmcnt(11)
	v_mul_f32_e32 v84, v20, v54
	v_pk_add_f32 v[30:31], v[30:31], v[32:33] neg_lo:[0,1] neg_hi:[0,1]
	v_mul_f32_e64 v64, v20, -v53
	v_fmac_f32_e32 v74, v53, v18
	v_mul_f32_e64 v76, v20, -v55
	v_fmac_f32_e32 v84, v55, v18
	global_store_dwordx2 v[38:39], v[30:31], off
	v_fmac_f32_e32 v64, v52, v18
	v_fmac_f32_e32 v76, v54, v18
	v_pk_mul_f32 v[30:31], v[74:75], v[88:89] op_sel_hi:[0,1]
	v_pk_mul_f32 v[32:33], v[84:85], v[94:95] op_sel_hi:[0,1]
	v_pk_fma_f32 v[30:31], v[14:15], v[64:65], v[30:31] op_sel_hi:[1,0,1]
	v_pk_fma_f32 v[32:33], v[12:13], v[76:77], v[32:33] op_sel_hi:[1,0,1]
	s_waitcnt vmcnt(11)
	v_mul_f32_e32 v42, v20, v56
	s_waitcnt vmcnt(7)
	v_mul_f32_e32 v52, v20, v66
	v_pk_add_f32 v[30:31], v[30:31], v[32:33] neg_lo:[0,1] neg_hi:[0,1]
	v_mul_f32_e64 v32, v20, -v57
	v_fmac_f32_e32 v42, v57, v18
	v_mul_f32_e64 v44, v20, -v67
	v_fmac_f32_e32 v52, v67, v18
	global_store_dwordx2 v[34:35], v[30:31], off
	v_fmac_f32_e32 v32, v56, v18
	v_fmac_f32_e32 v44, v66, v18
	v_pk_mul_f32 v[30:31], v[42:43], v[88:89] op_sel_hi:[0,1]
	v_pk_mul_f32 v[34:35], v[52:53], v[94:95] op_sel_hi:[0,1]
	s_waitcnt vmcnt(7)
	v_mul_f32_e64 v70, v20, -v81
	v_pk_fma_f32 v[30:31], v[14:15], v[32:33], v[30:31] op_sel_hi:[1,0,1]
	v_pk_fma_f32 v[34:35], v[12:13], v[44:45], v[34:35] op_sel_hi:[1,0,1]
	v_mul_f32_e32 v68, v20, v58
	v_fmac_f32_e32 v70, v80, v18
	v_mul_f32_e32 v80, v20, v80
	v_pk_add_f32 v[30:31], v[30:31], v[34:35] neg_lo:[0,1] neg_hi:[0,1]
	v_mul_f32_e64 v56, v20, -v59
	v_fmac_f32_e32 v68, v59, v18
	v_fmac_f32_e32 v80, v81, v18
	global_store_dwordx2 v[48:49], v[30:31], off
	v_fmac_f32_e32 v56, v58, v18
	v_pk_mul_f32 v[30:31], v[68:69], v[88:89] op_sel_hi:[0,1]
	v_pk_mul_f32 v[34:35], v[80:81], v[94:95] op_sel_hi:[0,1]
	v_pk_fma_f32 v[30:31], v[14:15], v[56:57], v[30:31] op_sel_hi:[1,0,1]
	v_pk_fma_f32 v[34:35], v[12:13], v[70:71], v[34:35] op_sel_hi:[1,0,1]
	v_mul_f32_e64 v54, v20, -v63
	v_mul_f32_e32 v58, v20, v62
	s_waitcnt vmcnt(7)
	v_mul_f32_e32 v66, v20, v110
	v_pk_add_f32 v[30:31], v[30:31], v[34:35] neg_lo:[0,1] neg_hi:[0,1]
	v_fmac_f32_e32 v54, v62, v18
	v_fmac_f32_e32 v58, v63, v18
	v_mul_f32_e64 v62, v20, -v111
	v_fmac_f32_e32 v66, v111, v18
	global_store_dwordx2 v[28:29], v[30:31], off
	v_fmac_f32_e32 v62, v110, v18
	v_pk_mul_f32 v[28:29], v[58:59], v[88:89] op_sel_hi:[0,1]
	v_pk_mul_f32 v[30:31], v[66:67], v[94:95] op_sel_hi:[0,1]
	v_pk_fma_f32 v[28:29], v[14:15], v[54:55], v[28:29] op_sel_hi:[1,0,1]
	v_pk_fma_f32 v[30:31], v[12:13], v[62:63], v[30:31] op_sel_hi:[1,0,1]
	v_mul_f32_e32 v38, v20, v100
	s_waitcnt vmcnt(6)
	v_mul_f32_e32 v48, v20, v112
	v_pk_add_f32 v[28:29], v[28:29], v[30:31] neg_lo:[0,1] neg_hi:[0,1]
	v_mul_f32_e64 v34, v20, -v101
	v_fmac_f32_e32 v38, v101, v18
	v_mul_f32_e64 v40, v20, -v113
	v_fmac_f32_e32 v48, v113, v18
	global_store_dwordx2 v[26:27], v[28:29], off
	v_fmac_f32_e32 v34, v100, v18
	v_fmac_f32_e32 v40, v112, v18
	v_pk_mul_f32 v[26:27], v[38:39], v[88:89] op_sel_hi:[0,1]
	v_pk_mul_f32 v[28:29], v[48:49], v[94:95] op_sel_hi:[0,1]
	v_pk_fma_f32 v[26:27], v[14:15], v[34:35], v[26:27] op_sel_hi:[1,0,1]
	v_pk_fma_f32 v[28:29], v[12:13], v[40:41], v[28:29] op_sel_hi:[1,0,1]
	s_waitcnt vmcnt(6)
	v_mul_f32_e32 v30, v20, v118
	v_pk_add_f32 v[26:27], v[26:27], v[28:29] neg_lo:[0,1] neg_hi:[0,1]
	global_store_dwordx2 v[24:25], v[26:27], off
	v_mul_f32_e32 v26, v20, v114
	v_mul_f32_e64 v24, v20, -v115
	v_fmac_f32_e32 v26, v115, v18
	v_fmac_f32_e32 v24, v114, v18
	v_mul_f32_e64 v28, v20, -v119
	v_fmac_f32_e32 v30, v119, v18
	v_pk_mul_f32 v[88:89], v[26:27], v[88:89] op_sel_hi:[0,1]
	v_fmac_f32_e32 v28, v118, v18
	v_pk_fma_f32 v[14:15], v[14:15], v[24:25], v[88:89] op_sel_hi:[1,0,1]
	v_pk_mul_f32 v[88:89], v[30:31], v[94:95] op_sel_hi:[0,1]
	v_pk_fma_f32 v[12:13], v[12:13], v[28:29], v[88:89] op_sel_hi:[1,0,1]
	v_pk_mul_f32 v[88:89], v[86:87], v[16:17] op_sel_hi:[0,1]
	v_pk_add_f32 v[12:13], v[14:15], v[12:13] neg_lo:[0,1] neg_hi:[0,1]
	global_store_dwordx2 v[98:99], v[12:13], off
	v_pk_add_f32 v[12:13], v[6:7], 0 neg_lo:[1,1] neg_hi:[1,1]
	v_pk_fma_f32 v[88:89], v[4:5], v[82:83], v[88:89] op_sel_hi:[1,0,1]
	v_pk_mov_b32 v[14:15], v[6:7], v[12:13] op_sel:[1,0]
	s_nop 0
	v_pk_mul_f32 v[12:13], v[14:15], v[78:79] op_sel_hi:[1,0]
	s_nop 0
	v_pk_fma_f32 v[12:13], v[6:7], v[72:73], v[12:13] op_sel_hi:[1,0,1] neg_lo:[1,0,0] neg_hi:[1,0,0]
	s_nop 0
	v_pk_add_f32 v[12:13], v[12:13], v[88:89]
	global_store_dwordx2 v[22:23], v[12:13], off
	v_pk_mul_f32 v[12:13], v[14:15], v[46:47] op_sel_hi:[1,0]
	v_pk_mul_f32 v[22:23], v[60:61], v[16:17] op_sel_hi:[0,1]
	v_pk_fma_f32 v[12:13], v[6:7], v[36:37], v[12:13] op_sel_hi:[1,0,1] neg_lo:[1,0,0] neg_hi:[1,0,0]
	v_pk_fma_f32 v[22:23], v[4:5], v[50:51], v[22:23] op_sel_hi:[1,0,1]
	s_nop 0
	v_pk_add_f32 v[12:13], v[12:13], v[22:23]
	global_store_dwordx2 v[90:91], v[12:13], off
	v_pk_mul_f32 v[12:13], v[14:15], v[74:75] op_sel_hi:[1,0]
	v_pk_mul_f32 v[22:23], v[84:85], v[16:17] op_sel_hi:[0,1]
	v_pk_fma_f32 v[12:13], v[6:7], v[64:65], v[12:13] op_sel_hi:[1,0,1] neg_lo:[1,0,0] neg_hi:[1,0,0]
	v_pk_fma_f32 v[22:23], v[4:5], v[76:77], v[22:23] op_sel_hi:[1,0,1]
	s_nop 0
	v_pk_add_f32 v[12:13], v[12:13], v[22:23]
	global_store_dwordx2 v[96:97], v[12:13], off
	v_pk_mul_f32 v[12:13], v[14:15], v[42:43] op_sel_hi:[1,0]
	v_pk_mul_f32 v[22:23], v[52:53], v[16:17] op_sel_hi:[0,1]
	v_pk_fma_f32 v[12:13], v[6:7], v[32:33], v[12:13] op_sel_hi:[1,0,1] neg_lo:[1,0,0] neg_hi:[1,0,0]
	v_pk_fma_f32 v[22:23], v[4:5], v[44:45], v[22:23] op_sel_hi:[1,0,1]
	s_nop 0
	v_pk_add_f32 v[12:13], v[12:13], v[22:23]
	global_store_dwordx2 v[102:103], v[12:13], off
	v_pk_mul_f32 v[12:13], v[14:15], v[68:69] op_sel_hi:[1,0]
	v_pk_mul_f32 v[22:23], v[80:81], v[16:17] op_sel_hi:[0,1]
	v_pk_fma_f32 v[12:13], v[6:7], v[56:57], v[12:13] op_sel_hi:[1,0,1] neg_lo:[1,0,0] neg_hi:[1,0,0]
	v_pk_fma_f32 v[22:23], v[4:5], v[70:71], v[22:23] op_sel_hi:[1,0,1]
	s_nop 0
	v_pk_add_f32 v[12:13], v[12:13], v[22:23]
	global_store_dwordx2 v[104:105], v[12:13], off
	v_pk_mul_f32 v[12:13], v[14:15], v[58:59] op_sel_hi:[1,0]
	v_pk_mul_f32 v[22:23], v[66:67], v[16:17] op_sel_hi:[0,1]
	v_pk_fma_f32 v[12:13], v[6:7], v[54:55], v[12:13] op_sel_hi:[1,0,1] neg_lo:[1,0,0] neg_hi:[1,0,0]
	v_pk_fma_f32 v[22:23], v[4:5], v[62:63], v[22:23] op_sel_hi:[1,0,1]
	s_nop 0
	v_pk_add_f32 v[12:13], v[12:13], v[22:23]
	global_store_dwordx2 v[106:107], v[12:13], off
	v_pk_mul_f32 v[12:13], v[14:15], v[38:39] op_sel_hi:[1,0]
	v_pk_mul_f32 v[22:23], v[48:49], v[16:17] op_sel_hi:[0,1]
	v_pk_fma_f32 v[12:13], v[6:7], v[34:35], v[12:13] op_sel_hi:[1,0,1] neg_lo:[1,0,0] neg_hi:[1,0,0]
	v_pk_fma_f32 v[22:23], v[4:5], v[40:41], v[22:23] op_sel_hi:[1,0,1]
	s_nop 0
	v_pk_add_f32 v[12:13], v[12:13], v[22:23]
	global_store_dwordx2 v[108:109], v[12:13], off
	v_pk_mul_f32 v[12:13], v[14:15], v[26:27] op_sel_hi:[1,0]
	v_pk_mul_f32 v[22:23], v[30:31], v[16:17] op_sel_hi:[0,1]
	v_pk_fma_f32 v[12:13], v[6:7], v[24:25], v[12:13] op_sel_hi:[1,0,1] neg_lo:[1,0,0] neg_hi:[1,0,0]
	v_pk_fma_f32 v[22:23], v[4:5], v[28:29], v[22:23] op_sel_hi:[1,0,1]
	s_nop 0
	v_pk_add_f32 v[12:13], v[12:13], v[22:23]
	global_store_dwordx2 v[116:117], v[12:13], off
	v_mov_b32_e32 v12, v4
	v_mov_b32_e32 v13, v4
	v_mov_b64_e32 v[22:23], v[2:3]
	s_and_saveexec_b64 s[20:21], s[2:3]
	s_cbranch_execz .LBB249_16
; %bb.15:                               ;   in Loop: Header=BB249_5 Depth=1
	v_add_u32_e32 v22, v1, v93
	v_add_u32_e32 v2, s28, v22
	v_lshl_add_u64 v[88:89], v[2:3], 3, s[8:9]
	global_load_dwordx2 v[90:91], v[88:89], off
	v_mov_b32_e32 v2, v11
	v_pk_mul_f32 v[14:15], v[2:3], v[14:15] op_sel_hi:[0,1]
	v_pk_mul_f32 v[16:17], v[2:3], v[16:17] op_sel_hi:[0,1]
	v_pk_fma_f32 v[6:7], v[6:7], v[10:11], v[14:15] op_sel_hi:[1,0,1] neg_lo:[1,0,0] neg_hi:[1,0,0]
	v_pk_fma_f32 v[14:15], v[4:5], v[10:11], v[16:17] op_sel_hi:[1,0,1]
	v_mov_b32_e32 v87, v86
	v_xor_b32_e32 v16, 0x80000000, v15
	v_mov_b32_e32 v17, v14
	v_mov_b32_e32 v83, v82
	v_pk_mul_f32 v[86:87], v[86:87], v[16:17]
	v_mov_b32_e32 v79, v78
	v_pk_fma_f32 v[82:83], v[14:15], v[82:83], v[86:87]
	v_pk_add_f32 v[86:87], v[6:7], 0 neg_lo:[1,1] neg_hi:[1,1]
	v_mov_b32_e32 v73, v72
	v_pk_mov_b32 v[86:87], v[6:7], v[86:87] op_sel:[1,0]
	v_add_u32_e32 v2, s29, v22
	v_pk_mul_f32 v[78:79], v[86:87], v[78:79]
	v_mov_b32_e32 v47, v46
	v_pk_fma_f32 v[72:73], v[6:7], v[72:73], v[78:79] neg_lo:[1,0,0] neg_hi:[1,0,0]
	v_lshl_add_u64 v[78:79], v[2:3], 3, s[8:9]
	v_pk_add_f32 v[72:73], v[72:73], v[82:83] neg_lo:[0,1] neg_hi:[0,1]
	v_add_u32_e32 v2, s30, v22
	global_load_dwordx2 v[82:83], v[78:79], off
	v_mov_b32_e32 v61, v60
	v_mov_b32_e32 v37, v36
	;; [unrolled: 1-line block ×3, first 2 shown]
	v_pk_mul_f32 v[60:61], v[60:61], v[16:17]
	v_pk_mul_f32 v[46:47], v[86:87], v[46:47]
	v_mov_b32_e32 v75, v74
	v_mov_b32_e32 v85, v84
	v_pk_fma_f32 v[50:51], v[14:15], v[50:51], v[60:61]
	v_pk_fma_f32 v[36:37], v[6:7], v[36:37], v[46:47] neg_lo:[1,0,0] neg_hi:[1,0,0]
	v_mov_b32_e32 v65, v64
	v_mov_b32_e32 v77, v76
	v_pk_mul_f32 v[84:85], v[84:85], v[16:17]
	v_pk_mul_f32 v[60:61], v[86:87], v[74:75]
	v_pk_add_f32 v[36:37], v[36:37], v[50:51] neg_lo:[0,1] neg_hi:[0,1]
	v_pk_fma_f32 v[74:75], v[14:15], v[76:77], v[84:85]
	v_pk_fma_f32 v[46:47], v[6:7], v[64:65], v[60:61] neg_lo:[1,0,0] neg_hi:[1,0,0]
	v_mov_b32_e32 v43, v42
	v_pk_add_f32 v[46:47], v[46:47], v[74:75] neg_lo:[0,1] neg_hi:[0,1]
	v_mov_b32_e32 v53, v52
	v_mov_b32_e32 v33, v32
	;; [unrolled: 1-line block ×5, first 2 shown]
	v_pk_mul_f32 v[50:51], v[52:53], v[16:17]
	v_pk_mul_f32 v[42:43], v[86:87], v[42:43]
	v_mov_b32_e32 v57, v56
	v_mov_b32_e32 v71, v70
	v_pk_mul_f32 v[52:53], v[80:81], v[16:17]
	v_pk_fma_f32 v[44:45], v[14:15], v[44:45], v[50:51]
	v_pk_mul_f32 v[50:51], v[86:87], v[68:69]
	v_pk_fma_f32 v[32:33], v[6:7], v[32:33], v[42:43] neg_lo:[1,0,0] neg_hi:[1,0,0]
	v_pk_fma_f32 v[52:53], v[14:15], v[70:71], v[52:53]
	v_pk_fma_f32 v[42:43], v[6:7], v[56:57], v[50:51] neg_lo:[1,0,0] neg_hi:[1,0,0]
	v_pk_add_f32 v[32:33], v[32:33], v[44:45] neg_lo:[0,1] neg_hi:[0,1]
	v_pk_add_f32 v[42:43], v[42:43], v[52:53] neg_lo:[0,1] neg_hi:[0,1]
	v_mov_b32_e32 v59, v58
	v_mov_b32_e32 v67, v66
	v_mov_b32_e32 v55, v54
	v_mov_b32_e32 v63, v62
	v_mov_b32_e32 v39, v38
	v_mov_b32_e32 v49, v48
	v_mov_b32_e32 v35, v34
	v_mov_b32_e32 v41, v40
	v_pk_mul_f32 v[38:39], v[86:87], v[38:39]
	v_ashrrev_i32_e32 v23, 31, v22
	v_pk_fma_f32 v[34:35], v[6:7], v[34:35], v[38:39] neg_lo:[1,0,0] neg_hi:[1,0,0]
	v_mov_b32_e32 v27, v26
	v_mov_b32_e32 v31, v30
	;; [unrolled: 1-line block ×4, first 2 shown]
	s_waitcnt vmcnt(1)
	v_pk_add_f32 v[72:73], v[72:73], v[90:91]
	v_lshl_add_u64 v[90:91], v[2:3], 3, s[8:9]
	global_store_dwordx2 v[88:89], v[72:73], off
	global_load_dwordx2 v[72:73], v[90:91], off
	v_add_u32_e32 v2, s31, v22
	v_lshl_add_u64 v[88:89], v[2:3], 3, s[8:9]
	v_add_u32_e32 v2, s33, v22
	v_lshl_add_u64 v[76:77], v[2:3], 3, s[8:9]
	;; [unrolled: 2-line block ×3, first 2 shown]
	v_add_u32_e32 v2, s35, v22
	s_waitcnt vmcnt(2)
	v_pk_add_f32 v[36:37], v[36:37], v[82:83]
	global_store_dwordx2 v[78:79], v[36:37], off
	global_load_dwordx2 v[36:37], v[88:89], off
	s_waitcnt vmcnt(2)
	v_pk_add_f32 v[46:47], v[46:47], v[72:73]
	global_store_dwordx2 v[90:91], v[46:47], off
	global_load_dwordx2 v[46:47], v[76:77], off
	s_waitcnt vmcnt(2)
	v_pk_add_f32 v[32:33], v[32:33], v[36:37]
	global_store_dwordx2 v[88:89], v[32:33], off
	v_pk_mul_f32 v[36:37], v[66:67], v[16:17]
	s_waitcnt vmcnt(1)
	v_pk_add_f32 v[32:33], v[42:43], v[46:47]
	global_store_dwordx2 v[76:77], v[32:33], off
	global_load_dwordx2 v[32:33], v[50:51], off
	v_pk_mul_f32 v[42:43], v[86:87], v[58:59]
	v_pk_fma_f32 v[36:37], v[14:15], v[62:63], v[36:37]
	v_pk_fma_f32 v[42:43], v[6:7], v[54:55], v[42:43] neg_lo:[1,0,0] neg_hi:[1,0,0]
	s_nop 0
	v_pk_add_f32 v[36:37], v[42:43], v[36:37] neg_lo:[0,1] neg_hi:[0,1]
	v_lshl_add_u64 v[42:43], v[2:3], 3, s[8:9]
	v_add_u32_e32 v2, s36, v22
	v_lshl_add_u64 v[22:23], v[22:23], 3, s[14:15]
	global_load_dwordx2 v[22:23], v[22:23], off
	s_waitcnt vmcnt(1)
	v_pk_add_f32 v[32:33], v[36:37], v[32:33]
	global_store_dwordx2 v[50:51], v[32:33], off
	global_load_dwordx2 v[32:33], v[42:43], off
	v_pk_mul_f32 v[36:37], v[48:49], v[16:17]
	s_nop 0
	v_pk_fma_f32 v[36:37], v[14:15], v[40:41], v[36:37]
	s_nop 0
	v_pk_add_f32 v[34:35], v[34:35], v[36:37] neg_lo:[0,1] neg_hi:[0,1]
	v_lshl_add_u64 v[36:37], v[2:3], 3, s[8:9]
	v_mov_b32_e32 v2, v9
	s_waitcnt vmcnt(0)
	v_pk_add_f32 v[32:33], v[34:35], v[32:33]
	global_store_dwordx2 v[42:43], v[32:33], off
	global_load_dwordx2 v[32:33], v[36:37], off
	v_xor_b32_e32 v34, 0x80000000, v11
	v_mov_b32_e32 v35, v10
	v_pk_mul_f32 v[4:5], v[4:5], v[34:35] op_sel:[1,0]
	s_nop 0
	v_pk_fma_f32 v[4:5], v[10:11], v[12:13], v[4:5]
	v_pk_mul_f32 v[12:13], v[30:31], v[16:17]
	v_xor_b32_e32 v10, 0x80000000, v5
	v_mov_b32_e32 v11, v4
	v_pk_mul_f32 v[10:11], v[2:3], v[10:11] op_sel_hi:[0,1]
	v_pk_fma_f32 v[4:5], v[4:5], v[8:9], v[10:11] op_sel_hi:[1,0,1]
	v_pk_mul_f32 v[16:17], v[86:87], v[26:27]
	v_xor_b32_e32 v8, 0x80000000, v5
	v_mov_b32_e32 v9, v4
	v_pk_fma_f32 v[12:13], v[14:15], v[28:29], v[12:13]
	v_pk_fma_f32 v[6:7], v[6:7], v[24:25], v[16:17] neg_lo:[1,0,0] neg_hi:[1,0,0]
	v_pk_mul_f32 v[8:9], v[20:21], v[8:9] op_sel_hi:[0,1]
	v_pk_add_f32 v[6:7], v[6:7], v[12:13] neg_lo:[0,1] neg_hi:[0,1]
	v_pk_fma_f32 v[4:5], v[4:5], v[18:19], v[8:9] op_sel_hi:[1,0,1]
	s_waitcnt vmcnt(0)
	v_pk_add_f32 v[6:7], v[6:7], v[32:33]
	v_pk_add_f32 v[22:23], v[22:23], v[4:5] neg_lo:[0,1] neg_hi:[0,1]
	global_store_dwordx2 v[36:37], v[6:7], off
.LBB249_16:                             ;   in Loop: Header=BB249_5 Depth=1
	s_or_b64 exec, exec, s[20:21]
	v_mov_b64_e32 v[4:5], v[22:23]
                                        ; implicit-def: $vgpr12_vgpr13
                                        ; implicit-def: $vgpr6
                                        ; implicit-def: $vgpr14_vgpr15
                                        ; implicit-def: $vgpr38
                                        ; implicit-def: $vgpr34
                                        ; implicit-def: $vgpr32
                                        ; implicit-def: $vgpr28
                                        ; implicit-def: $vgpr26
                                        ; implicit-def: $vgpr24
                                        ; implicit-def: $vgpr20
                                        ; implicit-def: $vgpr18
.LBB249_17:                             ;   in Loop: Header=BB249_5 Depth=1
	s_or_saveexec_b64 s[2:3], s[4:5]
	v_mov_b32_e32 v8, s27
	s_xor_b64 exec, exec, s[2:3]
	s_cbranch_execz .LBB249_4
; %bb.18:                               ;   in Loop: Header=BB249_5 Depth=1
	v_mov_b32_e32 v29, v3
	v_lshl_add_u64 v[10:11], v[2:3], 3, s[8:9]
	v_mov_b32_e32 v39, v3
	v_mov_b32_e32 v35, v3
	;; [unrolled: 1-line block ×3, first 2 shown]
	v_lshl_add_u64 v[42:43], v[28:29], 3, s[8:9]
	v_mov_b32_e32 v27, v3
	v_mov_b32_e32 v25, v3
	v_mov_b32_e32 v21, v3
	v_lshl_add_u64 v[36:37], v[38:39], 3, s[8:9]
	v_lshl_add_u64 v[34:35], v[34:35], 3, s[8:9]
	;; [unrolled: 1-line block ×3, first 2 shown]
	global_load_dwordx2 v[16:17], v[10:11], off
	global_load_dwordx2 v[22:23], v[36:37], off
	;; [unrolled: 1-line block ×4, first 2 shown]
	v_lshl_add_u64 v[44:45], v[26:27], 3, s[8:9]
	v_lshl_add_u64 v[46:47], v[24:25], 3, s[8:9]
	;; [unrolled: 1-line block ×3, first 2 shown]
	global_load_dwordx2 v[20:21], v[42:43], off
	global_load_dwordx2 v[50:51], v[44:45], off
	;; [unrolled: 1-line block ×4, first 2 shown]
	v_mul_f32_e32 v2, v5, v5
	v_fmac_f32_e32 v2, v4, v4
	v_div_scale_f32 v9, s[4:5], v2, v2, 1.0
	v_rcp_f32_e32 v19, v9
	v_fma_f32 v8, 0, v5, v4
	v_fma_f32 v5, v4, 0, -v5
	v_div_scale_f32 v4, vcc, 1.0, v2, 1.0
	v_fma_f32 v24, -v9, v19, 1.0
	v_fmac_f32_e32 v19, v24, v19
	v_mul_f32_e32 v24, v4, v19
	v_fma_f32 v25, -v9, v24, v4
	v_fmac_f32_e32 v24, v25, v19
	v_fma_f32 v4, -v9, v24, v4
	v_div_fmas_f32 v4, v4, v19, v24
	v_div_fixup_f32 v2, v4, v2, 1.0
	v_mul_f32_e32 v4, v8, v2
	v_mul_f32_e32 v8, v5, v2
	s_waitcnt vmcnt(7)
	v_pk_mul_f32 v[24:25], v[8:9], v[16:17] op_sel:[0,1] op_sel_hi:[0,0] neg_lo:[0,1]
	v_pk_fma_f32 v[26:27], v[16:17], v[4:5], v[24:25] op_sel_hi:[1,0,1]
	s_waitcnt vmcnt(6)
	v_pk_mul_f32 v[16:17], v[8:9], v[22:23] op_sel:[0,1] op_sel_hi:[0,0] neg_lo:[0,1]
	s_waitcnt vmcnt(5)
	v_pk_mul_f32 v[24:25], v[8:9], v[38:39] op_sel:[0,1] op_sel_hi:[0,0] neg_lo:[0,1]
	;; [unrolled: 2-line block ×7, first 2 shown]
	global_store_dwordx2 v[10:11], v[26:27], off
	v_pk_fma_f32 v[30:31], v[22:23], v[4:5], v[16:17] op_sel_hi:[1,0,1]
	v_pk_fma_f32 v[28:29], v[38:39], v[4:5], v[24:25] op_sel_hi:[1,0,1]
	;; [unrolled: 1-line block ×7, first 2 shown]
	global_store_dwordx2 v[36:37], v[30:31], off
	global_store_dwordx2 v[34:35], v[28:29], off
	;; [unrolled: 1-line block ×7, first 2 shown]
	s_and_saveexec_b64 s[4:5], s[0:1]
	s_cbranch_execz .LBB249_3
; %bb.19:                               ;   in Loop: Header=BB249_5 Depth=1
	v_add_u32_e32 v5, v92, v93
	v_add_u32_e32 v2, s28, v5
	v_lshl_add_u64 v[32:33], v[2:3], 3, s[8:9]
	global_load_dwordx2 v[34:35], v[32:33], off
	v_add_u32_e32 v2, s29, v5
	v_xor_b32_e32 v36, 0x80000000, v6
	v_mov_b32_e32 v37, v18
	v_lshl_add_u64 v[40:41], v[2:3], 3, s[8:9]
	v_mov_b32_e32 v38, v7
	v_mov_b32_e32 v39, v36
	global_load_dwordx2 v[42:43], v[40:41], off
	v_add_u32_e32 v2, s30, v5
	v_lshl_add_u64 v[44:45], v[2:3], 3, s[8:9]
	v_add_u32_e32 v2, s31, v5
	s_waitcnt vmcnt(1)
	v_pk_fma_f32 v[34:35], v[36:37], v[26:27], v[34:35] op_sel_hi:[1,0,1]
	s_nop 0
	v_pk_fma_f32 v[26:27], v[38:39], v[26:27], v[34:35] op_sel:[0,1,0]
	global_store_dwordx2 v[32:33], v[26:27], off
	global_load_dwordx2 v[26:27], v[44:45], off
	v_lshl_add_u64 v[32:33], v[2:3], 3, s[8:9]
	v_add_u32_e32 v2, s33, v5
	v_lshl_add_u64 v[34:35], v[2:3], 3, s[8:9]
	s_waitcnt vmcnt(2)
	v_pk_fma_f32 v[42:43], v[36:37], v[30:31], v[42:43] op_sel_hi:[1,0,1]
	v_add_u32_e32 v2, s34, v5
	v_pk_fma_f32 v[30:31], v[38:39], v[30:31], v[42:43] op_sel:[0,1,0]
	global_store_dwordx2 v[40:41], v[30:31], off
	global_load_dwordx2 v[30:31], v[32:33], off
	s_waitcnt vmcnt(2)
	v_pk_fma_f32 v[26:27], v[36:37], v[28:29], v[26:27] op_sel_hi:[1,0,1]
	s_nop 0
	v_pk_fma_f32 v[26:27], v[38:39], v[28:29], v[26:27] op_sel:[0,1,0]
	global_store_dwordx2 v[44:45], v[26:27], off
	global_load_dwordx2 v[26:27], v[34:35], off
	v_lshl_add_u64 v[28:29], v[2:3], 3, s[8:9]
	v_add_u32_e32 v2, s35, v5
	s_waitcnt vmcnt(2)
	v_pk_fma_f32 v[30:31], v[36:37], v[24:25], v[30:31] op_sel_hi:[1,0,1]
	s_nop 0
	v_pk_fma_f32 v[24:25], v[38:39], v[24:25], v[30:31] op_sel:[0,1,0]
	global_store_dwordx2 v[32:33], v[24:25], off
	s_waitcnt vmcnt(1)
	v_pk_fma_f32 v[24:25], v[36:37], v[22:23], v[26:27] op_sel_hi:[1,0,1]
	s_nop 0
	v_pk_fma_f32 v[22:23], v[38:39], v[22:23], v[24:25] op_sel:[0,1,0]
	global_store_dwordx2 v[34:35], v[22:23], off
	global_load_dwordx2 v[22:23], v[28:29], off
	v_lshl_add_u64 v[24:25], v[2:3], 3, s[8:9]
	v_add_u32_e32 v2, s36, v5
	s_waitcnt vmcnt(0)
	v_pk_fma_f32 v[22:23], v[36:37], v[20:21], v[22:23] op_sel_hi:[1,0,1]
	s_nop 0
	v_pk_fma_f32 v[20:21], v[38:39], v[20:21], v[22:23] op_sel:[0,1,0]
	global_store_dwordx2 v[28:29], v[20:21], off
	global_load_dwordx2 v[20:21], v[24:25], off
	s_waitcnt vmcnt(0)
	v_pk_fma_f32 v[20:21], v[36:37], v[16:17], v[20:21] op_sel_hi:[1,0,1]
	s_nop 0
	v_pk_fma_f32 v[16:17], v[38:39], v[16:17], v[20:21] op_sel:[0,1,0]
	global_store_dwordx2 v[24:25], v[16:17], off
	v_lshl_add_u64 v[16:17], v[2:3], 3, s[8:9]
	global_load_dwordx2 v[20:21], v[16:17], off
	s_waitcnt vmcnt(0)
	v_pk_fma_f32 v[20:21], v[36:37], v[10:11], v[20:21] op_sel_hi:[1,0,1]
	s_nop 0
	v_pk_fma_f32 v[10:11], v[38:39], v[10:11], v[20:21] op_sel:[0,1,0]
	global_store_dwordx2 v[16:17], v[10:11], off
	s_branch .LBB249_3
.LBB249_20:
	s_or_b64 exec, exec, s[18:19]
	s_branch .LBB249_22
.LBB249_21:
	v_mov_b32_e32 v93, 0
.LBB249_22:
	v_subrev_u32_e32 v1, s22, v93
	v_add_u32_e32 v2, v1, v0
	v_ashrrev_i32_e32 v3, 31, v2
	s_waitcnt lgkmcnt(0)
	v_lshl_add_u64 v[2:3], v[2:3], 2, s[6:7]
	buffer_wbl2 sc1
	s_waitcnt vmcnt(0)
	buffer_inv sc1
	global_load_dword v2, v[2:3], off
	s_waitcnt vmcnt(0)
	v_mul_lo_u32 v2, v2, s22
	v_sub_u32_e32 v1, v1, v2
	v_cmp_lt_i32_e32 vcc, -1, v1
	s_and_b64 exec, exec, vcc
	s_cbranch_execz .LBB249_29
; %bb.23:
	s_lshl_b32 s4, s24, 3
	s_add_i32 s5, s4, s23
	s_add_i32 s12, s5, s23
	;; [unrolled: 1-line block ×7, first 2 shown]
	s_lshl_b32 s18, s22, 1
	s_mov_b64 s[0:1], 0
	v_mov_b32_e32 v3, 0
	s_branch .LBB249_25
.LBB249_24:                             ;   in Loop: Header=BB249_25 Depth=1
	s_or_b64 exec, exec, s[2:3]
	v_sub_u32_e32 v1, v1, v2
	v_cmp_gt_i32_e32 vcc, 0, v1
	s_or_b64 s[0:1], vcc, s[0:1]
	s_andn2_b64 exec, exec, s[0:1]
	s_cbranch_execz .LBB249_29
.LBB249_25:                             ; =>This Inner Loop Header: Depth=1
	v_add_u32_e32 v4, v1, v0
	v_ashrrev_i32_e32 v5, 31, v4
	s_waitcnt vmcnt(0)
	v_lshl_add_u64 v[6:7], v[4:5], 2, s[6:7]
	global_load_dword v2, v[6:7], off
	v_lshl_add_u64 v[6:7], v[4:5], 3, s[10:11]
	global_load_dwordx2 v[6:7], v[6:7], off
	s_waitcnt vmcnt(1)
	v_cmp_ne_u32_e32 vcc, 1, v2
	s_and_saveexec_b64 s[2:3], vcc
	s_xor_b64 s[2:3], exec, s[2:3]
	s_cbranch_execz .LBB249_27
; %bb.26:                               ;   in Loop: Header=BB249_25 Depth=1
	v_add_u32_e32 v5, v92, v1
	v_add_u32_e32 v2, s4, v5
	v_lshl_add_u64 v[8:9], v[2:3], 3, s[8:9]
	v_add_u32_e32 v2, s5, v5
	v_lshl_add_u64 v[10:11], v[2:3], 3, s[8:9]
	;; [unrolled: 2-line block ×9, first 2 shown]
	global_load_dwordx2 v[8:9], v[8:9], off
	s_waitcnt vmcnt(1)
	v_pk_add_f32 v[28:29], v[6:7], 0 neg_lo:[1,1] neg_hi:[1,1]
	global_load_dwordx2 v[26:27], v[24:25], off
	v_xor_b32_e32 v31, 0x80000000, v7
	v_mov_b32_e32 v30, v28
	v_pk_mov_b32 v[6:7], v[6:7], v[28:29] op_sel:[1,0]
	global_load_dwordx2 v[28:29], v[10:11], off
	global_load_dwordx2 v[32:33], v[12:13], off
	global_load_dwordx2 v[34:35], v[14:15], off
	global_load_dwordx2 v[36:37], v[16:17], off
	global_load_dwordx2 v[38:39], v[18:19], off
	global_load_dwordx2 v[40:41], v[20:21], off
	global_load_dwordx2 v[42:43], v[22:23], off
	v_add_u32_e32 v2, s5, v4
	v_lshl_add_u64 v[10:11], v[2:3], 3, s[8:9]
	v_add_u32_e32 v2, s12, v4
	v_lshl_add_u64 v[14:15], v[2:3], 3, s[8:9]
	v_add_u32_e32 v2, s13, v4
	s_waitcnt vmcnt(7)
	v_pk_fma_f32 v[12:13], v[30:31], v[8:9], v[26:27] op_sel_hi:[1,0,1]
	s_nop 0
	v_pk_fma_f32 v[12:13], v[6:7], v[8:9], v[12:13] op_sel:[0,1,0]
	global_store_dwordx2 v[24:25], v[12:13], off
	global_load_dwordx2 v[12:13], v[10:11], off
	s_waitcnt vmcnt(0)
	v_pk_fma_f32 v[12:13], v[30:31], v[28:29], v[12:13] op_sel_hi:[1,0,1]
	s_nop 0
	v_pk_fma_f32 v[12:13], v[6:7], v[28:29], v[12:13] op_sel:[0,1,0]
	global_store_dwordx2 v[10:11], v[12:13], off
	global_load_dwordx2 v[10:11], v[14:15], off
	v_lshl_add_u64 v[12:13], v[2:3], 3, s[8:9]
	v_add_u32_e32 v2, s14, v4
	s_waitcnt vmcnt(0)
	v_pk_fma_f32 v[10:11], v[30:31], v[32:33], v[10:11] op_sel_hi:[1,0,1]
	s_nop 0
	v_pk_fma_f32 v[10:11], v[6:7], v[32:33], v[10:11] op_sel:[0,1,0]
	global_store_dwordx2 v[14:15], v[10:11], off
	global_load_dwordx2 v[10:11], v[12:13], off
	v_lshl_add_u64 v[14:15], v[2:3], 3, s[8:9]
	v_add_u32_e32 v2, s15, v4
	;; [unrolled: 8-line block ×4, first 2 shown]
	v_lshl_add_u64 v[4:5], v[2:3], 3, s[8:9]
	v_subrev_u32_e32 v2, s22, v1
	s_waitcnt vmcnt(0)
	v_pk_fma_f32 v[10:11], v[30:31], v[38:39], v[10:11] op_sel_hi:[1,0,1]
	s_nop 0
	v_pk_fma_f32 v[10:11], v[6:7], v[38:39], v[10:11] op_sel:[0,1,0]
	global_store_dwordx2 v[12:13], v[10:11], off
	global_load_dwordx2 v[10:11], v[14:15], off
	v_add_u32_e32 v12, v2, v0
	v_ashrrev_i32_e32 v13, 31, v12
	v_add_u32_e32 v2, s4, v12
	v_lshl_add_u64 v[16:17], v[2:3], 3, s[8:9]
	v_add_u32_e32 v2, s5, v12
	s_waitcnt vmcnt(0)
	v_pk_fma_f32 v[10:11], v[30:31], v[40:41], v[10:11] op_sel_hi:[1,0,1]
	s_nop 0
	v_pk_fma_f32 v[10:11], v[6:7], v[40:41], v[10:11] op_sel:[0,1,0]
	global_store_dwordx2 v[14:15], v[10:11], off
	global_load_dwordx2 v[10:11], v[4:5], off
	v_lshl_add_u64 v[14:15], v[12:13], 3, s[10:11]
	global_load_dwordx2 v[14:15], v[14:15], off
	s_waitcnt vmcnt(1)
	v_pk_fma_f32 v[10:11], v[30:31], v[42:43], v[10:11] op_sel_hi:[1,0,1]
	s_nop 0
	v_pk_fma_f32 v[6:7], v[6:7], v[42:43], v[10:11] op_sel:[0,1,0]
	global_store_dwordx2 v[4:5], v[6:7], off
	global_load_dwordx2 v[4:5], v[16:17], off
	s_waitcnt vmcnt(2)
	v_pk_add_f32 v[10:11], v[14:15], 0 neg_lo:[1,1] neg_hi:[1,1]
	v_lshl_add_u64 v[6:7], v[2:3], 3, s[8:9]
	v_pk_mov_b32 v[10:11], v[14:15], v[10:11] op_sel:[1,0]
	v_add_u32_e32 v2, s12, v12
	s_waitcnt vmcnt(0)
	v_pk_fma_f32 v[4:5], v[14:15], v[8:9], v[4:5] op_sel_hi:[1,0,1] neg_lo:[1,0,0] neg_hi:[1,0,0]
	s_nop 0
	v_pk_fma_f32 v[4:5], v[10:11], v[8:9], v[4:5] op_sel:[0,1,0]
	global_store_dwordx2 v[16:17], v[4:5], off
	global_load_dwordx2 v[4:5], v[6:7], off
	v_lshl_add_u64 v[8:9], v[2:3], 3, s[8:9]
	v_add_u32_e32 v2, s13, v12
	s_waitcnt vmcnt(0)
	v_pk_fma_f32 v[4:5], v[14:15], v[28:29], v[4:5] op_sel_hi:[1,0,1] neg_lo:[1,0,0] neg_hi:[1,0,0]
	s_nop 0
	v_pk_fma_f32 v[4:5], v[10:11], v[28:29], v[4:5] op_sel:[0,1,0]
	global_store_dwordx2 v[6:7], v[4:5], off
	global_load_dwordx2 v[4:5], v[8:9], off
	v_lshl_add_u64 v[6:7], v[2:3], 3, s[8:9]
	;; [unrolled: 8-line block ×6, first 2 shown]
	s_waitcnt vmcnt(0)
	v_pk_fma_f32 v[4:5], v[14:15], v[40:41], v[4:5] op_sel_hi:[1,0,1] neg_lo:[1,0,0] neg_hi:[1,0,0]
	s_nop 0
	v_pk_fma_f32 v[4:5], v[10:11], v[40:41], v[4:5] op_sel:[0,1,0]
	global_store_dwordx2 v[8:9], v[4:5], off
	global_load_dwordx2 v[4:5], v[6:7], off
	s_waitcnt vmcnt(0)
	v_pk_fma_f32 v[4:5], v[14:15], v[42:43], v[4:5] op_sel_hi:[1,0,1] neg_lo:[1,0,0] neg_hi:[1,0,0]
	s_nop 0
	v_pk_fma_f32 v[4:5], v[10:11], v[42:43], v[4:5] op_sel:[0,1,0]
	global_store_dwordx2 v[6:7], v[4:5], off
                                        ; implicit-def: $vgpr4
                                        ; implicit-def: $vgpr6_vgpr7
.LBB249_27:                             ;   in Loop: Header=BB249_25 Depth=1
	s_or_saveexec_b64 s[2:3], s[2:3]
	v_mov_b32_e32 v2, s18
	s_xor_b64 exec, exec, s[2:3]
	s_cbranch_execz .LBB249_24
; %bb.28:                               ;   in Loop: Header=BB249_25 Depth=1
	v_add_u32_e32 v5, v92, v1
	v_add_u32_e32 v2, s4, v5
	v_lshl_add_u64 v[8:9], v[2:3], 3, s[8:9]
	v_add_u32_e32 v2, s4, v4
	v_lshl_add_u64 v[10:11], v[2:3], 3, s[8:9]
	global_load_dwordx2 v[12:13], v[8:9], off
	global_load_dwordx2 v[14:15], v[10:11], off
	s_waitcnt vmcnt(2)
	v_pk_add_f32 v[8:9], v[6:7], 0 neg_lo:[1,1] neg_hi:[1,1]
	v_xor_b32_e32 v17, 0x80000000, v7
	v_mov_b32_e32 v16, v8
	v_pk_mov_b32 v[8:9], v[6:7], v[8:9] op_sel:[1,0]
	v_add_u32_e32 v2, s5, v5
	v_lshl_add_u64 v[18:19], v[2:3], 3, s[8:9]
	v_add_u32_e32 v2, s5, v4
	v_lshl_add_u64 v[20:21], v[2:3], 3, s[8:9]
	v_add_u32_e32 v2, s12, v5
	s_waitcnt vmcnt(0)
	v_pk_fma_f32 v[14:15], v[16:17], v[12:13], v[14:15] op_sel_hi:[1,0,1]
	s_nop 0
	v_pk_fma_f32 v[12:13], v[8:9], v[12:13], v[14:15] op_sel:[0,1,0]
	global_store_dwordx2 v[10:11], v[12:13], off
	global_load_dwordx2 v[10:11], v[18:19], off
	s_nop 0
	global_load_dwordx2 v[12:13], v[20:21], off
	v_lshl_add_u64 v[14:15], v[2:3], 3, s[8:9]
	v_add_u32_e32 v2, s12, v4
	v_lshl_add_u64 v[18:19], v[2:3], 3, s[8:9]
	v_add_u32_e32 v2, s13, v5
	s_waitcnt vmcnt(0)
	v_pk_fma_f32 v[12:13], v[16:17], v[10:11], v[12:13] op_sel_hi:[1,0,1]
	s_nop 0
	v_pk_fma_f32 v[10:11], v[8:9], v[10:11], v[12:13] op_sel:[0,1,0]
	global_store_dwordx2 v[20:21], v[10:11], off
	global_load_dwordx2 v[10:11], v[14:15], off
	s_nop 0
	global_load_dwordx2 v[12:13], v[18:19], off
	;; [unrolled: 12-line block ×6, first 2 shown]
	v_lshl_add_u64 v[14:15], v[2:3], 3, s[8:9]
	v_add_u32_e32 v2, s17, v4
	v_lshl_add_u64 v[4:5], v[2:3], 3, s[8:9]
	v_mov_b32_e32 v2, s22
	s_waitcnt vmcnt(0)
	v_pk_fma_f32 v[12:13], v[16:17], v[10:11], v[12:13] op_sel_hi:[1,0,1]
	s_nop 0
	v_pk_fma_f32 v[10:11], v[8:9], v[10:11], v[12:13] op_sel:[0,1,0]
	global_store_dwordx2 v[18:19], v[10:11], off
	global_load_dwordx2 v[10:11], v[14:15], off
	s_nop 0
	global_load_dwordx2 v[12:13], v[4:5], off
	s_waitcnt vmcnt(0)
	v_pk_fma_f32 v[6:7], v[6:7], v[10:11], v[12:13] op_sel_hi:[1,0,1] neg_lo:[1,0,0] neg_hi:[1,0,0]
	s_nop 0
	v_pk_fma_f32 v[6:7], v[8:9], v[10:11], v[6:7] op_sel:[0,1,0]
	global_store_dwordx2 v[4:5], v[6:7], off
	s_branch .LBB249_24
.LBB249_29:
	s_endpgm
	.section	.rodata,"a",@progbits
	.p2align	6, 0x0
	.amdhsa_kernel _ZN9rocsparseL19gtsv_LBM_rhs_kernelILj256ELj128ELj8E21rocsparse_complex_numIfEEEviiiPKT2_S5_S5_PS3_S5_PKi
		.amdhsa_group_segment_fixed_size 0
		.amdhsa_private_segment_fixed_size 0
		.amdhsa_kernarg_size 64
		.amdhsa_user_sgpr_count 2
		.amdhsa_user_sgpr_dispatch_ptr 0
		.amdhsa_user_sgpr_queue_ptr 0
		.amdhsa_user_sgpr_kernarg_segment_ptr 1
		.amdhsa_user_sgpr_dispatch_id 0
		.amdhsa_user_sgpr_kernarg_preload_length 0
		.amdhsa_user_sgpr_kernarg_preload_offset 0
		.amdhsa_user_sgpr_private_segment_size 0
		.amdhsa_uses_dynamic_stack 0
		.amdhsa_enable_private_segment 0
		.amdhsa_system_sgpr_workgroup_id_x 1
		.amdhsa_system_sgpr_workgroup_id_y 1
		.amdhsa_system_sgpr_workgroup_id_z 0
		.amdhsa_system_sgpr_workgroup_info 0
		.amdhsa_system_vgpr_workitem_id 0
		.amdhsa_next_free_vgpr 120
		.amdhsa_next_free_sgpr 37
		.amdhsa_accum_offset 120
		.amdhsa_reserve_vcc 1
		.amdhsa_float_round_mode_32 0
		.amdhsa_float_round_mode_16_64 0
		.amdhsa_float_denorm_mode_32 3
		.amdhsa_float_denorm_mode_16_64 3
		.amdhsa_dx10_clamp 1
		.amdhsa_ieee_mode 1
		.amdhsa_fp16_overflow 0
		.amdhsa_tg_split 0
		.amdhsa_exception_fp_ieee_invalid_op 0
		.amdhsa_exception_fp_denorm_src 0
		.amdhsa_exception_fp_ieee_div_zero 0
		.amdhsa_exception_fp_ieee_overflow 0
		.amdhsa_exception_fp_ieee_underflow 0
		.amdhsa_exception_fp_ieee_inexact 0
		.amdhsa_exception_int_div_zero 0
	.end_amdhsa_kernel
	.section	.text._ZN9rocsparseL19gtsv_LBM_rhs_kernelILj256ELj128ELj8E21rocsparse_complex_numIfEEEviiiPKT2_S5_S5_PS3_S5_PKi,"axG",@progbits,_ZN9rocsparseL19gtsv_LBM_rhs_kernelILj256ELj128ELj8E21rocsparse_complex_numIfEEEviiiPKT2_S5_S5_PS3_S5_PKi,comdat
.Lfunc_end249:
	.size	_ZN9rocsparseL19gtsv_LBM_rhs_kernelILj256ELj128ELj8E21rocsparse_complex_numIfEEEviiiPKT2_S5_S5_PS3_S5_PKi, .Lfunc_end249-_ZN9rocsparseL19gtsv_LBM_rhs_kernelILj256ELj128ELj8E21rocsparse_complex_numIfEEEviiiPKT2_S5_S5_PS3_S5_PKi
                                        ; -- End function
	.set _ZN9rocsparseL19gtsv_LBM_rhs_kernelILj256ELj128ELj8E21rocsparse_complex_numIfEEEviiiPKT2_S5_S5_PS3_S5_PKi.num_vgpr, 120
	.set _ZN9rocsparseL19gtsv_LBM_rhs_kernelILj256ELj128ELj8E21rocsparse_complex_numIfEEEviiiPKT2_S5_S5_PS3_S5_PKi.num_agpr, 0
	.set _ZN9rocsparseL19gtsv_LBM_rhs_kernelILj256ELj128ELj8E21rocsparse_complex_numIfEEEviiiPKT2_S5_S5_PS3_S5_PKi.numbered_sgpr, 37
	.set _ZN9rocsparseL19gtsv_LBM_rhs_kernelILj256ELj128ELj8E21rocsparse_complex_numIfEEEviiiPKT2_S5_S5_PS3_S5_PKi.num_named_barrier, 0
	.set _ZN9rocsparseL19gtsv_LBM_rhs_kernelILj256ELj128ELj8E21rocsparse_complex_numIfEEEviiiPKT2_S5_S5_PS3_S5_PKi.private_seg_size, 0
	.set _ZN9rocsparseL19gtsv_LBM_rhs_kernelILj256ELj128ELj8E21rocsparse_complex_numIfEEEviiiPKT2_S5_S5_PS3_S5_PKi.uses_vcc, 1
	.set _ZN9rocsparseL19gtsv_LBM_rhs_kernelILj256ELj128ELj8E21rocsparse_complex_numIfEEEviiiPKT2_S5_S5_PS3_S5_PKi.uses_flat_scratch, 0
	.set _ZN9rocsparseL19gtsv_LBM_rhs_kernelILj256ELj128ELj8E21rocsparse_complex_numIfEEEviiiPKT2_S5_S5_PS3_S5_PKi.has_dyn_sized_stack, 0
	.set _ZN9rocsparseL19gtsv_LBM_rhs_kernelILj256ELj128ELj8E21rocsparse_complex_numIfEEEviiiPKT2_S5_S5_PS3_S5_PKi.has_recursion, 0
	.set _ZN9rocsparseL19gtsv_LBM_rhs_kernelILj256ELj128ELj8E21rocsparse_complex_numIfEEEviiiPKT2_S5_S5_PS3_S5_PKi.has_indirect_call, 0
	.section	.AMDGPU.csdata,"",@progbits
; Kernel info:
; codeLenInByte = 6192
; TotalNumSgprs: 43
; NumVgprs: 120
; NumAgprs: 0
; TotalNumVgprs: 120
; ScratchSize: 0
; MemoryBound: 0
; FloatMode: 240
; IeeeMode: 1
; LDSByteSize: 0 bytes/workgroup (compile time only)
; SGPRBlocks: 5
; VGPRBlocks: 14
; NumSGPRsForWavesPerEU: 43
; NumVGPRsForWavesPerEU: 120
; AccumOffset: 120
; Occupancy: 4
; WaveLimiterHint : 0
; COMPUTE_PGM_RSRC2:SCRATCH_EN: 0
; COMPUTE_PGM_RSRC2:USER_SGPR: 2
; COMPUTE_PGM_RSRC2:TRAP_HANDLER: 0
; COMPUTE_PGM_RSRC2:TGID_X_EN: 1
; COMPUTE_PGM_RSRC2:TGID_Y_EN: 1
; COMPUTE_PGM_RSRC2:TGID_Z_EN: 0
; COMPUTE_PGM_RSRC2:TIDIG_COMP_CNT: 0
; COMPUTE_PGM_RSRC3_GFX90A:ACCUM_OFFSET: 29
; COMPUTE_PGM_RSRC3_GFX90A:TG_SPLIT: 0
	.section	.text._ZN9rocsparseL19gtsv_LBM_rhs_kernelILj256ELj128ELj4E21rocsparse_complex_numIfEEEviiiPKT2_S5_S5_PS3_S5_PKi,"axG",@progbits,_ZN9rocsparseL19gtsv_LBM_rhs_kernelILj256ELj128ELj4E21rocsparse_complex_numIfEEEviiiPKT2_S5_S5_PS3_S5_PKi,comdat
	.globl	_ZN9rocsparseL19gtsv_LBM_rhs_kernelILj256ELj128ELj4E21rocsparse_complex_numIfEEEviiiPKT2_S5_S5_PS3_S5_PKi ; -- Begin function _ZN9rocsparseL19gtsv_LBM_rhs_kernelILj256ELj128ELj4E21rocsparse_complex_numIfEEEviiiPKT2_S5_S5_PS3_S5_PKi
	.p2align	8
	.type	_ZN9rocsparseL19gtsv_LBM_rhs_kernelILj256ELj128ELj4E21rocsparse_complex_numIfEEEviiiPKT2_S5_S5_PS3_S5_PKi,@function
_ZN9rocsparseL19gtsv_LBM_rhs_kernelILj256ELj128ELj4E21rocsparse_complex_numIfEEEviiiPKT2_S5_S5_PS3_S5_PKi: ; @_ZN9rocsparseL19gtsv_LBM_rhs_kernelILj256ELj128ELj4E21rocsparse_complex_numIfEEEviiiPKT2_S5_S5_PS3_S5_PKi
; %bb.0:
	s_load_dword s23, s[0:1], 0x0
	v_lshl_or_b32 v0, s2, 8, v0
	s_waitcnt lgkmcnt(0)
	s_lshr_b32 s22, s23, 7
	v_cmp_gt_i32_e32 vcc, s22, v0
	s_and_saveexec_b64 s[4:5], vcc
	s_cbranch_execz .LBB250_29
; %bb.1:
	s_load_dwordx4 s[8:11], s[0:1], 0x28
	s_load_dwordx2 s[6:7], s[0:1], 0x38
	s_cmp_lt_i32 s23, 1
	v_add_u32_e32 v56, s22, v0
	s_mul_i32 s24, s3, s23
	s_cbranch_scc1 .LBB250_21
; %bb.2:
	s_load_dwordx4 s[12:15], s[0:1], 0x10
	s_load_dwordx2 s[16:17], s[0:1], 0x20
	v_ashrrev_i32_e32 v1, 31, v0
	s_lshl_b32 s28, s24, 2
	s_add_i32 s29, s28, s23
	s_waitcnt lgkmcnt(0)
	v_lshl_add_u64 v[2:3], v[0:1], 3, s[14:15]
	global_load_dwordx2 v[4:5], v[2:3], off
	s_add_i32 s30, s29, s23
	s_mul_i32 s25, s22, 0x7f
	s_mul_i32 s26, s22, 0x7e
	s_lshl_b32 s27, s22, 1
	v_add_u32_e32 v57, s22, v56
	s_add_i32 s31, s30, s23
	v_mov_b32_e32 v3, 0
	s_mov_b64 s[18:19], 0
	v_mov_b32_e32 v1, 0
	s_branch .LBB250_5
.LBB250_3:                              ;   in Loop: Header=BB250_5 Depth=1
	s_or_b64 exec, exec, s[4:5]
	v_mov_b32_e32 v17, v6
	v_pk_mul_f32 v[14:15], v[8:9], v[16:17] op_sel:[1,0]
	s_nop 0
	v_pk_fma_f32 v[6:7], v[6:7], v[8:9], v[14:15] op_sel_hi:[1,0,1]
	s_nop 0
	v_xor_b32_e32 v8, 0x80000000, v7
	v_mov_b32_e32 v9, v6
	v_pk_mul_f32 v[8:9], v[10:11], v[8:9] op_sel_hi:[0,1]
	v_pk_fma_f32 v[4:5], v[6:7], v[4:5], v[8:9] op_sel_hi:[1,0,1]
	v_mov_b32_e32 v10, s22
	v_pk_add_f32 v[4:5], v[12:13], v[4:5] neg_lo:[0,1] neg_hi:[0,1]
.LBB250_4:                              ;   in Loop: Header=BB250_5 Depth=1
	s_or_b64 exec, exec, s[2:3]
	v_add_u32_e32 v1, v10, v1
	v_cmp_le_i32_e32 vcc, s23, v1
	s_or_b64 s[18:19], vcc, s[18:19]
	s_andn2_b64 exec, exec, s[18:19]
	s_cbranch_execz .LBB250_20
.LBB250_5:                              ; =>This Inner Loop Header: Depth=1
	v_add_u32_e32 v16, v1, v0
	v_ashrrev_i32_e32 v17, 31, v16
	v_lshl_add_u64 v[6:7], v[16:17], 3, s[16:17]
	global_load_dwordx2 v[8:9], v[6:7], off
	v_cmp_gt_u32_e64 s[0:1], s25, v1
	v_mov_b32_e32 v6, 0
	v_mov_b32_e32 v7, 0
	s_and_saveexec_b64 s[2:3], s[0:1]
	s_cbranch_execz .LBB250_7
; %bb.6:                                ;   in Loop: Header=BB250_5 Depth=1
	v_add_u32_e32 v6, v56, v1
	v_ashrrev_i32_e32 v7, 31, v6
	v_lshl_add_u64 v[6:7], v[6:7], 3, s[12:13]
	global_load_dwordx2 v[6:7], v[6:7], off
.LBB250_7:                              ;   in Loop: Header=BB250_5 Depth=1
	s_or_b64 exec, exec, s[2:3]
	v_mov_b32_e32 v10, 0
	v_mov_b32_e32 v12, 0
	;; [unrolled: 1-line block ×3, first 2 shown]
	s_and_saveexec_b64 s[2:3], s[0:1]
	s_cbranch_execz .LBB250_9
; %bb.8:                                ;   in Loop: Header=BB250_5 Depth=1
	v_add_u32_e32 v12, v56, v1
	v_ashrrev_i32_e32 v13, 31, v12
	v_lshl_add_u64 v[12:13], v[12:13], 3, s[14:15]
	global_load_dwordx2 v[12:13], v[12:13], off
.LBB250_9:                              ;   in Loop: Header=BB250_5 Depth=1
	s_or_b64 exec, exec, s[2:3]
	v_mov_b32_e32 v11, 0
	s_and_saveexec_b64 s[2:3], s[0:1]
	s_cbranch_execz .LBB250_11
; %bb.10:                               ;   in Loop: Header=BB250_5 Depth=1
	v_add_u32_e32 v10, v56, v1
	v_ashrrev_i32_e32 v11, 31, v10
	v_lshl_add_u64 v[10:11], v[10:11], 3, s[16:17]
	global_load_dwordx2 v[10:11], v[10:11], off
.LBB250_11:                             ;   in Loop: Header=BB250_5 Depth=1
	s_or_b64 exec, exec, s[2:3]
	v_cmp_gt_u32_e64 s[2:3], s26, v1
	v_mov_b32_e32 v14, 0
	v_mov_b32_e32 v15, 0
	s_and_saveexec_b64 s[4:5], s[2:3]
	s_cbranch_execz .LBB250_13
; %bb.12:                               ;   in Loop: Header=BB250_5 Depth=1
	v_add_u32_e32 v14, v57, v1
	v_ashrrev_i32_e32 v15, 31, v14
	v_lshl_add_u64 v[14:15], v[14:15], 3, s[12:13]
	global_load_dwordx2 v[14:15], v[14:15], off
.LBB250_13:                             ;   in Loop: Header=BB250_5 Depth=1
	s_or_b64 exec, exec, s[4:5]
	v_lshl_add_u64 v[18:19], v[16:17], 2, s[6:7]
	global_load_dword v17, v[18:19], off
	v_cmp_ne_u32_e32 vcc, s25, v1
	v_add_u32_e32 v2, s28, v16
	v_add_u32_e32 v22, s29, v16
	;; [unrolled: 1-line block ×4, first 2 shown]
	s_waitcnt vmcnt(1)
	v_xor_b32_e32 v16, 0x80000000, v7
	s_waitcnt vmcnt(0)
	v_cmp_ne_u32_e64 s[4:5], 1, v17
	s_and_b64 s[4:5], vcc, s[4:5]
	s_and_saveexec_b64 s[20:21], s[4:5]
	s_xor_b64 s[4:5], exec, s[20:21]
	s_cbranch_execz .LBB250_17
; %bb.14:                               ;   in Loop: Header=BB250_5 Depth=1
	v_add_u32_e32 v17, v56, v1
	v_lshl_add_u64 v[24:25], v[2:3], 3, s[8:9]
	v_add_u32_e32 v2, s28, v17
	v_lshl_add_u64 v[54:55], v[2:3], 3, s[8:9]
	global_load_dwordx2 v[26:27], v[24:25], off
	global_load_dwordx2 v[28:29], v[54:55], off
	v_mov_b32_e32 v23, v3
	v_add_u32_e32 v2, s29, v17
	v_mov_b32_e32 v21, v3
	v_lshl_add_u64 v[22:23], v[22:23], 3, s[8:9]
	v_lshl_add_u64 v[58:59], v[2:3], 3, s[8:9]
	;; [unrolled: 1-line block ×3, first 2 shown]
	global_load_dwordx2 v[32:33], v[58:59], off
	global_load_dwordx2 v[40:41], v[34:35], off
	;; [unrolled: 1-line block ×3, first 2 shown]
	v_add_u32_e32 v2, s30, v17
	v_lshl_add_u64 v[60:61], v[2:3], 3, s[8:9]
	global_load_dwordx2 v[62:63], v[60:61], off
	v_mov_b32_e32 v19, v3
	v_lshl_add_u64 v[64:65], v[18:19], 3, s[8:9]
	v_add_u32_e32 v2, s31, v17
	global_load_dwordx2 v[66:67], v[64:65], off
	v_lshl_add_u64 v[68:69], v[2:3], 3, s[8:9]
	global_load_dwordx2 v[70:71], v[68:69], off
	v_xor_b32_e32 v18, 0x80000000, v5
	v_mov_b32_e32 v19, v4
	v_mov_b32_e32 v17, v6
	v_pk_mul_f32 v[20:21], v[12:13], v[18:19] op_sel:[1,0]
	v_pk_mul_f32 v[16:17], v[8:9], v[16:17] op_sel:[1,0]
	v_pk_fma_f32 v[20:21], v[4:5], v[12:13], v[20:21] op_sel_hi:[1,0,1]
	v_pk_fma_f32 v[16:17], v[6:7], v[8:9], v[16:17] op_sel_hi:[1,0,1]
	v_xor_b32_e32 v72, 0x80000000, v13
	v_pk_add_f32 v[16:17], v[20:21], v[16:17] neg_lo:[0,1] neg_hi:[0,1]
	v_xor_b32_e32 v74, 0x80000000, v9
	v_mul_f32_e32 v2, v17, v17
	v_fmac_f32_e32 v2, v16, v16
	v_div_scale_f32 v21, s[20:21], v2, v2, 1.0
	v_rcp_f32_e32 v36, v21
	v_fma_f32 v20, 0, v17, v16
	v_fma_f32 v17, v16, 0, -v17
	v_div_scale_f32 v16, vcc, 1.0, v2, 1.0
	v_fma_f32 v37, -v21, v36, 1.0
	v_fmac_f32_e32 v36, v37, v36
	v_mul_f32_e32 v37, v16, v36
	v_fma_f32 v38, -v21, v37, v16
	v_fmac_f32_e32 v37, v38, v36
	v_fma_f32 v16, -v21, v37, v16
	v_div_fmas_f32 v16, v16, v36, v37
	v_div_fixup_f32 v2, v16, v2, 1.0
	v_mul_f32_e32 v16, v20, v2
	v_mul_f32_e32 v20, v17, v2
	v_mov_b32_e32 v73, v12
	v_mov_b32_e32 v75, v8
	;; [unrolled: 1-line block ×3, first 2 shown]
	s_waitcnt vmcnt(7)
	v_mul_f32_e32 v48, v20, v26
	s_waitcnt vmcnt(6)
	v_mul_f32_e32 v44, v20, v28
	v_mul_f32_e64 v46, v20, -v27
	v_fmac_f32_e32 v48, v27, v16
	v_mul_f32_e64 v42, v20, -v29
	v_fmac_f32_e32 v44, v29, v16
	v_fmac_f32_e32 v46, v26, v16
	;; [unrolled: 1-line block ×3, first 2 shown]
	v_pk_mul_f32 v[26:27], v[48:49], v[72:73] op_sel_hi:[0,1]
	v_pk_mul_f32 v[28:29], v[44:45], v[74:75] op_sel_hi:[0,1]
	v_pk_fma_f32 v[26:27], v[12:13], v[46:47], v[26:27] op_sel_hi:[1,0,1]
	v_pk_fma_f32 v[28:29], v[8:9], v[42:43], v[28:29] op_sel_hi:[1,0,1]
	s_waitcnt vmcnt(3)
	v_mul_f32_e32 v38, v20, v30
	v_mul_f32_e32 v52, v20, v32
	v_pk_add_f32 v[26:27], v[26:27], v[28:29] neg_lo:[0,1] neg_hi:[0,1]
	v_mul_f32_e64 v36, v20, -v31
	v_fmac_f32_e32 v38, v31, v16
	v_mul_f32_e64 v50, v20, -v33
	v_fmac_f32_e32 v52, v33, v16
	global_store_dwordx2 v[24:25], v[26:27], off
	v_fmac_f32_e32 v36, v30, v16
	v_fmac_f32_e32 v50, v32, v16
	v_pk_mul_f32 v[24:25], v[38:39], v[72:73] op_sel_hi:[0,1]
	v_pk_mul_f32 v[26:27], v[52:53], v[74:75] op_sel_hi:[0,1]
	v_pk_fma_f32 v[24:25], v[12:13], v[36:37], v[24:25] op_sel_hi:[1,0,1]
	v_pk_fma_f32 v[26:27], v[8:9], v[50:51], v[26:27] op_sel_hi:[1,0,1]
	s_waitcnt vmcnt(3)
	v_mul_f32_e32 v28, v20, v62
	v_pk_add_f32 v[24:25], v[24:25], v[26:27] neg_lo:[0,1] neg_hi:[0,1]
	global_store_dwordx2 v[22:23], v[24:25], off
	v_mul_f32_e32 v24, v20, v40
	v_mul_f32_e64 v22, v20, -v41
	v_fmac_f32_e32 v24, v41, v16
	v_mul_f32_e64 v26, v20, -v63
	v_fmac_f32_e32 v28, v63, v16
	v_fmac_f32_e32 v22, v40, v16
	;; [unrolled: 1-line block ×3, first 2 shown]
	v_pk_mul_f32 v[30:31], v[24:25], v[72:73] op_sel_hi:[0,1]
	v_pk_mul_f32 v[32:33], v[28:29], v[74:75] op_sel_hi:[0,1]
	v_pk_fma_f32 v[30:31], v[12:13], v[22:23], v[30:31] op_sel_hi:[1,0,1]
	v_pk_fma_f32 v[32:33], v[8:9], v[26:27], v[32:33] op_sel_hi:[1,0,1]
	s_waitcnt vmcnt(2)
	v_mul_f32_e32 v40, v20, v70
	v_pk_add_f32 v[30:31], v[30:31], v[32:33] neg_lo:[0,1] neg_hi:[0,1]
	v_mul_f32_e32 v32, v20, v66
	global_store_dwordx2 v[34:35], v[30:31], off
	v_mul_f32_e64 v30, v20, -v67
	v_fmac_f32_e32 v32, v67, v16
	v_fmac_f32_e32 v30, v66, v16
	v_mul_f32_e64 v34, v20, -v71
	v_fmac_f32_e32 v40, v71, v16
	v_pk_mul_f32 v[62:63], v[32:33], v[72:73] op_sel_hi:[0,1]
	v_fmac_f32_e32 v34, v70, v16
	v_pk_fma_f32 v[12:13], v[12:13], v[30:31], v[62:63] op_sel_hi:[1,0,1]
	v_pk_mul_f32 v[62:63], v[40:41], v[74:75] op_sel_hi:[0,1]
	v_pk_fma_f32 v[8:9], v[8:9], v[34:35], v[62:63] op_sel_hi:[1,0,1]
	v_pk_mul_f32 v[62:63], v[44:45], v[18:19] op_sel_hi:[0,1]
	v_pk_add_f32 v[8:9], v[12:13], v[8:9] neg_lo:[0,1] neg_hi:[0,1]
	v_pk_add_f32 v[12:13], v[6:7], 0 neg_lo:[1,1] neg_hi:[1,1]
	global_store_dwordx2 v[64:65], v[8:9], off
	v_pk_mov_b32 v[12:13], v[6:7], v[12:13] op_sel:[1,0]
	v_pk_fma_f32 v[62:63], v[4:5], v[42:43], v[62:63] op_sel_hi:[1,0,1]
	v_pk_mul_f32 v[8:9], v[12:13], v[48:49] op_sel_hi:[1,0]
	s_nop 0
	v_pk_fma_f32 v[8:9], v[6:7], v[46:47], v[8:9] op_sel_hi:[1,0,1] neg_lo:[1,0,0] neg_hi:[1,0,0]
	s_nop 0
	v_pk_add_f32 v[62:63], v[8:9], v[62:63]
	global_store_dwordx2 v[54:55], v[62:63], off
	v_pk_mul_f32 v[54:55], v[12:13], v[38:39] op_sel_hi:[1,0]
	v_pk_mul_f32 v[62:63], v[52:53], v[18:19] op_sel_hi:[0,1]
	v_pk_fma_f32 v[54:55], v[6:7], v[36:37], v[54:55] op_sel_hi:[1,0,1] neg_lo:[1,0,0] neg_hi:[1,0,0]
	v_pk_fma_f32 v[62:63], v[4:5], v[50:51], v[62:63] op_sel_hi:[1,0,1]
	v_mov_b32_e32 v8, v4
	v_pk_add_f32 v[54:55], v[54:55], v[62:63]
	global_store_dwordx2 v[58:59], v[54:55], off
	v_pk_mul_f32 v[54:55], v[12:13], v[24:25] op_sel_hi:[1,0]
	v_pk_mul_f32 v[58:59], v[28:29], v[18:19] op_sel_hi:[0,1]
	v_pk_fma_f32 v[54:55], v[6:7], v[22:23], v[54:55] op_sel_hi:[1,0,1] neg_lo:[1,0,0] neg_hi:[1,0,0]
	v_pk_fma_f32 v[58:59], v[4:5], v[26:27], v[58:59] op_sel_hi:[1,0,1]
	v_mov_b32_e32 v9, v4
	v_pk_add_f32 v[54:55], v[54:55], v[58:59]
	global_store_dwordx2 v[60:61], v[54:55], off
	v_pk_mul_f32 v[54:55], v[12:13], v[32:33] op_sel_hi:[1,0]
	v_pk_mul_f32 v[58:59], v[40:41], v[18:19] op_sel_hi:[0,1]
	v_pk_fma_f32 v[54:55], v[6:7], v[30:31], v[54:55] op_sel_hi:[1,0,1] neg_lo:[1,0,0] neg_hi:[1,0,0]
	v_pk_fma_f32 v[58:59], v[4:5], v[34:35], v[58:59] op_sel_hi:[1,0,1]
	s_nop 0
	v_pk_add_f32 v[54:55], v[54:55], v[58:59]
	global_store_dwordx2 v[68:69], v[54:55], off
	v_mov_b64_e32 v[54:55], v[2:3]
	s_and_saveexec_b64 s[20:21], s[2:3]
	s_cbranch_execz .LBB250_16
; %bb.15:                               ;   in Loop: Header=BB250_5 Depth=1
	v_mov_b32_e32 v60, v15
	v_pk_mul_f32 v[12:13], v[60:61], v[12:13] op_sel_hi:[0,1]
	v_pk_fma_f32 v[6:7], v[6:7], v[14:15], v[12:13] op_sel_hi:[1,0,1] neg_lo:[1,0,0] neg_hi:[1,0,0]
	v_pk_mul_f32 v[18:19], v[60:61], v[18:19] op_sel_hi:[0,1]
	v_pk_add_f32 v[60:61], v[6:7], 0 neg_lo:[1,1] neg_hi:[1,1]
	v_mov_b32_e32 v49, v48
	v_pk_mov_b32 v[60:61], v[6:7], v[60:61] op_sel:[1,0]
	v_mov_b32_e32 v47, v46
	v_add_u32_e32 v54, v57, v1
	v_pk_fma_f32 v[18:19], v[4:5], v[14:15], v[18:19] op_sel_hi:[1,0,1]
	v_pk_mul_f32 v[48:49], v[60:61], v[48:49]
	v_mov_b32_e32 v45, v44
	v_add_u32_e32 v2, s28, v54
	v_pk_fma_f32 v[46:47], v[6:7], v[46:47], v[48:49] neg_lo:[1,0,0] neg_hi:[1,0,0]
	v_xor_b32_e32 v48, 0x80000000, v19
	v_mov_b32_e32 v49, v18
	v_mov_b32_e32 v43, v42
	v_lshl_add_u64 v[58:59], v[2:3], 3, s[8:9]
	v_pk_mul_f32 v[44:45], v[44:45], v[48:49]
	v_mov_b32_e32 v53, v52
	v_add_u32_e32 v2, s29, v54
	v_pk_fma_f32 v[42:43], v[18:19], v[42:43], v[44:45]
	global_load_dwordx2 v[44:45], v[58:59], off
	v_mov_b32_e32 v51, v50
	v_lshl_add_u64 v[12:13], v[2:3], 3, s[8:9]
	v_pk_mul_f32 v[52:53], v[52:53], v[48:49]
	v_mov_b32_e32 v39, v38
	v_pk_fma_f32 v[50:51], v[18:19], v[50:51], v[52:53]
	global_load_dwordx2 v[52:53], v[12:13], off
	v_mov_b32_e32 v37, v36
	v_pk_mul_f32 v[38:39], v[60:61], v[38:39]
	v_pk_add_f32 v[42:43], v[46:47], v[42:43] neg_lo:[0,1] neg_hi:[0,1]
	v_add_u32_e32 v2, s30, v54
	v_pk_fma_f32 v[36:37], v[6:7], v[36:37], v[38:39] neg_lo:[1,0,0] neg_hi:[1,0,0]
	v_lshl_add_u64 v[38:39], v[2:3], 3, s[8:9]
	v_pk_add_f32 v[36:37], v[36:37], v[50:51] neg_lo:[0,1] neg_hi:[0,1]
	v_ashrrev_i32_e32 v55, 31, v54
	v_add_u32_e32 v2, s31, v54
	v_lshl_add_u64 v[46:47], v[2:3], 3, s[8:9]
	v_mov_b32_e32 v2, v11
	v_mov_b32_e32 v29, v28
	;; [unrolled: 1-line block ×9, first 2 shown]
	v_pk_mul_f32 v[24:25], v[60:61], v[24:25]
	s_waitcnt vmcnt(1)
	v_pk_add_f32 v[42:43], v[42:43], v[44:45]
	global_store_dwordx2 v[58:59], v[42:43], off
	global_load_dwordx2 v[42:43], v[38:39], off
	v_xor_b32_e32 v44, 0x80000000, v15
	v_mov_b32_e32 v45, v14
	v_pk_mul_f32 v[4:5], v[4:5], v[44:45] op_sel:[1,0]
	s_waitcnt vmcnt(2)
	v_pk_add_f32 v[36:37], v[36:37], v[52:53]
	global_store_dwordx2 v[12:13], v[36:37], off
	v_lshl_add_u64 v[36:37], v[54:55], 3, s[14:15]
	global_load_dwordx2 v[12:13], v[46:47], off
	v_pk_fma_f32 v[4:5], v[14:15], v[8:9], v[4:5]
	global_load_dwordx2 v[36:37], v[36:37], off
	v_xor_b32_e32 v8, 0x80000000, v5
	v_mov_b32_e32 v9, v4
	v_pk_mul_f32 v[8:9], v[2:3], v[8:9] op_sel_hi:[0,1]
	v_pk_mul_f32 v[14:15], v[28:29], v[48:49]
	v_pk_fma_f32 v[4:5], v[4:5], v[10:11], v[8:9] op_sel_hi:[1,0,1]
	v_pk_mul_f32 v[28:29], v[40:41], v[48:49]
	v_pk_fma_f32 v[14:15], v[18:19], v[26:27], v[14:15]
	v_pk_mul_f32 v[26:27], v[60:61], v[32:33]
	v_xor_b32_e32 v10, 0x80000000, v5
	v_mov_b32_e32 v11, v4
	v_pk_fma_f32 v[18:19], v[18:19], v[34:35], v[28:29]
	v_pk_fma_f32 v[8:9], v[6:7], v[22:23], v[24:25] neg_lo:[1,0,0] neg_hi:[1,0,0]
	v_pk_fma_f32 v[6:7], v[6:7], v[30:31], v[26:27] neg_lo:[1,0,0] neg_hi:[1,0,0]
	v_pk_mul_f32 v[10:11], v[20:21], v[10:11] op_sel_hi:[0,1]
	v_pk_add_f32 v[8:9], v[8:9], v[14:15] neg_lo:[0,1] neg_hi:[0,1]
	v_pk_add_f32 v[6:7], v[6:7], v[18:19] neg_lo:[0,1] neg_hi:[0,1]
	v_pk_fma_f32 v[4:5], v[4:5], v[16:17], v[10:11] op_sel_hi:[1,0,1]
	s_waitcnt vmcnt(3)
	v_pk_add_f32 v[8:9], v[8:9], v[42:43]
	global_store_dwordx2 v[38:39], v[8:9], off
	s_waitcnt vmcnt(2)
	v_pk_add_f32 v[6:7], v[6:7], v[12:13]
	global_store_dwordx2 v[46:47], v[6:7], off
	s_waitcnt vmcnt(2)
	v_pk_add_f32 v[54:55], v[36:37], v[4:5] neg_lo:[0,1] neg_hi:[0,1]
.LBB250_16:                             ;   in Loop: Header=BB250_5 Depth=1
	s_or_b64 exec, exec, s[20:21]
	v_mov_b64_e32 v[4:5], v[54:55]
                                        ; implicit-def: $vgpr8_vgpr9
                                        ; implicit-def: $vgpr6
                                        ; implicit-def: $vgpr12_vgpr13
                                        ; implicit-def: $vgpr22
                                        ; implicit-def: $vgpr20
                                        ; implicit-def: $vgpr18
                                        ; implicit-def: $vgpr16
.LBB250_17:                             ;   in Loop: Header=BB250_5 Depth=1
	s_or_saveexec_b64 s[2:3], s[4:5]
	v_mov_b32_e32 v10, s27
	s_xor_b64 exec, exec, s[2:3]
	s_cbranch_execz .LBB250_4
; %bb.18:                               ;   in Loop: Header=BB250_5 Depth=1
	v_lshl_add_u64 v[24:25], v[2:3], 3, s[8:9]
	v_mov_b32_e32 v23, v3
	global_load_dwordx2 v[14:15], v[24:25], off
	v_lshl_add_u64 v[26:27], v[22:23], 3, s[8:9]
	v_mov_b32_e32 v21, v3
	v_mov_b32_e32 v19, v3
	v_lshl_add_u64 v[28:29], v[20:21], 3, s[8:9]
	v_lshl_add_u64 v[30:31], v[18:19], 3, s[8:9]
	global_load_dwordx2 v[18:19], v[26:27], off
	global_load_dwordx2 v[20:21], v[28:29], off
	;; [unrolled: 1-line block ×3, first 2 shown]
	v_mul_f32_e32 v2, v5, v5
	v_fmac_f32_e32 v2, v4, v4
	v_div_scale_f32 v11, s[4:5], v2, v2, 1.0
	v_rcp_f32_e32 v17, v11
	v_fma_f32 v10, 0, v5, v4
	v_fma_f32 v5, v4, 0, -v5
	v_div_scale_f32 v4, vcc, 1.0, v2, 1.0
	v_fma_f32 v22, -v11, v17, 1.0
	v_fmac_f32_e32 v17, v22, v17
	v_mul_f32_e32 v22, v4, v17
	v_fma_f32 v23, -v11, v22, v4
	v_fmac_f32_e32 v22, v23, v17
	v_fma_f32 v4, -v11, v22, v4
	v_div_fmas_f32 v4, v4, v17, v22
	v_div_fixup_f32 v2, v4, v2, 1.0
	v_mul_f32_e32 v4, v10, v2
	v_mul_f32_e32 v10, v5, v2
	s_waitcnt vmcnt(3)
	v_pk_mul_f32 v[22:23], v[10:11], v[14:15] op_sel:[0,1] op_sel_hi:[0,0] neg_lo:[0,1]
	v_pk_fma_f32 v[14:15], v[14:15], v[4:5], v[22:23] op_sel_hi:[1,0,1]
	global_store_dwordx2 v[24:25], v[14:15], off
	s_waitcnt vmcnt(3)
	v_pk_mul_f32 v[22:23], v[10:11], v[18:19] op_sel:[0,1] op_sel_hi:[0,0] neg_lo:[0,1]
	s_waitcnt vmcnt(2)
	v_pk_mul_f32 v[34:35], v[10:11], v[20:21] op_sel:[0,1] op_sel_hi:[0,0] neg_lo:[0,1]
	;; [unrolled: 2-line block ×3, first 2 shown]
	v_pk_fma_f32 v[22:23], v[18:19], v[4:5], v[22:23] op_sel_hi:[1,0,1]
	v_pk_fma_f32 v[20:21], v[20:21], v[4:5], v[34:35] op_sel_hi:[1,0,1]
	;; [unrolled: 1-line block ×3, first 2 shown]
	global_store_dwordx2 v[26:27], v[22:23], off
	global_store_dwordx2 v[28:29], v[20:21], off
	;; [unrolled: 1-line block ×3, first 2 shown]
	s_and_saveexec_b64 s[4:5], s[0:1]
	s_cbranch_execz .LBB250_3
; %bb.19:                               ;   in Loop: Header=BB250_5 Depth=1
	v_add_u32_e32 v5, v56, v1
	v_add_u32_e32 v2, s28, v5
	v_lshl_add_u64 v[24:25], v[2:3], 3, s[8:9]
	v_add_u32_e32 v2, s29, v5
	global_load_dwordx2 v[26:27], v[24:25], off
	v_lshl_add_u64 v[28:29], v[2:3], 3, s[8:9]
	global_load_dwordx2 v[30:31], v[28:29], off
	v_xor_b32_e32 v32, 0x80000000, v6
	v_mov_b32_e32 v33, v16
	v_mov_b32_e32 v34, v7
	;; [unrolled: 1-line block ×3, first 2 shown]
	v_add_u32_e32 v2, s30, v5
	v_lshl_add_u64 v[36:37], v[2:3], 3, s[8:9]
	v_add_u32_e32 v2, s31, v5
	v_lshl_add_u64 v[38:39], v[2:3], 3, s[8:9]
	s_waitcnt vmcnt(1)
	v_pk_fma_f32 v[26:27], v[32:33], v[14:15], v[26:27] op_sel_hi:[1,0,1]
	s_nop 0
	v_pk_fma_f32 v[14:15], v[34:35], v[14:15], v[26:27] op_sel:[0,1,0]
	s_waitcnt vmcnt(0)
	v_pk_fma_f32 v[26:27], v[32:33], v[22:23], v[30:31] op_sel_hi:[1,0,1]
	global_store_dwordx2 v[24:25], v[14:15], off
	v_pk_fma_f32 v[14:15], v[34:35], v[22:23], v[26:27] op_sel:[0,1,0]
	global_store_dwordx2 v[28:29], v[14:15], off
	global_load_dwordx2 v[22:23], v[36:37], off
	s_nop 0
	global_load_dwordx2 v[14:15], v[38:39], off
	s_waitcnt vmcnt(1)
	v_pk_fma_f32 v[22:23], v[32:33], v[20:21], v[22:23] op_sel_hi:[1,0,1]
	s_nop 0
	v_pk_fma_f32 v[20:21], v[34:35], v[20:21], v[22:23] op_sel:[0,1,0]
	s_waitcnt vmcnt(0)
	v_pk_fma_f32 v[14:15], v[32:33], v[18:19], v[14:15] op_sel_hi:[1,0,1]
	global_store_dwordx2 v[36:37], v[20:21], off
	v_pk_fma_f32 v[14:15], v[34:35], v[18:19], v[14:15] op_sel:[0,1,0]
	global_store_dwordx2 v[38:39], v[14:15], off
	s_branch .LBB250_3
.LBB250_20:
	s_or_b64 exec, exec, s[18:19]
	s_branch .LBB250_22
.LBB250_21:
	v_mov_b32_e32 v1, 0
.LBB250_22:
	v_subrev_u32_e32 v1, s22, v1
	v_add_u32_e32 v2, v1, v0
	v_ashrrev_i32_e32 v3, 31, v2
	s_waitcnt lgkmcnt(0)
	v_lshl_add_u64 v[2:3], v[2:3], 2, s[6:7]
	buffer_wbl2 sc1
	s_waitcnt vmcnt(0)
	buffer_inv sc1
	global_load_dword v2, v[2:3], off
	s_waitcnt vmcnt(0)
	v_mul_lo_u32 v2, v2, s22
	v_sub_u32_e32 v1, v1, v2
	v_cmp_lt_i32_e32 vcc, -1, v1
	s_and_b64 exec, exec, vcc
	s_cbranch_execz .LBB250_29
; %bb.23:
	s_lshl_b32 s4, s24, 2
	s_add_i32 s5, s4, s23
	s_add_i32 s12, s5, s23
	;; [unrolled: 1-line block ×3, first 2 shown]
	s_lshl_b32 s14, s22, 1
	s_mov_b64 s[0:1], 0
	v_mov_b32_e32 v3, 0
	s_branch .LBB250_25
.LBB250_24:                             ;   in Loop: Header=BB250_25 Depth=1
	s_or_b64 exec, exec, s[2:3]
	v_sub_u32_e32 v1, v1, v2
	v_cmp_gt_i32_e32 vcc, 0, v1
	s_or_b64 s[0:1], vcc, s[0:1]
	s_andn2_b64 exec, exec, s[0:1]
	s_cbranch_execz .LBB250_29
.LBB250_25:                             ; =>This Inner Loop Header: Depth=1
	v_add_u32_e32 v4, v1, v0
	v_ashrrev_i32_e32 v5, 31, v4
	s_waitcnt vmcnt(0)
	v_lshl_add_u64 v[6:7], v[4:5], 2, s[6:7]
	global_load_dword v2, v[6:7], off
	v_lshl_add_u64 v[6:7], v[4:5], 3, s[10:11]
	global_load_dwordx2 v[6:7], v[6:7], off
	s_waitcnt vmcnt(1)
	v_cmp_ne_u32_e32 vcc, 1, v2
	s_and_saveexec_b64 s[2:3], vcc
	s_xor_b64 s[2:3], exec, s[2:3]
	s_cbranch_execz .LBB250_27
; %bb.26:                               ;   in Loop: Header=BB250_25 Depth=1
	v_add_u32_e32 v5, v56, v1
	v_add_u32_e32 v2, s4, v5
	v_lshl_add_u64 v[8:9], v[2:3], 3, s[8:9]
	v_add_u32_e32 v2, s5, v5
	v_lshl_add_u64 v[10:11], v[2:3], 3, s[8:9]
	;; [unrolled: 2-line block ×5, first 2 shown]
	global_load_dwordx2 v[8:9], v[8:9], off
	s_waitcnt vmcnt(1)
	v_pk_add_f32 v[20:21], v[6:7], 0 neg_lo:[1,1] neg_hi:[1,1]
	global_load_dwordx2 v[18:19], v[16:17], off
	v_xor_b32_e32 v23, 0x80000000, v7
	v_mov_b32_e32 v22, v20
	v_pk_mov_b32 v[6:7], v[6:7], v[20:21] op_sel:[1,0]
	global_load_dwordx2 v[20:21], v[10:11], off
	global_load_dwordx2 v[24:25], v[12:13], off
	;; [unrolled: 1-line block ×3, first 2 shown]
	v_add_u32_e32 v2, s5, v4
	v_lshl_add_u64 v[10:11], v[2:3], 3, s[8:9]
	v_add_u32_e32 v2, s12, v4
	v_lshl_add_u64 v[14:15], v[2:3], 3, s[8:9]
	;; [unrolled: 2-line block ×3, first 2 shown]
	v_subrev_u32_e32 v2, s22, v1
	s_waitcnt vmcnt(3)
	v_pk_fma_f32 v[12:13], v[22:23], v[8:9], v[18:19] op_sel_hi:[1,0,1]
	s_nop 0
	v_pk_fma_f32 v[12:13], v[6:7], v[8:9], v[12:13] op_sel:[0,1,0]
	global_store_dwordx2 v[16:17], v[12:13], off
	global_load_dwordx2 v[12:13], v[10:11], off
	s_waitcnt vmcnt(0)
	v_pk_fma_f32 v[12:13], v[22:23], v[20:21], v[12:13] op_sel_hi:[1,0,1]
	s_nop 0
	v_pk_fma_f32 v[12:13], v[6:7], v[20:21], v[12:13] op_sel:[0,1,0]
	global_store_dwordx2 v[10:11], v[12:13], off
	global_load_dwordx2 v[10:11], v[14:15], off
	v_add_u32_e32 v12, v2, v0
	v_ashrrev_i32_e32 v13, 31, v12
	v_add_u32_e32 v2, s4, v12
	v_lshl_add_u64 v[16:17], v[2:3], 3, s[8:9]
	v_add_u32_e32 v2, s5, v12
	s_waitcnt vmcnt(0)
	v_pk_fma_f32 v[10:11], v[22:23], v[24:25], v[10:11] op_sel_hi:[1,0,1]
	s_nop 0
	v_pk_fma_f32 v[10:11], v[6:7], v[24:25], v[10:11] op_sel:[0,1,0]
	global_store_dwordx2 v[14:15], v[10:11], off
	global_load_dwordx2 v[10:11], v[4:5], off
	v_lshl_add_u64 v[14:15], v[12:13], 3, s[10:11]
	global_load_dwordx2 v[14:15], v[14:15], off
	s_waitcnt vmcnt(1)
	v_pk_fma_f32 v[10:11], v[22:23], v[26:27], v[10:11] op_sel_hi:[1,0,1]
	s_nop 0
	v_pk_fma_f32 v[6:7], v[6:7], v[26:27], v[10:11] op_sel:[0,1,0]
	global_store_dwordx2 v[4:5], v[6:7], off
	global_load_dwordx2 v[4:5], v[16:17], off
	s_waitcnt vmcnt(2)
	v_pk_add_f32 v[10:11], v[14:15], 0 neg_lo:[1,1] neg_hi:[1,1]
	v_lshl_add_u64 v[6:7], v[2:3], 3, s[8:9]
	v_pk_mov_b32 v[10:11], v[14:15], v[10:11] op_sel:[1,0]
	v_add_u32_e32 v2, s12, v12
	s_waitcnt vmcnt(0)
	v_pk_fma_f32 v[4:5], v[14:15], v[8:9], v[4:5] op_sel_hi:[1,0,1] neg_lo:[1,0,0] neg_hi:[1,0,0]
	s_nop 0
	v_pk_fma_f32 v[4:5], v[10:11], v[8:9], v[4:5] op_sel:[0,1,0]
	global_store_dwordx2 v[16:17], v[4:5], off
	global_load_dwordx2 v[4:5], v[6:7], off
	v_lshl_add_u64 v[8:9], v[2:3], 3, s[8:9]
	v_add_u32_e32 v2, s13, v12
	s_waitcnt vmcnt(0)
	v_pk_fma_f32 v[4:5], v[14:15], v[20:21], v[4:5] op_sel_hi:[1,0,1] neg_lo:[1,0,0] neg_hi:[1,0,0]
	s_nop 0
	v_pk_fma_f32 v[4:5], v[10:11], v[20:21], v[4:5] op_sel:[0,1,0]
	global_store_dwordx2 v[6:7], v[4:5], off
	global_load_dwordx2 v[4:5], v[8:9], off
	v_lshl_add_u64 v[6:7], v[2:3], 3, s[8:9]
	s_waitcnt vmcnt(0)
	v_pk_fma_f32 v[4:5], v[14:15], v[24:25], v[4:5] op_sel_hi:[1,0,1] neg_lo:[1,0,0] neg_hi:[1,0,0]
	s_nop 0
	v_pk_fma_f32 v[4:5], v[10:11], v[24:25], v[4:5] op_sel:[0,1,0]
	global_store_dwordx2 v[8:9], v[4:5], off
	global_load_dwordx2 v[4:5], v[6:7], off
	s_waitcnt vmcnt(0)
	v_pk_fma_f32 v[4:5], v[14:15], v[26:27], v[4:5] op_sel_hi:[1,0,1] neg_lo:[1,0,0] neg_hi:[1,0,0]
	s_nop 0
	v_pk_fma_f32 v[4:5], v[10:11], v[26:27], v[4:5] op_sel:[0,1,0]
	global_store_dwordx2 v[6:7], v[4:5], off
                                        ; implicit-def: $vgpr4
                                        ; implicit-def: $vgpr6_vgpr7
.LBB250_27:                             ;   in Loop: Header=BB250_25 Depth=1
	s_or_saveexec_b64 s[2:3], s[2:3]
	v_mov_b32_e32 v2, s14
	s_xor_b64 exec, exec, s[2:3]
	s_cbranch_execz .LBB250_24
; %bb.28:                               ;   in Loop: Header=BB250_25 Depth=1
	v_add_u32_e32 v5, v56, v1
	v_add_u32_e32 v2, s4, v5
	v_lshl_add_u64 v[8:9], v[2:3], 3, s[8:9]
	v_add_u32_e32 v2, s4, v4
	v_lshl_add_u64 v[10:11], v[2:3], 3, s[8:9]
	global_load_dwordx2 v[12:13], v[8:9], off
	global_load_dwordx2 v[14:15], v[10:11], off
	s_waitcnt vmcnt(2)
	v_pk_add_f32 v[8:9], v[6:7], 0 neg_lo:[1,1] neg_hi:[1,1]
	v_xor_b32_e32 v17, 0x80000000, v7
	v_mov_b32_e32 v16, v8
	v_pk_mov_b32 v[8:9], v[6:7], v[8:9] op_sel:[1,0]
	v_add_u32_e32 v2, s5, v5
	v_lshl_add_u64 v[18:19], v[2:3], 3, s[8:9]
	v_add_u32_e32 v2, s5, v4
	v_lshl_add_u64 v[20:21], v[2:3], 3, s[8:9]
	v_add_u32_e32 v2, s12, v5
	s_waitcnt vmcnt(0)
	v_pk_fma_f32 v[14:15], v[16:17], v[12:13], v[14:15] op_sel_hi:[1,0,1]
	s_nop 0
	v_pk_fma_f32 v[12:13], v[8:9], v[12:13], v[14:15] op_sel:[0,1,0]
	global_store_dwordx2 v[10:11], v[12:13], off
	global_load_dwordx2 v[10:11], v[18:19], off
	s_nop 0
	global_load_dwordx2 v[12:13], v[20:21], off
	v_lshl_add_u64 v[14:15], v[2:3], 3, s[8:9]
	v_add_u32_e32 v2, s12, v4
	v_lshl_add_u64 v[18:19], v[2:3], 3, s[8:9]
	v_add_u32_e32 v2, s13, v5
	s_waitcnt vmcnt(0)
	v_pk_fma_f32 v[12:13], v[16:17], v[10:11], v[12:13] op_sel_hi:[1,0,1]
	s_nop 0
	v_pk_fma_f32 v[10:11], v[8:9], v[10:11], v[12:13] op_sel:[0,1,0]
	global_store_dwordx2 v[20:21], v[10:11], off
	global_load_dwordx2 v[10:11], v[14:15], off
	s_nop 0
	global_load_dwordx2 v[12:13], v[18:19], off
	v_lshl_add_u64 v[14:15], v[2:3], 3, s[8:9]
	v_add_u32_e32 v2, s13, v4
	v_lshl_add_u64 v[4:5], v[2:3], 3, s[8:9]
	v_mov_b32_e32 v2, s22
	s_waitcnt vmcnt(0)
	v_pk_fma_f32 v[12:13], v[16:17], v[10:11], v[12:13] op_sel_hi:[1,0,1]
	s_nop 0
	v_pk_fma_f32 v[10:11], v[8:9], v[10:11], v[12:13] op_sel:[0,1,0]
	global_store_dwordx2 v[18:19], v[10:11], off
	global_load_dwordx2 v[10:11], v[14:15], off
	s_nop 0
	global_load_dwordx2 v[12:13], v[4:5], off
	s_waitcnt vmcnt(0)
	v_pk_fma_f32 v[6:7], v[6:7], v[10:11], v[12:13] op_sel_hi:[1,0,1] neg_lo:[1,0,0] neg_hi:[1,0,0]
	s_nop 0
	v_pk_fma_f32 v[6:7], v[8:9], v[10:11], v[6:7] op_sel:[0,1,0]
	global_store_dwordx2 v[4:5], v[6:7], off
	s_branch .LBB250_24
.LBB250_29:
	s_endpgm
	.section	.rodata,"a",@progbits
	.p2align	6, 0x0
	.amdhsa_kernel _ZN9rocsparseL19gtsv_LBM_rhs_kernelILj256ELj128ELj4E21rocsparse_complex_numIfEEEviiiPKT2_S5_S5_PS3_S5_PKi
		.amdhsa_group_segment_fixed_size 0
		.amdhsa_private_segment_fixed_size 0
		.amdhsa_kernarg_size 64
		.amdhsa_user_sgpr_count 2
		.amdhsa_user_sgpr_dispatch_ptr 0
		.amdhsa_user_sgpr_queue_ptr 0
		.amdhsa_user_sgpr_kernarg_segment_ptr 1
		.amdhsa_user_sgpr_dispatch_id 0
		.amdhsa_user_sgpr_kernarg_preload_length 0
		.amdhsa_user_sgpr_kernarg_preload_offset 0
		.amdhsa_user_sgpr_private_segment_size 0
		.amdhsa_uses_dynamic_stack 0
		.amdhsa_enable_private_segment 0
		.amdhsa_system_sgpr_workgroup_id_x 1
		.amdhsa_system_sgpr_workgroup_id_y 1
		.amdhsa_system_sgpr_workgroup_id_z 0
		.amdhsa_system_sgpr_workgroup_info 0
		.amdhsa_system_vgpr_workitem_id 0
		.amdhsa_next_free_vgpr 76
		.amdhsa_next_free_sgpr 32
		.amdhsa_accum_offset 76
		.amdhsa_reserve_vcc 1
		.amdhsa_float_round_mode_32 0
		.amdhsa_float_round_mode_16_64 0
		.amdhsa_float_denorm_mode_32 3
		.amdhsa_float_denorm_mode_16_64 3
		.amdhsa_dx10_clamp 1
		.amdhsa_ieee_mode 1
		.amdhsa_fp16_overflow 0
		.amdhsa_tg_split 0
		.amdhsa_exception_fp_ieee_invalid_op 0
		.amdhsa_exception_fp_denorm_src 0
		.amdhsa_exception_fp_ieee_div_zero 0
		.amdhsa_exception_fp_ieee_overflow 0
		.amdhsa_exception_fp_ieee_underflow 0
		.amdhsa_exception_fp_ieee_inexact 0
		.amdhsa_exception_int_div_zero 0
	.end_amdhsa_kernel
	.section	.text._ZN9rocsparseL19gtsv_LBM_rhs_kernelILj256ELj128ELj4E21rocsparse_complex_numIfEEEviiiPKT2_S5_S5_PS3_S5_PKi,"axG",@progbits,_ZN9rocsparseL19gtsv_LBM_rhs_kernelILj256ELj128ELj4E21rocsparse_complex_numIfEEEviiiPKT2_S5_S5_PS3_S5_PKi,comdat
.Lfunc_end250:
	.size	_ZN9rocsparseL19gtsv_LBM_rhs_kernelILj256ELj128ELj4E21rocsparse_complex_numIfEEEviiiPKT2_S5_S5_PS3_S5_PKi, .Lfunc_end250-_ZN9rocsparseL19gtsv_LBM_rhs_kernelILj256ELj128ELj4E21rocsparse_complex_numIfEEEviiiPKT2_S5_S5_PS3_S5_PKi
                                        ; -- End function
	.set _ZN9rocsparseL19gtsv_LBM_rhs_kernelILj256ELj128ELj4E21rocsparse_complex_numIfEEEviiiPKT2_S5_S5_PS3_S5_PKi.num_vgpr, 76
	.set _ZN9rocsparseL19gtsv_LBM_rhs_kernelILj256ELj128ELj4E21rocsparse_complex_numIfEEEviiiPKT2_S5_S5_PS3_S5_PKi.num_agpr, 0
	.set _ZN9rocsparseL19gtsv_LBM_rhs_kernelILj256ELj128ELj4E21rocsparse_complex_numIfEEEviiiPKT2_S5_S5_PS3_S5_PKi.numbered_sgpr, 32
	.set _ZN9rocsparseL19gtsv_LBM_rhs_kernelILj256ELj128ELj4E21rocsparse_complex_numIfEEEviiiPKT2_S5_S5_PS3_S5_PKi.num_named_barrier, 0
	.set _ZN9rocsparseL19gtsv_LBM_rhs_kernelILj256ELj128ELj4E21rocsparse_complex_numIfEEEviiiPKT2_S5_S5_PS3_S5_PKi.private_seg_size, 0
	.set _ZN9rocsparseL19gtsv_LBM_rhs_kernelILj256ELj128ELj4E21rocsparse_complex_numIfEEEviiiPKT2_S5_S5_PS3_S5_PKi.uses_vcc, 1
	.set _ZN9rocsparseL19gtsv_LBM_rhs_kernelILj256ELj128ELj4E21rocsparse_complex_numIfEEEviiiPKT2_S5_S5_PS3_S5_PKi.uses_flat_scratch, 0
	.set _ZN9rocsparseL19gtsv_LBM_rhs_kernelILj256ELj128ELj4E21rocsparse_complex_numIfEEEviiiPKT2_S5_S5_PS3_S5_PKi.has_dyn_sized_stack, 0
	.set _ZN9rocsparseL19gtsv_LBM_rhs_kernelILj256ELj128ELj4E21rocsparse_complex_numIfEEEviiiPKT2_S5_S5_PS3_S5_PKi.has_recursion, 0
	.set _ZN9rocsparseL19gtsv_LBM_rhs_kernelILj256ELj128ELj4E21rocsparse_complex_numIfEEEviiiPKT2_S5_S5_PS3_S5_PKi.has_indirect_call, 0
	.section	.AMDGPU.csdata,"",@progbits
; Kernel info:
; codeLenInByte = 3796
; TotalNumSgprs: 38
; NumVgprs: 76
; NumAgprs: 0
; TotalNumVgprs: 76
; ScratchSize: 0
; MemoryBound: 0
; FloatMode: 240
; IeeeMode: 1
; LDSByteSize: 0 bytes/workgroup (compile time only)
; SGPRBlocks: 4
; VGPRBlocks: 9
; NumSGPRsForWavesPerEU: 38
; NumVGPRsForWavesPerEU: 76
; AccumOffset: 76
; Occupancy: 6
; WaveLimiterHint : 0
; COMPUTE_PGM_RSRC2:SCRATCH_EN: 0
; COMPUTE_PGM_RSRC2:USER_SGPR: 2
; COMPUTE_PGM_RSRC2:TRAP_HANDLER: 0
; COMPUTE_PGM_RSRC2:TGID_X_EN: 1
; COMPUTE_PGM_RSRC2:TGID_Y_EN: 1
; COMPUTE_PGM_RSRC2:TGID_Z_EN: 0
; COMPUTE_PGM_RSRC2:TIDIG_COMP_CNT: 0
; COMPUTE_PGM_RSRC3_GFX90A:ACCUM_OFFSET: 18
; COMPUTE_PGM_RSRC3_GFX90A:TG_SPLIT: 0
	.section	.text._ZN9rocsparseL19gtsv_LBM_rhs_kernelILj256ELj128ELj2E21rocsparse_complex_numIfEEEviiiPKT2_S5_S5_PS3_S5_PKi,"axG",@progbits,_ZN9rocsparseL19gtsv_LBM_rhs_kernelILj256ELj128ELj2E21rocsparse_complex_numIfEEEviiiPKT2_S5_S5_PS3_S5_PKi,comdat
	.globl	_ZN9rocsparseL19gtsv_LBM_rhs_kernelILj256ELj128ELj2E21rocsparse_complex_numIfEEEviiiPKT2_S5_S5_PS3_S5_PKi ; -- Begin function _ZN9rocsparseL19gtsv_LBM_rhs_kernelILj256ELj128ELj2E21rocsparse_complex_numIfEEEviiiPKT2_S5_S5_PS3_S5_PKi
	.p2align	8
	.type	_ZN9rocsparseL19gtsv_LBM_rhs_kernelILj256ELj128ELj2E21rocsparse_complex_numIfEEEviiiPKT2_S5_S5_PS3_S5_PKi,@function
_ZN9rocsparseL19gtsv_LBM_rhs_kernelILj256ELj128ELj2E21rocsparse_complex_numIfEEEviiiPKT2_S5_S5_PS3_S5_PKi: ; @_ZN9rocsparseL19gtsv_LBM_rhs_kernelILj256ELj128ELj2E21rocsparse_complex_numIfEEEviiiPKT2_S5_S5_PS3_S5_PKi
; %bb.0:
	s_load_dword s23, s[0:1], 0x0
	v_lshl_or_b32 v0, s2, 8, v0
	s_waitcnt lgkmcnt(0)
	s_lshr_b32 s22, s23, 7
	v_cmp_gt_i32_e32 vcc, s22, v0
	s_and_saveexec_b64 s[4:5], vcc
	s_cbranch_execz .LBB251_29
; %bb.1:
	s_load_dwordx4 s[8:11], s[0:1], 0x28
	s_load_dwordx2 s[6:7], s[0:1], 0x38
	s_cmp_lt_i32 s23, 1
	v_add_u32_e32 v25, s22, v0
	s_mul_i32 s24, s3, s23
	s_cbranch_scc1 .LBB251_21
; %bb.2:
	s_load_dwordx4 s[12:15], s[0:1], 0x10
	s_load_dwordx2 s[16:17], s[0:1], 0x20
	v_ashrrev_i32_e32 v1, 31, v0
	s_lshl_b32 s28, s24, 1
	s_mul_i32 s25, s22, 0x7f
	s_waitcnt lgkmcnt(0)
	v_lshl_add_u64 v[2:3], v[0:1], 3, s[14:15]
	global_load_dwordx2 v[6:7], v[2:3], off
	s_mul_i32 s26, s22, 0x7e
	s_lshl_b32 s27, s22, 1
	v_add_u32_e32 v42, s22, v25
	s_add_i32 s29, s28, s23
	v_mov_b32_e32 v3, 0
	s_mov_b64 s[18:19], 0
	v_mov_b32_e32 v1, 0
	s_branch .LBB251_5
.LBB251_3:                              ;   in Loop: Header=BB251_5 Depth=1
	s_or_b64 exec, exec, s[4:5]
	v_mov_b32_e32 v21, v4
	v_pk_mul_f32 v[14:15], v[8:9], v[20:21] op_sel:[1,0]
	s_nop 0
	v_pk_fma_f32 v[4:5], v[4:5], v[8:9], v[14:15] op_sel_hi:[1,0,1]
	s_nop 0
	v_xor_b32_e32 v8, 0x80000000, v5
	v_mov_b32_e32 v9, v4
	v_pk_mul_f32 v[8:9], v[12:13], v[8:9] op_sel_hi:[0,1]
	v_pk_fma_f32 v[4:5], v[4:5], v[6:7], v[8:9] op_sel_hi:[1,0,1]
	v_mov_b32_e32 v12, s22
	v_pk_add_f32 v[6:7], v[10:11], v[4:5] neg_lo:[0,1] neg_hi:[0,1]
.LBB251_4:                              ;   in Loop: Header=BB251_5 Depth=1
	s_or_b64 exec, exec, s[2:3]
	v_add_u32_e32 v1, v12, v1
	v_cmp_le_i32_e32 vcc, s23, v1
	s_or_b64 s[18:19], vcc, s[18:19]
	s_andn2_b64 exec, exec, s[18:19]
	s_cbranch_execz .LBB251_20
.LBB251_5:                              ; =>This Inner Loop Header: Depth=1
	v_add_u32_e32 v16, v1, v0
	v_ashrrev_i32_e32 v17, 31, v16
	v_lshl_add_u64 v[4:5], v[16:17], 3, s[16:17]
	global_load_dwordx2 v[8:9], v[4:5], off
	v_cmp_gt_u32_e64 s[0:1], s25, v1
	v_mov_b32_e32 v4, 0
	v_mov_b32_e32 v5, 0
	s_and_saveexec_b64 s[2:3], s[0:1]
	s_cbranch_execz .LBB251_7
; %bb.6:                                ;   in Loop: Header=BB251_5 Depth=1
	v_add_u32_e32 v4, v25, v1
	v_ashrrev_i32_e32 v5, 31, v4
	v_lshl_add_u64 v[4:5], v[4:5], 3, s[12:13]
	global_load_dwordx2 v[4:5], v[4:5], off
.LBB251_7:                              ;   in Loop: Header=BB251_5 Depth=1
	s_or_b64 exec, exec, s[2:3]
	v_mov_b32_e32 v12, 0
	v_mov_b32_e32 v10, 0
	;; [unrolled: 1-line block ×3, first 2 shown]
	s_and_saveexec_b64 s[2:3], s[0:1]
	s_cbranch_execz .LBB251_9
; %bb.8:                                ;   in Loop: Header=BB251_5 Depth=1
	v_add_u32_e32 v10, v25, v1
	v_ashrrev_i32_e32 v11, 31, v10
	v_lshl_add_u64 v[10:11], v[10:11], 3, s[14:15]
	global_load_dwordx2 v[10:11], v[10:11], off
.LBB251_9:                              ;   in Loop: Header=BB251_5 Depth=1
	s_or_b64 exec, exec, s[2:3]
	v_mov_b32_e32 v13, 0
	s_and_saveexec_b64 s[2:3], s[0:1]
	s_cbranch_execz .LBB251_11
; %bb.10:                               ;   in Loop: Header=BB251_5 Depth=1
	v_add_u32_e32 v12, v25, v1
	v_ashrrev_i32_e32 v13, 31, v12
	v_lshl_add_u64 v[12:13], v[12:13], 3, s[16:17]
	global_load_dwordx2 v[12:13], v[12:13], off
.LBB251_11:                             ;   in Loop: Header=BB251_5 Depth=1
	s_or_b64 exec, exec, s[2:3]
	v_cmp_gt_u32_e64 s[2:3], s26, v1
	v_mov_b32_e32 v14, 0
	v_mov_b32_e32 v15, 0
	s_and_saveexec_b64 s[4:5], s[2:3]
	s_cbranch_execz .LBB251_13
; %bb.12:                               ;   in Loop: Header=BB251_5 Depth=1
	v_add_u32_e32 v14, v42, v1
	v_ashrrev_i32_e32 v15, 31, v14
	v_lshl_add_u64 v[14:15], v[14:15], 3, s[12:13]
	global_load_dwordx2 v[14:15], v[14:15], off
.LBB251_13:                             ;   in Loop: Header=BB251_5 Depth=1
	s_or_b64 exec, exec, s[4:5]
	v_lshl_add_u64 v[18:19], v[16:17], 2, s[6:7]
	global_load_dword v17, v[18:19], off
	v_cmp_ne_u32_e32 vcc, s25, v1
	v_add_u32_e32 v2, s28, v16
	v_add_u32_e32 v16, s29, v16
	s_waitcnt vmcnt(1)
	v_xor_b32_e32 v20, 0x80000000, v5
	s_waitcnt vmcnt(0)
	v_cmp_ne_u32_e64 s[4:5], 1, v17
	s_and_b64 s[4:5], vcc, s[4:5]
	s_and_saveexec_b64 s[20:21], s[4:5]
	s_xor_b64 s[4:5], exec, s[20:21]
	s_cbranch_execz .LBB251_17
; %bb.14:                               ;   in Loop: Header=BB251_5 Depth=1
	v_mov_b32_e32 v17, v3
	v_lshl_add_u64 v[46:47], v[16:17], 3, s[8:9]
	v_add_u32_e32 v16, v25, v1
	v_lshl_add_u64 v[44:45], v[2:3], 3, s[8:9]
	v_add_u32_e32 v2, s28, v16
	global_load_dwordx2 v[28:29], v[44:45], off
	global_load_dwordx2 v[34:35], v[46:47], off
	v_lshl_add_u64 v[48:49], v[2:3], 3, s[8:9]
	v_add_u32_e32 v2, s29, v16
	v_lshl_add_u64 v[50:51], v[2:3], 3, s[8:9]
	global_load_dwordx2 v[36:37], v[48:49], off
	global_load_dwordx2 v[52:53], v[50:51], off
	v_xor_b32_e32 v16, 0x80000000, v7
	v_mov_b32_e32 v17, v6
	v_mov_b32_e32 v21, v4
	v_pk_mul_f32 v[26:27], v[10:11], v[16:17] op_sel:[1,0]
	v_pk_mul_f32 v[20:21], v[8:9], v[20:21] op_sel:[1,0]
	v_pk_fma_f32 v[26:27], v[6:7], v[10:11], v[26:27] op_sel_hi:[1,0,1]
	v_pk_fma_f32 v[20:21], v[4:5], v[8:9], v[20:21] op_sel_hi:[1,0,1]
	v_xor_b32_e32 v54, 0x80000000, v11
	v_pk_add_f32 v[20:21], v[26:27], v[20:21] neg_lo:[0,1] neg_hi:[0,1]
	v_xor_b32_e32 v56, 0x80000000, v9
	v_mul_f32_e32 v24, v21, v21
	v_fmac_f32_e32 v24, v20, v20
	v_div_scale_f32 v27, s[20:21], v24, v24, 1.0
	v_rcp_f32_e32 v30, v27
	v_fma_f32 v26, 0, v21, v20
	v_fma_f32 v21, v20, 0, -v21
	v_div_scale_f32 v20, vcc, 1.0, v24, 1.0
	v_fma_f32 v31, -v27, v30, 1.0
	v_fmac_f32_e32 v30, v31, v30
	v_mul_f32_e32 v31, v20, v30
	v_fma_f32 v32, -v27, v31, v20
	v_fmac_f32_e32 v31, v32, v30
	v_fma_f32 v20, -v27, v31, v20
	v_div_fmas_f32 v20, v20, v30, v31
	v_div_fixup_f32 v24, v20, v24, 1.0
	v_mul_f32_e32 v20, v26, v24
	v_mul_f32_e32 v24, v21, v24
	v_pk_add_f32 v[22:23], v[4:5], 0 neg_lo:[1,1] neg_hi:[1,1]
	v_mov_b32_e32 v55, v10
	v_mov_b32_e32 v57, v8
	v_pk_mov_b32 v[22:23], v[4:5], v[22:23] op_sel:[1,0]
	v_mov_b32_e32 v2, v3
	v_mov_b32_e32 v18, v6
	;; [unrolled: 1-line block ×3, first 2 shown]
	s_waitcnt vmcnt(3)
	v_mul_f32_e64 v26, v24, -v29
	v_mul_f32_e32 v30, v24, v28
	v_fmac_f32_e32 v26, v28, v20
	s_waitcnt vmcnt(2)
	v_mul_f32_e64 v28, v24, -v35
	v_mul_f32_e32 v32, v24, v34
	v_fmac_f32_e32 v28, v34, v20
	s_waitcnt vmcnt(1)
	v_mul_f32_e64 v34, v24, -v37
	v_mul_f32_e32 v38, v24, v36
	s_waitcnt vmcnt(0)
	v_mul_f32_e32 v40, v24, v52
	v_fmac_f32_e32 v30, v29, v20
	v_fmac_f32_e32 v32, v35, v20
	;; [unrolled: 1-line block ×4, first 2 shown]
	v_mul_f32_e64 v36, v24, -v53
	v_fmac_f32_e32 v40, v53, v20
	v_pk_mul_f32 v[58:59], v[30:31], v[54:55] op_sel_hi:[0,1]
	v_pk_mul_f32 v[54:55], v[32:33], v[54:55] op_sel_hi:[0,1]
	v_fmac_f32_e32 v36, v52, v20
	v_pk_mul_f32 v[52:53], v[38:39], v[56:57] op_sel_hi:[0,1]
	v_pk_mul_f32 v[56:57], v[40:41], v[56:57] op_sel_hi:[0,1]
	;; [unrolled: 1-line block ×3, first 2 shown]
	v_pk_fma_f32 v[58:59], v[10:11], v[26:27], v[58:59] op_sel_hi:[1,0,1]
	v_pk_mul_f32 v[62:63], v[22:23], v[32:33] op_sel_hi:[1,0]
	v_pk_fma_f32 v[10:11], v[10:11], v[28:29], v[54:55] op_sel_hi:[1,0,1]
	v_pk_mul_f32 v[54:55], v[38:39], v[16:17] op_sel_hi:[0,1]
	;; [unrolled: 2-line block ×3, first 2 shown]
	v_pk_fma_f32 v[8:9], v[8:9], v[36:37], v[56:57] op_sel_hi:[1,0,1]
	v_pk_fma_f32 v[60:61], v[4:5], v[26:27], v[60:61] op_sel_hi:[1,0,1] neg_lo:[1,0,0] neg_hi:[1,0,0]
	v_pk_fma_f32 v[62:63], v[4:5], v[28:29], v[62:63] op_sel_hi:[1,0,1] neg_lo:[1,0,0] neg_hi:[1,0,0]
	v_pk_fma_f32 v[54:55], v[6:7], v[34:35], v[54:55] op_sel_hi:[1,0,1]
	v_pk_add_f32 v[52:53], v[58:59], v[52:53] neg_lo:[0,1] neg_hi:[0,1]
	v_pk_fma_f32 v[56:57], v[6:7], v[36:37], v[64:65] op_sel_hi:[1,0,1]
	v_pk_add_f32 v[8:9], v[10:11], v[8:9] neg_lo:[0,1] neg_hi:[0,1]
	v_pk_add_f32 v[54:55], v[60:61], v[54:55]
	global_store_dwordx2 v[44:45], v[52:53], off
	v_pk_add_f32 v[10:11], v[62:63], v[56:57]
	global_store_dwordx2 v[46:47], v[8:9], off
	global_store_dwordx2 v[48:49], v[54:55], off
	;; [unrolled: 1-line block ×3, first 2 shown]
	v_mov_b64_e32 v[8:9], v[2:3]
	s_and_saveexec_b64 s[20:21], s[2:3]
	s_cbranch_execz .LBB251_16
; %bb.15:                               ;   in Loop: Header=BB251_5 Depth=1
	v_add_u32_e32 v8, v42, v1
	v_add_u32_e32 v2, s28, v8
	v_ashrrev_i32_e32 v9, 31, v8
	v_lshl_add_u64 v[10:11], v[2:3], 3, s[8:9]
	v_add_u32_e32 v2, s29, v8
	v_lshl_add_u64 v[8:9], v[8:9], 3, s[14:15]
	v_lshl_add_u64 v[44:45], v[2:3], 3, s[8:9]
	global_load_dwordx2 v[46:47], v[10:11], off
	global_load_dwordx2 v[48:49], v[44:45], off
	v_mov_b32_e32 v2, v15
	global_load_dwordx2 v[8:9], v[8:9], off
	v_xor_b32_e32 v50, 0x80000000, v15
	v_mov_b32_e32 v51, v14
	v_pk_mul_f32 v[22:23], v[2:3], v[22:23] op_sel_hi:[0,1]
	v_pk_mul_f32 v[16:17], v[2:3], v[16:17] op_sel_hi:[0,1]
	v_pk_mul_f32 v[50:51], v[6:7], v[50:51] op_sel:[1,0]
	v_pk_fma_f32 v[4:5], v[4:5], v[14:15], v[22:23] op_sel_hi:[1,0,1] neg_lo:[1,0,0] neg_hi:[1,0,0]
	v_pk_fma_f32 v[6:7], v[6:7], v[14:15], v[16:17] op_sel_hi:[1,0,1]
	v_pk_fma_f32 v[14:15], v[14:15], v[18:19], v[50:51]
	v_mov_b32_e32 v52, v13
	v_pk_add_f32 v[16:17], v[4:5], 0 neg_lo:[1,1] neg_hi:[1,1]
	v_xor_b32_e32 v22, 0x80000000, v15
	v_mov_b32_e32 v23, v14
	v_mov_b32_e32 v31, v30
	v_mov_b32_e32 v39, v38
	v_mov_b32_e32 v33, v32
	v_mov_b32_e32 v41, v40
	v_xor_b32_e32 v18, 0x80000000, v7
	v_mov_b32_e32 v19, v6
	v_pk_mov_b32 v[16:17], v[4:5], v[16:17] op_sel:[1,0]
	v_pk_mul_f32 v[22:23], v[52:53], v[22:23] op_sel_hi:[0,1]
	v_mov_b32_e32 v27, v26
	v_mov_b32_e32 v35, v34
	;; [unrolled: 1-line block ×4, first 2 shown]
	v_pk_mul_f32 v[38:39], v[38:39], v[18:19]
	v_pk_mul_f32 v[18:19], v[40:41], v[18:19]
	;; [unrolled: 1-line block ×4, first 2 shown]
	v_pk_fma_f32 v[12:13], v[14:15], v[12:13], v[22:23] op_sel_hi:[1,0,1]
	v_pk_fma_f32 v[34:35], v[6:7], v[34:35], v[38:39]
	v_pk_fma_f32 v[6:7], v[6:7], v[36:37], v[18:19]
	v_pk_fma_f32 v[14:15], v[4:5], v[26:27], v[30:31] neg_lo:[1,0,0] neg_hi:[1,0,0]
	v_pk_fma_f32 v[4:5], v[4:5], v[28:29], v[16:17] neg_lo:[1,0,0] neg_hi:[1,0,0]
	v_xor_b32_e32 v16, 0x80000000, v13
	v_mov_b32_e32 v17, v12
	v_pk_add_f32 v[4:5], v[4:5], v[6:7] neg_lo:[0,1] neg_hi:[0,1]
	v_pk_mul_f32 v[6:7], v[24:25], v[16:17] op_sel_hi:[0,1]
	v_pk_add_f32 v[14:15], v[14:15], v[34:35] neg_lo:[0,1] neg_hi:[0,1]
	v_pk_fma_f32 v[6:7], v[12:13], v[20:21], v[6:7] op_sel_hi:[1,0,1]
	s_waitcnt vmcnt(2)
	v_pk_add_f32 v[12:13], v[14:15], v[46:47]
	s_waitcnt vmcnt(1)
	v_pk_add_f32 v[4:5], v[4:5], v[48:49]
	global_store_dwordx2 v[10:11], v[12:13], off
	s_waitcnt vmcnt(1)
	v_pk_add_f32 v[8:9], v[8:9], v[6:7] neg_lo:[0,1] neg_hi:[0,1]
	global_store_dwordx2 v[44:45], v[4:5], off
.LBB251_16:                             ;   in Loop: Header=BB251_5 Depth=1
	s_or_b64 exec, exec, s[20:21]
	v_mov_b64_e32 v[6:7], v[8:9]
                                        ; implicit-def: $vgpr8_vgpr9
                                        ; implicit-def: $vgpr4
                                        ; implicit-def: $vgpr10_vgpr11
                                        ; implicit-def: $vgpr16
                                        ; implicit-def: $vgpr20
.LBB251_17:                             ;   in Loop: Header=BB251_5 Depth=1
	s_or_saveexec_b64 s[2:3], s[4:5]
	v_mov_b32_e32 v12, s27
	s_xor_b64 exec, exec, s[2:3]
	s_cbranch_execz .LBB251_4
; %bb.18:                               ;   in Loop: Header=BB251_5 Depth=1
	v_lshl_add_u64 v[18:19], v[2:3], 3, s[8:9]
	v_mov_b32_e32 v17, v3
	global_load_dwordx2 v[14:15], v[18:19], off
	v_lshl_add_u64 v[22:23], v[16:17], 3, s[8:9]
	global_load_dwordx2 v[16:17], v[22:23], off
	v_mul_f32_e32 v2, v7, v7
	v_fmac_f32_e32 v2, v6, v6
	v_div_scale_f32 v13, s[4:5], v2, v2, 1.0
	v_rcp_f32_e32 v21, v13
	v_fma_f32 v12, 0, v7, v6
	v_fma_f32 v7, v6, 0, -v7
	v_div_scale_f32 v6, vcc, 1.0, v2, 1.0
	v_fma_f32 v24, -v13, v21, 1.0
	v_fmac_f32_e32 v21, v24, v21
	v_mul_f32_e32 v24, v6, v21
	v_fma_f32 v26, -v13, v24, v6
	v_fmac_f32_e32 v24, v26, v21
	v_fma_f32 v6, -v13, v24, v6
	v_div_fmas_f32 v6, v6, v21, v24
	v_div_fixup_f32 v2, v6, v2, 1.0
	v_mul_f32_e32 v6, v12, v2
	v_mul_f32_e32 v12, v7, v2
	s_waitcnt vmcnt(1)
	v_pk_mul_f32 v[26:27], v[12:13], v[14:15] op_sel:[0,1] op_sel_hi:[0,0] neg_lo:[0,1]
	v_pk_fma_f32 v[14:15], v[14:15], v[6:7], v[26:27] op_sel_hi:[1,0,1]
	s_waitcnt vmcnt(0)
	v_pk_mul_f32 v[26:27], v[12:13], v[16:17] op_sel:[0,1] op_sel_hi:[0,0] neg_lo:[0,1]
	v_pk_fma_f32 v[16:17], v[16:17], v[6:7], v[26:27] op_sel_hi:[1,0,1]
	global_store_dwordx2 v[18:19], v[14:15], off
	global_store_dwordx2 v[22:23], v[16:17], off
	s_and_saveexec_b64 s[4:5], s[0:1]
	s_cbranch_execz .LBB251_3
; %bb.19:                               ;   in Loop: Header=BB251_5 Depth=1
	v_add_u32_e32 v7, v25, v1
	v_add_u32_e32 v2, s28, v7
	v_lshl_add_u64 v[18:19], v[2:3], 3, s[8:9]
	v_add_u32_e32 v2, s29, v7
	global_load_dwordx2 v[22:23], v[18:19], off
	v_lshl_add_u64 v[26:27], v[2:3], 3, s[8:9]
	global_load_dwordx2 v[28:29], v[26:27], off
	v_xor_b32_e32 v30, 0x80000000, v4
	v_mov_b32_e32 v31, v20
	v_mov_b32_e32 v32, v5
	;; [unrolled: 1-line block ×3, first 2 shown]
	s_waitcnt vmcnt(1)
	v_pk_fma_f32 v[22:23], v[30:31], v[14:15], v[22:23] op_sel_hi:[1,0,1]
	s_nop 0
	v_pk_fma_f32 v[14:15], v[32:33], v[14:15], v[22:23] op_sel:[0,1,0]
	s_waitcnt vmcnt(0)
	v_pk_fma_f32 v[22:23], v[30:31], v[16:17], v[28:29] op_sel_hi:[1,0,1]
	global_store_dwordx2 v[18:19], v[14:15], off
	v_pk_fma_f32 v[14:15], v[32:33], v[16:17], v[22:23] op_sel:[0,1,0]
	global_store_dwordx2 v[26:27], v[14:15], off
	s_branch .LBB251_3
.LBB251_20:
	s_or_b64 exec, exec, s[18:19]
	s_branch .LBB251_22
.LBB251_21:
	v_mov_b32_e32 v1, 0
.LBB251_22:
	v_subrev_u32_e32 v1, s22, v1
	v_add_u32_e32 v2, v1, v0
	v_ashrrev_i32_e32 v3, 31, v2
	s_waitcnt lgkmcnt(0)
	v_lshl_add_u64 v[2:3], v[2:3], 2, s[6:7]
	buffer_wbl2 sc1
	s_waitcnt vmcnt(0)
	buffer_inv sc1
	global_load_dword v2, v[2:3], off
	s_waitcnt vmcnt(0)
	v_mul_lo_u32 v2, v2, s22
	v_sub_u32_e32 v1, v1, v2
	v_cmp_lt_i32_e32 vcc, -1, v1
	s_and_b64 exec, exec, vcc
	s_cbranch_execz .LBB251_29
; %bb.23:
	s_lshl_b32 s4, s24, 1
	s_add_i32 s5, s4, s23
	s_lshl_b32 s12, s22, 1
	s_mov_b64 s[0:1], 0
	v_mov_b32_e32 v3, 0
	s_branch .LBB251_25
.LBB251_24:                             ;   in Loop: Header=BB251_25 Depth=1
	s_or_b64 exec, exec, s[2:3]
	v_sub_u32_e32 v1, v1, v2
	v_cmp_gt_i32_e32 vcc, 0, v1
	s_or_b64 s[0:1], vcc, s[0:1]
	s_andn2_b64 exec, exec, s[0:1]
	s_cbranch_execz .LBB251_29
.LBB251_25:                             ; =>This Inner Loop Header: Depth=1
	v_add_u32_e32 v4, v1, v0
	v_ashrrev_i32_e32 v5, 31, v4
	s_waitcnt vmcnt(0)
	v_lshl_add_u64 v[6:7], v[4:5], 2, s[6:7]
	global_load_dword v2, v[6:7], off
	v_lshl_add_u64 v[6:7], v[4:5], 3, s[10:11]
	global_load_dwordx2 v[6:7], v[6:7], off
	s_waitcnt vmcnt(1)
	v_cmp_ne_u32_e32 vcc, 1, v2
	s_and_saveexec_b64 s[2:3], vcc
	s_xor_b64 s[2:3], exec, s[2:3]
	s_cbranch_execz .LBB251_27
; %bb.26:                               ;   in Loop: Header=BB251_25 Depth=1
	v_add_u32_e32 v5, v25, v1
	v_add_u32_e32 v2, s4, v5
	v_lshl_add_u64 v[8:9], v[2:3], 3, s[8:9]
	v_add_u32_e32 v2, s5, v5
	v_lshl_add_u64 v[10:11], v[2:3], 3, s[8:9]
	v_add_u32_e32 v2, s4, v4
	v_lshl_add_u64 v[12:13], v[2:3], 3, s[8:9]
	global_load_dwordx2 v[14:15], v[8:9], off
	global_load_dwordx2 v[16:17], v[12:13], off
	;; [unrolled: 1-line block ×3, first 2 shown]
	s_waitcnt vmcnt(3)
	v_pk_add_f32 v[8:9], v[6:7], 0 neg_lo:[1,1] neg_hi:[1,1]
	v_xor_b32_e32 v11, 0x80000000, v7
	v_mov_b32_e32 v10, v8
	v_pk_mov_b32 v[6:7], v[6:7], v[8:9] op_sel:[1,0]
	v_add_u32_e32 v2, s5, v4
	v_lshl_add_u64 v[4:5], v[2:3], 3, s[8:9]
	v_subrev_u32_e32 v2, s22, v1
	s_waitcnt vmcnt(1)
	v_pk_fma_f32 v[8:9], v[10:11], v[14:15], v[16:17] op_sel_hi:[1,0,1]
	s_nop 0
	v_pk_fma_f32 v[8:9], v[6:7], v[14:15], v[8:9] op_sel:[0,1,0]
	global_store_dwordx2 v[12:13], v[8:9], off
	global_load_dwordx2 v[8:9], v[4:5], off
	v_add_u32_e32 v12, v2, v0
	v_ashrrev_i32_e32 v13, 31, v12
	v_lshl_add_u64 v[16:17], v[12:13], 3, s[10:11]
	v_add_u32_e32 v2, s4, v12
	global_load_dwordx2 v[16:17], v[16:17], off
	v_lshl_add_u64 v[20:21], v[2:3], 3, s[8:9]
	v_add_u32_e32 v2, s5, v12
	s_waitcnt vmcnt(1)
	v_pk_fma_f32 v[8:9], v[10:11], v[18:19], v[8:9] op_sel_hi:[1,0,1]
	s_nop 0
	v_pk_fma_f32 v[6:7], v[6:7], v[18:19], v[8:9] op_sel:[0,1,0]
	global_store_dwordx2 v[4:5], v[6:7], off
	global_load_dwordx2 v[4:5], v[20:21], off
	v_lshl_add_u64 v[6:7], v[2:3], 3, s[8:9]
	s_waitcnt vmcnt(2)
	v_pk_add_f32 v[8:9], v[16:17], 0 neg_lo:[1,1] neg_hi:[1,1]
	s_waitcnt vmcnt(0)
	v_pk_fma_f32 v[4:5], v[16:17], v[14:15], v[4:5] op_sel_hi:[1,0,1] neg_lo:[1,0,0] neg_hi:[1,0,0]
	v_pk_mov_b32 v[8:9], v[16:17], v[8:9] op_sel:[1,0]
	s_nop 0
	v_pk_fma_f32 v[4:5], v[8:9], v[14:15], v[4:5] op_sel:[0,1,0]
	global_store_dwordx2 v[20:21], v[4:5], off
	global_load_dwordx2 v[4:5], v[6:7], off
	s_waitcnt vmcnt(0)
	v_pk_fma_f32 v[4:5], v[16:17], v[18:19], v[4:5] op_sel_hi:[1,0,1] neg_lo:[1,0,0] neg_hi:[1,0,0]
	s_nop 0
	v_pk_fma_f32 v[4:5], v[8:9], v[18:19], v[4:5] op_sel:[0,1,0]
	global_store_dwordx2 v[6:7], v[4:5], off
                                        ; implicit-def: $vgpr4
                                        ; implicit-def: $vgpr6_vgpr7
.LBB251_27:                             ;   in Loop: Header=BB251_25 Depth=1
	s_or_saveexec_b64 s[2:3], s[2:3]
	v_mov_b32_e32 v2, s12
	s_xor_b64 exec, exec, s[2:3]
	s_cbranch_execz .LBB251_24
; %bb.28:                               ;   in Loop: Header=BB251_25 Depth=1
	v_add_u32_e32 v5, v25, v1
	v_add_u32_e32 v2, s4, v5
	v_lshl_add_u64 v[8:9], v[2:3], 3, s[8:9]
	v_add_u32_e32 v2, s4, v4
	v_lshl_add_u64 v[10:11], v[2:3], 3, s[8:9]
	global_load_dwordx2 v[12:13], v[8:9], off
	global_load_dwordx2 v[14:15], v[10:11], off
	s_waitcnt vmcnt(2)
	v_pk_add_f32 v[8:9], v[6:7], 0 neg_lo:[1,1] neg_hi:[1,1]
	v_xor_b32_e32 v17, 0x80000000, v7
	v_mov_b32_e32 v16, v8
	v_pk_mov_b32 v[8:9], v[6:7], v[8:9] op_sel:[1,0]
	v_add_u32_e32 v2, s5, v5
	v_lshl_add_u64 v[18:19], v[2:3], 3, s[8:9]
	v_add_u32_e32 v2, s5, v4
	v_lshl_add_u64 v[4:5], v[2:3], 3, s[8:9]
	v_mov_b32_e32 v2, s22
	s_waitcnt vmcnt(0)
	v_pk_fma_f32 v[14:15], v[16:17], v[12:13], v[14:15] op_sel_hi:[1,0,1]
	s_nop 0
	v_pk_fma_f32 v[12:13], v[8:9], v[12:13], v[14:15] op_sel:[0,1,0]
	global_store_dwordx2 v[10:11], v[12:13], off
	global_load_dwordx2 v[10:11], v[18:19], off
	s_nop 0
	global_load_dwordx2 v[12:13], v[4:5], off
	s_waitcnt vmcnt(0)
	v_pk_fma_f32 v[6:7], v[6:7], v[10:11], v[12:13] op_sel_hi:[1,0,1] neg_lo:[1,0,0] neg_hi:[1,0,0]
	s_nop 0
	v_pk_fma_f32 v[6:7], v[8:9], v[10:11], v[6:7] op_sel:[0,1,0]
	global_store_dwordx2 v[4:5], v[6:7], off
	s_branch .LBB251_24
.LBB251_29:
	s_endpgm
	.section	.rodata,"a",@progbits
	.p2align	6, 0x0
	.amdhsa_kernel _ZN9rocsparseL19gtsv_LBM_rhs_kernelILj256ELj128ELj2E21rocsparse_complex_numIfEEEviiiPKT2_S5_S5_PS3_S5_PKi
		.amdhsa_group_segment_fixed_size 0
		.amdhsa_private_segment_fixed_size 0
		.amdhsa_kernarg_size 64
		.amdhsa_user_sgpr_count 2
		.amdhsa_user_sgpr_dispatch_ptr 0
		.amdhsa_user_sgpr_queue_ptr 0
		.amdhsa_user_sgpr_kernarg_segment_ptr 1
		.amdhsa_user_sgpr_dispatch_id 0
		.amdhsa_user_sgpr_kernarg_preload_length 0
		.amdhsa_user_sgpr_kernarg_preload_offset 0
		.amdhsa_user_sgpr_private_segment_size 0
		.amdhsa_uses_dynamic_stack 0
		.amdhsa_enable_private_segment 0
		.amdhsa_system_sgpr_workgroup_id_x 1
		.amdhsa_system_sgpr_workgroup_id_y 1
		.amdhsa_system_sgpr_workgroup_id_z 0
		.amdhsa_system_sgpr_workgroup_info 0
		.amdhsa_system_vgpr_workitem_id 0
		.amdhsa_next_free_vgpr 66
		.amdhsa_next_free_sgpr 30
		.amdhsa_accum_offset 68
		.amdhsa_reserve_vcc 1
		.amdhsa_float_round_mode_32 0
		.amdhsa_float_round_mode_16_64 0
		.amdhsa_float_denorm_mode_32 3
		.amdhsa_float_denorm_mode_16_64 3
		.amdhsa_dx10_clamp 1
		.amdhsa_ieee_mode 1
		.amdhsa_fp16_overflow 0
		.amdhsa_tg_split 0
		.amdhsa_exception_fp_ieee_invalid_op 0
		.amdhsa_exception_fp_denorm_src 0
		.amdhsa_exception_fp_ieee_div_zero 0
		.amdhsa_exception_fp_ieee_overflow 0
		.amdhsa_exception_fp_ieee_underflow 0
		.amdhsa_exception_fp_ieee_inexact 0
		.amdhsa_exception_int_div_zero 0
	.end_amdhsa_kernel
	.section	.text._ZN9rocsparseL19gtsv_LBM_rhs_kernelILj256ELj128ELj2E21rocsparse_complex_numIfEEEviiiPKT2_S5_S5_PS3_S5_PKi,"axG",@progbits,_ZN9rocsparseL19gtsv_LBM_rhs_kernelILj256ELj128ELj2E21rocsparse_complex_numIfEEEviiiPKT2_S5_S5_PS3_S5_PKi,comdat
.Lfunc_end251:
	.size	_ZN9rocsparseL19gtsv_LBM_rhs_kernelILj256ELj128ELj2E21rocsparse_complex_numIfEEEviiiPKT2_S5_S5_PS3_S5_PKi, .Lfunc_end251-_ZN9rocsparseL19gtsv_LBM_rhs_kernelILj256ELj128ELj2E21rocsparse_complex_numIfEEEviiiPKT2_S5_S5_PS3_S5_PKi
                                        ; -- End function
	.set _ZN9rocsparseL19gtsv_LBM_rhs_kernelILj256ELj128ELj2E21rocsparse_complex_numIfEEEviiiPKT2_S5_S5_PS3_S5_PKi.num_vgpr, 66
	.set _ZN9rocsparseL19gtsv_LBM_rhs_kernelILj256ELj128ELj2E21rocsparse_complex_numIfEEEviiiPKT2_S5_S5_PS3_S5_PKi.num_agpr, 0
	.set _ZN9rocsparseL19gtsv_LBM_rhs_kernelILj256ELj128ELj2E21rocsparse_complex_numIfEEEviiiPKT2_S5_S5_PS3_S5_PKi.numbered_sgpr, 30
	.set _ZN9rocsparseL19gtsv_LBM_rhs_kernelILj256ELj128ELj2E21rocsparse_complex_numIfEEEviiiPKT2_S5_S5_PS3_S5_PKi.num_named_barrier, 0
	.set _ZN9rocsparseL19gtsv_LBM_rhs_kernelILj256ELj128ELj2E21rocsparse_complex_numIfEEEviiiPKT2_S5_S5_PS3_S5_PKi.private_seg_size, 0
	.set _ZN9rocsparseL19gtsv_LBM_rhs_kernelILj256ELj128ELj2E21rocsparse_complex_numIfEEEviiiPKT2_S5_S5_PS3_S5_PKi.uses_vcc, 1
	.set _ZN9rocsparseL19gtsv_LBM_rhs_kernelILj256ELj128ELj2E21rocsparse_complex_numIfEEEviiiPKT2_S5_S5_PS3_S5_PKi.uses_flat_scratch, 0
	.set _ZN9rocsparseL19gtsv_LBM_rhs_kernelILj256ELj128ELj2E21rocsparse_complex_numIfEEEviiiPKT2_S5_S5_PS3_S5_PKi.has_dyn_sized_stack, 0
	.set _ZN9rocsparseL19gtsv_LBM_rhs_kernelILj256ELj128ELj2E21rocsparse_complex_numIfEEEviiiPKT2_S5_S5_PS3_S5_PKi.has_recursion, 0
	.set _ZN9rocsparseL19gtsv_LBM_rhs_kernelILj256ELj128ELj2E21rocsparse_complex_numIfEEEviiiPKT2_S5_S5_PS3_S5_PKi.has_indirect_call, 0
	.section	.AMDGPU.csdata,"",@progbits
; Kernel info:
; codeLenInByte = 2612
; TotalNumSgprs: 36
; NumVgprs: 66
; NumAgprs: 0
; TotalNumVgprs: 66
; ScratchSize: 0
; MemoryBound: 0
; FloatMode: 240
; IeeeMode: 1
; LDSByteSize: 0 bytes/workgroup (compile time only)
; SGPRBlocks: 4
; VGPRBlocks: 8
; NumSGPRsForWavesPerEU: 36
; NumVGPRsForWavesPerEU: 66
; AccumOffset: 68
; Occupancy: 7
; WaveLimiterHint : 0
; COMPUTE_PGM_RSRC2:SCRATCH_EN: 0
; COMPUTE_PGM_RSRC2:USER_SGPR: 2
; COMPUTE_PGM_RSRC2:TRAP_HANDLER: 0
; COMPUTE_PGM_RSRC2:TGID_X_EN: 1
; COMPUTE_PGM_RSRC2:TGID_Y_EN: 1
; COMPUTE_PGM_RSRC2:TGID_Z_EN: 0
; COMPUTE_PGM_RSRC2:TIDIG_COMP_CNT: 0
; COMPUTE_PGM_RSRC3_GFX90A:ACCUM_OFFSET: 16
; COMPUTE_PGM_RSRC3_GFX90A:TG_SPLIT: 0
	.section	.text._ZN9rocsparseL19gtsv_LBM_rhs_kernelILj256ELj128ELj1E21rocsparse_complex_numIfEEEviiiPKT2_S5_S5_PS3_S5_PKi,"axG",@progbits,_ZN9rocsparseL19gtsv_LBM_rhs_kernelILj256ELj128ELj1E21rocsparse_complex_numIfEEEviiiPKT2_S5_S5_PS3_S5_PKi,comdat
	.globl	_ZN9rocsparseL19gtsv_LBM_rhs_kernelILj256ELj128ELj1E21rocsparse_complex_numIfEEEviiiPKT2_S5_S5_PS3_S5_PKi ; -- Begin function _ZN9rocsparseL19gtsv_LBM_rhs_kernelILj256ELj128ELj1E21rocsparse_complex_numIfEEEviiiPKT2_S5_S5_PS3_S5_PKi
	.p2align	8
	.type	_ZN9rocsparseL19gtsv_LBM_rhs_kernelILj256ELj128ELj1E21rocsparse_complex_numIfEEEviiiPKT2_S5_S5_PS3_S5_PKi,@function
_ZN9rocsparseL19gtsv_LBM_rhs_kernelILj256ELj128ELj1E21rocsparse_complex_numIfEEEviiiPKT2_S5_S5_PS3_S5_PKi: ; @_ZN9rocsparseL19gtsv_LBM_rhs_kernelILj256ELj128ELj1E21rocsparse_complex_numIfEEEviiiPKT2_S5_S5_PS3_S5_PKi
; %bb.0:
	s_load_dword s24, s[0:1], 0x0
	v_lshl_or_b32 v0, s2, 8, v0
	s_waitcnt lgkmcnt(0)
	s_lshr_b32 s22, s24, 7
	v_cmp_gt_i32_e32 vcc, s22, v0
	s_and_saveexec_b64 s[4:5], vcc
	s_cbranch_execz .LBB252_29
; %bb.1:
	s_load_dwordx4 s[8:11], s[0:1], 0x28
	s_load_dwordx2 s[6:7], s[0:1], 0x38
	s_cmp_lt_i32 s24, 1
	s_mul_i32 s23, s24, s3
	s_cbranch_scc1 .LBB252_21
; %bb.2:
	s_load_dwordx4 s[12:15], s[0:1], 0x10
	s_load_dwordx2 s[16:17], s[0:1], 0x20
	v_ashrrev_i32_e32 v1, 31, v0
	v_add_u32_e32 v25, s22, v0
	s_mul_i32 s25, s22, 0x7f
	s_waitcnt lgkmcnt(0)
	v_lshl_add_u64 v[2:3], v[0:1], 3, s[14:15]
	global_load_dwordx2 v[4:5], v[2:3], off
	s_mul_i32 s26, s22, 0x7e
	s_lshl_b32 s27, s22, 1
	v_add_u32_e32 v34, s22, v25
	v_add_u32_e32 v35, s23, v25
	v_mov_b32_e32 v3, 0
	s_mov_b64 s[18:19], 0
	v_mov_b32_e32 v1, 0
	s_branch .LBB252_5
.LBB252_3:                              ;   in Loop: Header=BB252_5 Depth=1
	s_or_b64 exec, exec, s[4:5]
	v_mov_b32_e32 v17, v6
	v_pk_mul_f32 v[14:15], v[8:9], v[16:17] op_sel:[1,0]
	s_nop 0
	v_pk_fma_f32 v[6:7], v[6:7], v[8:9], v[14:15] op_sel_hi:[1,0,1]
	s_nop 0
	v_xor_b32_e32 v8, 0x80000000, v7
	v_mov_b32_e32 v9, v6
	v_pk_mul_f32 v[4:5], v[4:5], v[8:9] op_sel_hi:[0,1]
	v_pk_fma_f32 v[4:5], v[6:7], v[12:13], v[4:5] op_sel_hi:[1,0,1]
	v_mov_b32_e32 v12, s22
	v_pk_add_f32 v[4:5], v[10:11], v[4:5] neg_lo:[0,1] neg_hi:[0,1]
.LBB252_4:                              ;   in Loop: Header=BB252_5 Depth=1
	s_or_b64 exec, exec, s[2:3]
	v_add_u32_e32 v1, v12, v1
	v_cmp_le_i32_e32 vcc, s24, v1
	s_or_b64 s[18:19], vcc, s[18:19]
	s_andn2_b64 exec, exec, s[18:19]
	s_cbranch_execz .LBB252_20
.LBB252_5:                              ; =>This Inner Loop Header: Depth=1
	v_add_u32_e32 v16, v1, v0
	v_ashrrev_i32_e32 v17, 31, v16
	v_lshl_add_u64 v[6:7], v[16:17], 3, s[16:17]
	global_load_dwordx2 v[8:9], v[6:7], off
	v_cmp_gt_u32_e64 s[0:1], s25, v1
	v_add_u32_e32 v14, v25, v1
	v_mov_b32_e32 v6, 0
	v_mov_b32_e32 v7, 0
	s_and_saveexec_b64 s[2:3], s[0:1]
	s_cbranch_execz .LBB252_7
; %bb.6:                                ;   in Loop: Header=BB252_5 Depth=1
	v_ashrrev_i32_e32 v15, 31, v14
	v_lshl_add_u64 v[6:7], v[14:15], 3, s[12:13]
	global_load_dwordx2 v[6:7], v[6:7], off
.LBB252_7:                              ;   in Loop: Header=BB252_5 Depth=1
	s_or_b64 exec, exec, s[2:3]
	v_mov_b32_e32 v12, 0
	v_mov_b32_e32 v10, 0
	;; [unrolled: 1-line block ×3, first 2 shown]
	s_and_saveexec_b64 s[2:3], s[0:1]
	s_cbranch_execz .LBB252_9
; %bb.8:                                ;   in Loop: Header=BB252_5 Depth=1
	v_ashrrev_i32_e32 v15, 31, v14
	v_lshl_add_u64 v[10:11], v[14:15], 3, s[14:15]
	global_load_dwordx2 v[10:11], v[10:11], off
.LBB252_9:                              ;   in Loop: Header=BB252_5 Depth=1
	s_or_b64 exec, exec, s[2:3]
	v_mov_b32_e32 v13, 0
	s_and_saveexec_b64 s[2:3], s[0:1]
	s_cbranch_execz .LBB252_11
; %bb.10:                               ;   in Loop: Header=BB252_5 Depth=1
	v_ashrrev_i32_e32 v15, 31, v14
	v_lshl_add_u64 v[12:13], v[14:15], 3, s[16:17]
	global_load_dwordx2 v[12:13], v[12:13], off
.LBB252_11:                             ;   in Loop: Header=BB252_5 Depth=1
	s_or_b64 exec, exec, s[2:3]
	v_cmp_gt_u32_e64 s[2:3], s26, v1
	v_mov_b32_e32 v14, 0
	v_mov_b32_e32 v15, 0
	s_and_saveexec_b64 s[4:5], s[2:3]
	s_cbranch_execz .LBB252_13
; %bb.12:                               ;   in Loop: Header=BB252_5 Depth=1
	v_add_u32_e32 v14, v34, v1
	v_ashrrev_i32_e32 v15, 31, v14
	v_lshl_add_u64 v[14:15], v[14:15], 3, s[12:13]
	global_load_dwordx2 v[14:15], v[14:15], off
.LBB252_13:                             ;   in Loop: Header=BB252_5 Depth=1
	s_or_b64 exec, exec, s[4:5]
	v_lshl_add_u64 v[18:19], v[16:17], 2, s[6:7]
	global_load_dword v17, v[18:19], off
	v_cmp_ne_u32_e32 vcc, s25, v1
	v_add_u32_e32 v2, s23, v16
	s_waitcnt vmcnt(1)
	v_xor_b32_e32 v16, 0x80000000, v7
	s_waitcnt vmcnt(0)
	v_cmp_ne_u32_e64 s[4:5], 1, v17
	s_and_b64 s[4:5], vcc, s[4:5]
	s_and_saveexec_b64 s[20:21], s[4:5]
	s_xor_b64 s[4:5], exec, s[20:21]
	s_cbranch_execz .LBB252_17
; %bb.14:                               ;   in Loop: Header=BB252_5 Depth=1
	v_lshl_add_u64 v[36:37], v[2:3], 3, s[8:9]
	v_add_u32_e32 v2, v35, v1
	global_load_dwordx2 v[30:31], v[36:37], off
	v_lshl_add_u64 v[38:39], v[2:3], 3, s[8:9]
	global_load_dwordx2 v[40:41], v[38:39], off
	v_xor_b32_e32 v18, 0x80000000, v5
	v_mov_b32_e32 v19, v4
	v_mov_b32_e32 v17, v6
	v_pk_mul_f32 v[26:27], v[10:11], v[18:19] op_sel:[1,0]
	v_pk_mul_f32 v[16:17], v[8:9], v[16:17] op_sel:[1,0]
	v_pk_fma_f32 v[26:27], v[4:5], v[10:11], v[26:27] op_sel_hi:[1,0,1]
	v_pk_fma_f32 v[16:17], v[6:7], v[8:9], v[16:17] op_sel_hi:[1,0,1]
	v_xor_b32_e32 v42, 0x80000000, v11
	v_pk_add_f32 v[16:17], v[26:27], v[16:17] neg_lo:[0,1] neg_hi:[0,1]
	v_mov_b32_e32 v43, v10
	v_mul_f32_e32 v24, v17, v17
	v_fmac_f32_e32 v24, v16, v16
	v_div_scale_f32 v27, s[20:21], v24, v24, 1.0
	v_rcp_f32_e32 v28, v27
	v_fma_f32 v26, 0, v17, v16
	v_fma_f32 v17, v16, 0, -v17
	v_div_scale_f32 v16, vcc, 1.0, v24, 1.0
	v_fma_f32 v29, -v27, v28, 1.0
	v_fmac_f32_e32 v28, v29, v28
	v_mul_f32_e32 v29, v16, v28
	v_fma_f32 v32, -v27, v29, v16
	v_fmac_f32_e32 v29, v32, v28
	v_fma_f32 v16, -v27, v29, v16
	v_div_fmas_f32 v16, v16, v28, v29
	v_div_fixup_f32 v24, v16, v24, 1.0
	v_mul_f32_e32 v16, v26, v24
	v_mul_f32_e32 v24, v17, v24
	v_xor_b32_e32 v44, 0x80000000, v9
	v_pk_add_f32 v[22:23], v[6:7], 0 neg_lo:[1,1] neg_hi:[1,1]
	v_mov_b32_e32 v45, v8
	v_pk_mov_b32 v[22:23], v[6:7], v[22:23] op_sel:[1,0]
	v_mov_b32_e32 v2, v3
	v_mov_b32_e32 v20, v4
	;; [unrolled: 1-line block ×3, first 2 shown]
	s_waitcnt vmcnt(1)
	v_mul_f32_e64 v26, v24, -v31
	v_mul_f32_e32 v28, v24, v30
	v_fmac_f32_e32 v26, v30, v16
	v_fmac_f32_e32 v28, v31, v16
	s_waitcnt vmcnt(0)
	v_mul_f32_e64 v30, v24, -v41
	v_mul_f32_e32 v32, v24, v40
	v_fmac_f32_e32 v30, v40, v16
	v_fmac_f32_e32 v32, v41, v16
	v_pk_mul_f32 v[40:41], v[28:29], v[42:43] op_sel_hi:[0,1]
	v_pk_fma_f32 v[10:11], v[10:11], v[26:27], v[40:41] op_sel_hi:[1,0,1]
	v_pk_mul_f32 v[40:41], v[32:33], v[44:45] op_sel_hi:[0,1]
	v_pk_mul_f32 v[42:43], v[22:23], v[28:29] op_sel_hi:[1,0]
	;; [unrolled: 1-line block ×3, first 2 shown]
	v_pk_fma_f32 v[8:9], v[8:9], v[30:31], v[40:41] op_sel_hi:[1,0,1]
	v_pk_fma_f32 v[42:43], v[6:7], v[26:27], v[42:43] op_sel_hi:[1,0,1] neg_lo:[1,0,0] neg_hi:[1,0,0]
	v_pk_fma_f32 v[40:41], v[4:5], v[30:31], v[44:45] op_sel_hi:[1,0,1]
	v_pk_add_f32 v[8:9], v[10:11], v[8:9] neg_lo:[0,1] neg_hi:[0,1]
	v_pk_add_f32 v[10:11], v[42:43], v[40:41]
	global_store_dwordx2 v[36:37], v[8:9], off
	global_store_dwordx2 v[38:39], v[10:11], off
	v_mov_b64_e32 v[8:9], v[2:3]
	s_and_saveexec_b64 s[20:21], s[2:3]
	s_cbranch_execz .LBB252_16
; %bb.15:                               ;   in Loop: Header=BB252_5 Depth=1
	v_add_u32_e32 v8, v34, v1
	v_add_u32_e32 v2, s23, v8
	v_ashrrev_i32_e32 v9, 31, v8
	v_lshl_add_u64 v[10:11], v[2:3], 3, s[8:9]
	v_lshl_add_u64 v[8:9], v[8:9], 3, s[14:15]
	global_load_dwordx2 v[36:37], v[10:11], off
	v_mov_b32_e32 v2, v15
	global_load_dwordx2 v[8:9], v[8:9], off
	v_xor_b32_e32 v38, 0x80000000, v15
	v_mov_b32_e32 v39, v14
	v_pk_mul_f32 v[22:23], v[2:3], v[22:23] op_sel_hi:[0,1]
	v_pk_mul_f32 v[18:19], v[2:3], v[18:19] op_sel_hi:[0,1]
	v_pk_mul_f32 v[38:39], v[4:5], v[38:39] op_sel:[1,0]
	v_pk_fma_f32 v[6:7], v[6:7], v[14:15], v[22:23] op_sel_hi:[1,0,1] neg_lo:[1,0,0] neg_hi:[1,0,0]
	v_pk_fma_f32 v[4:5], v[4:5], v[14:15], v[18:19] op_sel_hi:[1,0,1]
	v_pk_fma_f32 v[14:15], v[14:15], v[20:21], v[38:39]
	v_mov_b32_e32 v40, v13
	v_pk_add_f32 v[18:19], v[6:7], 0 neg_lo:[1,1] neg_hi:[1,1]
	v_xor_b32_e32 v22, 0x80000000, v15
	v_mov_b32_e32 v23, v14
	v_mov_b32_e32 v29, v28
	;; [unrolled: 1-line block ×3, first 2 shown]
	v_xor_b32_e32 v20, 0x80000000, v5
	v_mov_b32_e32 v21, v4
	v_pk_mov_b32 v[18:19], v[6:7], v[18:19] op_sel:[1,0]
	v_pk_mul_f32 v[22:23], v[40:41], v[22:23] op_sel_hi:[0,1]
	v_mov_b32_e32 v27, v26
	v_mov_b32_e32 v31, v30
	v_pk_mul_f32 v[20:21], v[32:33], v[20:21]
	v_pk_mul_f32 v[18:19], v[18:19], v[28:29]
	v_pk_fma_f32 v[12:13], v[14:15], v[12:13], v[22:23] op_sel_hi:[1,0,1]
	v_pk_fma_f32 v[4:5], v[4:5], v[30:31], v[20:21]
	v_pk_fma_f32 v[6:7], v[6:7], v[26:27], v[18:19] neg_lo:[1,0,0] neg_hi:[1,0,0]
	v_xor_b32_e32 v14, 0x80000000, v13
	v_mov_b32_e32 v15, v12
	v_pk_add_f32 v[4:5], v[6:7], v[4:5] neg_lo:[0,1] neg_hi:[0,1]
	v_pk_mul_f32 v[6:7], v[24:25], v[14:15] op_sel_hi:[0,1]
	v_pk_fma_f32 v[6:7], v[12:13], v[16:17], v[6:7] op_sel_hi:[1,0,1]
	s_waitcnt vmcnt(1)
	v_pk_add_f32 v[4:5], v[4:5], v[36:37]
	global_store_dwordx2 v[10:11], v[4:5], off
	s_waitcnt vmcnt(1)
	v_pk_add_f32 v[8:9], v[8:9], v[6:7] neg_lo:[0,1] neg_hi:[0,1]
.LBB252_16:                             ;   in Loop: Header=BB252_5 Depth=1
	s_or_b64 exec, exec, s[20:21]
	v_mov_b64_e32 v[4:5], v[8:9]
                                        ; implicit-def: $vgpr16
                                        ; implicit-def: $vgpr6
                                        ; implicit-def: $vgpr8_vgpr9
                                        ; implicit-def: $vgpr10_vgpr11
.LBB252_17:                             ;   in Loop: Header=BB252_5 Depth=1
	s_or_saveexec_b64 s[2:3], s[4:5]
	v_mov_b32_e32 v12, s27
	s_xor_b64 exec, exec, s[2:3]
	s_cbranch_execz .LBB252_4
; %bb.18:                               ;   in Loop: Header=BB252_5 Depth=1
	v_lshl_add_u64 v[18:19], v[2:3], 3, s[8:9]
	global_load_dwordx2 v[14:15], v[18:19], off
	v_mul_f32_e32 v2, v5, v5
	v_fmac_f32_e32 v2, v4, v4
	v_div_scale_f32 v12, s[4:5], v2, v2, 1.0
	v_rcp_f32_e32 v13, v12
	s_nop 0
	v_fma_f32 v17, -v12, v13, 1.0
	v_fmac_f32_e32 v13, v17, v13
	v_div_scale_f32 v17, vcc, 1.0, v2, 1.0
	v_mul_f32_e32 v20, v17, v13
	v_fma_f32 v21, -v12, v20, v17
	v_fmac_f32_e32 v20, v21, v13
	v_fma_f32 v12, -v12, v20, v17
	v_div_fmas_f32 v12, v12, v13, v20
	v_div_fixup_f32 v2, v12, v2, 1.0
	v_fma_f32 v12, 0, v5, v4
	v_fma_f32 v4, v4, 0, -v5
	v_mul_f32_e32 v4, v4, v2
	v_mul_f32_e32 v12, v12, v2
	s_waitcnt vmcnt(0)
	v_pk_mul_f32 v[20:21], v[4:5], v[14:15] op_sel:[0,1] op_sel_hi:[0,0] neg_lo:[0,1]
	v_pk_fma_f32 v[14:15], v[14:15], v[12:13], v[20:21] op_sel_hi:[1,0,1]
	global_store_dwordx2 v[18:19], v[14:15], off
	s_and_saveexec_b64 s[4:5], s[0:1]
	s_cbranch_execz .LBB252_3
; %bb.19:                               ;   in Loop: Header=BB252_5 Depth=1
	v_add_u32_e32 v2, v35, v1
	v_lshl_add_u64 v[18:19], v[2:3], 3, s[8:9]
	global_load_dwordx2 v[20:21], v[18:19], off
	v_xor_b32_e32 v22, 0x80000000, v6
	v_mov_b32_e32 v23, v16
	v_mov_b32_e32 v26, v7
	;; [unrolled: 1-line block ×3, first 2 shown]
	s_waitcnt vmcnt(0)
	v_pk_fma_f32 v[20:21], v[22:23], v[14:15], v[20:21] op_sel_hi:[1,0,1]
	s_nop 0
	v_pk_fma_f32 v[14:15], v[26:27], v[14:15], v[20:21] op_sel:[0,1,0]
	global_store_dwordx2 v[18:19], v[14:15], off
	s_branch .LBB252_3
.LBB252_20:
	s_or_b64 exec, exec, s[18:19]
	s_branch .LBB252_22
.LBB252_21:
	v_mov_b32_e32 v1, 0
.LBB252_22:
	v_subrev_u32_e32 v1, s22, v1
	v_add_u32_e32 v2, v1, v0
	v_ashrrev_i32_e32 v3, 31, v2
	s_waitcnt lgkmcnt(0)
	v_lshl_add_u64 v[2:3], v[2:3], 2, s[6:7]
	buffer_wbl2 sc1
	s_waitcnt vmcnt(0)
	buffer_inv sc1
	global_load_dword v2, v[2:3], off
	s_waitcnt vmcnt(0)
	v_mul_lo_u32 v2, v2, s22
	v_sub_u32_e32 v1, v1, v2
	v_cmp_lt_i32_e32 vcc, -1, v1
	s_and_b64 exec, exec, vcc
	s_cbranch_execz .LBB252_29
; %bb.23:
	s_add_i32 s0, s23, s22
	v_add_u32_e32 v8, s0, v0
	s_lshl_b32 s4, s22, 1
	s_mov_b64 s[0:1], 0
	v_mov_b32_e32 v3, 0
	s_branch .LBB252_25
.LBB252_24:                             ;   in Loop: Header=BB252_25 Depth=1
	s_or_b64 exec, exec, s[2:3]
	v_sub_u32_e32 v1, v1, v2
	v_cmp_gt_i32_e32 vcc, 0, v1
	s_or_b64 s[0:1], vcc, s[0:1]
	s_andn2_b64 exec, exec, s[0:1]
	s_cbranch_execz .LBB252_29
.LBB252_25:                             ; =>This Inner Loop Header: Depth=1
	v_add_u32_e32 v6, v1, v0
	v_ashrrev_i32_e32 v7, 31, v6
	s_waitcnt vmcnt(0)
	v_lshl_add_u64 v[4:5], v[6:7], 2, s[6:7]
	global_load_dword v2, v[4:5], off
	v_lshl_add_u64 v[4:5], v[6:7], 3, s[10:11]
	global_load_dwordx2 v[4:5], v[4:5], off
	s_waitcnt vmcnt(1)
	v_cmp_ne_u32_e32 vcc, 1, v2
	s_and_saveexec_b64 s[2:3], vcc
	s_xor_b64 s[2:3], exec, s[2:3]
	s_cbranch_execz .LBB252_27
; %bb.26:                               ;   in Loop: Header=BB252_25 Depth=1
	v_add_u32_e32 v2, v8, v1
	v_lshl_add_u64 v[10:11], v[2:3], 3, s[8:9]
	v_add_u32_e32 v2, s23, v6
	v_lshl_add_u64 v[6:7], v[2:3], 3, s[8:9]
	global_load_dwordx2 v[12:13], v[10:11], off
	global_load_dwordx2 v[14:15], v[6:7], off
	v_subrev_u32_e32 v2, s22, v1
	s_waitcnt vmcnt(2)
	v_pk_add_f32 v[10:11], v[4:5], 0 neg_lo:[1,1] neg_hi:[1,1]
	v_add_u32_e32 v16, v2, v0
	v_pk_mov_b32 v[10:11], v[4:5], v[10:11] op_sel:[1,0]
	v_ashrrev_i32_e32 v17, 31, v16
	v_add_u32_e32 v2, s23, v16
	v_lshl_add_u64 v[16:17], v[16:17], 3, s[10:11]
	v_lshl_add_u64 v[18:19], v[2:3], 3, s[8:9]
	global_load_dwordx2 v[16:17], v[16:17], off
	s_waitcnt vmcnt(1)
	v_pk_fma_f32 v[4:5], v[4:5], v[12:13], v[14:15] op_sel_hi:[1,0,1] neg_lo:[1,0,0] neg_hi:[1,0,0]
	s_nop 0
	v_pk_fma_f32 v[4:5], v[10:11], v[12:13], v[4:5] op_sel:[0,1,0]
	global_store_dwordx2 v[6:7], v[4:5], off
	global_load_dwordx2 v[4:5], v[18:19], off
	s_waitcnt vmcnt(2)
	v_pk_add_f32 v[6:7], v[16:17], 0 neg_lo:[1,1] neg_hi:[1,1]
	s_nop 0
	v_pk_mov_b32 v[6:7], v[16:17], v[6:7] op_sel:[1,0]
	s_waitcnt vmcnt(0)
	v_pk_fma_f32 v[4:5], v[16:17], v[12:13], v[4:5] op_sel_hi:[1,0,1] neg_lo:[1,0,0] neg_hi:[1,0,0]
	s_nop 0
	v_pk_fma_f32 v[4:5], v[6:7], v[12:13], v[4:5] op_sel:[0,1,0]
	global_store_dwordx2 v[18:19], v[4:5], off
                                        ; implicit-def: $vgpr6
                                        ; implicit-def: $vgpr4_vgpr5
.LBB252_27:                             ;   in Loop: Header=BB252_25 Depth=1
	s_or_saveexec_b64 s[2:3], s[2:3]
	v_mov_b32_e32 v2, s4
	s_xor_b64 exec, exec, s[2:3]
	s_cbranch_execz .LBB252_24
; %bb.28:                               ;   in Loop: Header=BB252_25 Depth=1
	v_add_u32_e32 v2, v8, v1
	v_lshl_add_u64 v[10:11], v[2:3], 3, s[8:9]
	v_add_u32_e32 v2, s23, v6
	v_lshl_add_u64 v[6:7], v[2:3], 3, s[8:9]
	global_load_dwordx2 v[12:13], v[10:11], off
	global_load_dwordx2 v[14:15], v[6:7], off
	s_waitcnt vmcnt(2)
	v_pk_add_f32 v[10:11], v[4:5], 0 neg_lo:[1,1] neg_hi:[1,1]
	v_mov_b32_e32 v2, s22
	v_pk_mov_b32 v[10:11], v[4:5], v[10:11] op_sel:[1,0]
	s_waitcnt vmcnt(0)
	v_pk_fma_f32 v[4:5], v[4:5], v[12:13], v[14:15] op_sel_hi:[1,0,1] neg_lo:[1,0,0] neg_hi:[1,0,0]
	s_nop 0
	v_pk_fma_f32 v[4:5], v[10:11], v[12:13], v[4:5] op_sel:[0,1,0]
	global_store_dwordx2 v[6:7], v[4:5], off
	s_branch .LBB252_24
.LBB252_29:
	s_endpgm
	.section	.rodata,"a",@progbits
	.p2align	6, 0x0
	.amdhsa_kernel _ZN9rocsparseL19gtsv_LBM_rhs_kernelILj256ELj128ELj1E21rocsparse_complex_numIfEEEviiiPKT2_S5_S5_PS3_S5_PKi
		.amdhsa_group_segment_fixed_size 0
		.amdhsa_private_segment_fixed_size 0
		.amdhsa_kernarg_size 64
		.amdhsa_user_sgpr_count 2
		.amdhsa_user_sgpr_dispatch_ptr 0
		.amdhsa_user_sgpr_queue_ptr 0
		.amdhsa_user_sgpr_kernarg_segment_ptr 1
		.amdhsa_user_sgpr_dispatch_id 0
		.amdhsa_user_sgpr_kernarg_preload_length 0
		.amdhsa_user_sgpr_kernarg_preload_offset 0
		.amdhsa_user_sgpr_private_segment_size 0
		.amdhsa_uses_dynamic_stack 0
		.amdhsa_enable_private_segment 0
		.amdhsa_system_sgpr_workgroup_id_x 1
		.amdhsa_system_sgpr_workgroup_id_y 1
		.amdhsa_system_sgpr_workgroup_id_z 0
		.amdhsa_system_sgpr_workgroup_info 0
		.amdhsa_system_vgpr_workitem_id 0
		.amdhsa_next_free_vgpr 46
		.amdhsa_next_free_sgpr 28
		.amdhsa_accum_offset 48
		.amdhsa_reserve_vcc 1
		.amdhsa_float_round_mode_32 0
		.amdhsa_float_round_mode_16_64 0
		.amdhsa_float_denorm_mode_32 3
		.amdhsa_float_denorm_mode_16_64 3
		.amdhsa_dx10_clamp 1
		.amdhsa_ieee_mode 1
		.amdhsa_fp16_overflow 0
		.amdhsa_tg_split 0
		.amdhsa_exception_fp_ieee_invalid_op 0
		.amdhsa_exception_fp_denorm_src 0
		.amdhsa_exception_fp_ieee_div_zero 0
		.amdhsa_exception_fp_ieee_overflow 0
		.amdhsa_exception_fp_ieee_underflow 0
		.amdhsa_exception_fp_ieee_inexact 0
		.amdhsa_exception_int_div_zero 0
	.end_amdhsa_kernel
	.section	.text._ZN9rocsparseL19gtsv_LBM_rhs_kernelILj256ELj128ELj1E21rocsparse_complex_numIfEEEviiiPKT2_S5_S5_PS3_S5_PKi,"axG",@progbits,_ZN9rocsparseL19gtsv_LBM_rhs_kernelILj256ELj128ELj1E21rocsparse_complex_numIfEEEviiiPKT2_S5_S5_PS3_S5_PKi,comdat
.Lfunc_end252:
	.size	_ZN9rocsparseL19gtsv_LBM_rhs_kernelILj256ELj128ELj1E21rocsparse_complex_numIfEEEviiiPKT2_S5_S5_PS3_S5_PKi, .Lfunc_end252-_ZN9rocsparseL19gtsv_LBM_rhs_kernelILj256ELj128ELj1E21rocsparse_complex_numIfEEEviiiPKT2_S5_S5_PS3_S5_PKi
                                        ; -- End function
	.set _ZN9rocsparseL19gtsv_LBM_rhs_kernelILj256ELj128ELj1E21rocsparse_complex_numIfEEEviiiPKT2_S5_S5_PS3_S5_PKi.num_vgpr, 46
	.set _ZN9rocsparseL19gtsv_LBM_rhs_kernelILj256ELj128ELj1E21rocsparse_complex_numIfEEEviiiPKT2_S5_S5_PS3_S5_PKi.num_agpr, 0
	.set _ZN9rocsparseL19gtsv_LBM_rhs_kernelILj256ELj128ELj1E21rocsparse_complex_numIfEEEviiiPKT2_S5_S5_PS3_S5_PKi.numbered_sgpr, 28
	.set _ZN9rocsparseL19gtsv_LBM_rhs_kernelILj256ELj128ELj1E21rocsparse_complex_numIfEEEviiiPKT2_S5_S5_PS3_S5_PKi.num_named_barrier, 0
	.set _ZN9rocsparseL19gtsv_LBM_rhs_kernelILj256ELj128ELj1E21rocsparse_complex_numIfEEEviiiPKT2_S5_S5_PS3_S5_PKi.private_seg_size, 0
	.set _ZN9rocsparseL19gtsv_LBM_rhs_kernelILj256ELj128ELj1E21rocsparse_complex_numIfEEEviiiPKT2_S5_S5_PS3_S5_PKi.uses_vcc, 1
	.set _ZN9rocsparseL19gtsv_LBM_rhs_kernelILj256ELj128ELj1E21rocsparse_complex_numIfEEEviiiPKT2_S5_S5_PS3_S5_PKi.uses_flat_scratch, 0
	.set _ZN9rocsparseL19gtsv_LBM_rhs_kernelILj256ELj128ELj1E21rocsparse_complex_numIfEEEviiiPKT2_S5_S5_PS3_S5_PKi.has_dyn_sized_stack, 0
	.set _ZN9rocsparseL19gtsv_LBM_rhs_kernelILj256ELj128ELj1E21rocsparse_complex_numIfEEEviiiPKT2_S5_S5_PS3_S5_PKi.has_recursion, 0
	.set _ZN9rocsparseL19gtsv_LBM_rhs_kernelILj256ELj128ELj1E21rocsparse_complex_numIfEEEviiiPKT2_S5_S5_PS3_S5_PKi.has_indirect_call, 0
	.section	.AMDGPU.csdata,"",@progbits
; Kernel info:
; codeLenInByte = 1988
; TotalNumSgprs: 34
; NumVgprs: 46
; NumAgprs: 0
; TotalNumVgprs: 46
; ScratchSize: 0
; MemoryBound: 0
; FloatMode: 240
; IeeeMode: 1
; LDSByteSize: 0 bytes/workgroup (compile time only)
; SGPRBlocks: 4
; VGPRBlocks: 5
; NumSGPRsForWavesPerEU: 34
; NumVGPRsForWavesPerEU: 46
; AccumOffset: 48
; Occupancy: 8
; WaveLimiterHint : 0
; COMPUTE_PGM_RSRC2:SCRATCH_EN: 0
; COMPUTE_PGM_RSRC2:USER_SGPR: 2
; COMPUTE_PGM_RSRC2:TRAP_HANDLER: 0
; COMPUTE_PGM_RSRC2:TGID_X_EN: 1
; COMPUTE_PGM_RSRC2:TGID_Y_EN: 1
; COMPUTE_PGM_RSRC2:TGID_Z_EN: 0
; COMPUTE_PGM_RSRC2:TIDIG_COMP_CNT: 0
; COMPUTE_PGM_RSRC3_GFX90A:ACCUM_OFFSET: 11
; COMPUTE_PGM_RSRC3_GFX90A:TG_SPLIT: 0
	.section	.text._ZN9rocsparseL29gtsv_spike_block_level_kernelILj256ELj128E21rocsparse_complex_numIfEEEviiiPT1_PKS3_S6_S4_S4_S4_S4_S4_,"axG",@progbits,_ZN9rocsparseL29gtsv_spike_block_level_kernelILj256ELj128E21rocsparse_complex_numIfEEEviiiPT1_PKS3_S6_S4_S4_S4_S4_S4_,comdat
	.globl	_ZN9rocsparseL29gtsv_spike_block_level_kernelILj256ELj128E21rocsparse_complex_numIfEEEviiiPT1_PKS3_S6_S4_S4_S4_S4_S4_ ; -- Begin function _ZN9rocsparseL29gtsv_spike_block_level_kernelILj256ELj128E21rocsparse_complex_numIfEEEviiiPT1_PKS3_S6_S4_S4_S4_S4_S4_
	.p2align	8
	.type	_ZN9rocsparseL29gtsv_spike_block_level_kernelILj256ELj128E21rocsparse_complex_numIfEEEviiiPT1_PKS3_S6_S4_S4_S4_S4_S4_,@function
_ZN9rocsparseL29gtsv_spike_block_level_kernelILj256ELj128E21rocsparse_complex_numIfEEEviiiPT1_PKS3_S6_S4_S4_S4_S4_S4_: ; @_ZN9rocsparseL29gtsv_spike_block_level_kernelILj256ELj128E21rocsparse_complex_numIfEEEviiiPT1_PKS3_S6_S4_S4_S4_S4_S4_
; %bb.0:
	s_load_dword s14, s[0:1], 0x0
	s_load_dwordx2 s[8:9], s[0:1], 0x18
	v_lshl_or_b32 v2, s2, 8, v0
	v_mov_b32_e32 v4, 0
	v_mov_b32_e32 v8, 0
	s_waitcnt lgkmcnt(0)
	s_lshr_b32 s19, s14, 7
	v_cmp_gt_i32_e64 s[4:5], s19, v2
	v_mov_b32_e32 v9, 0
	s_and_saveexec_b64 s[6:7], s[4:5]
	s_cbranch_execz .LBB253_2
; %bb.1:
	v_ashrrev_i32_e32 v3, 31, v2
	v_lshl_add_u64 v[6:7], v[2:3], 3, s[8:9]
	global_load_dwordx2 v[8:9], v[6:7], off
.LBB253_2:
	s_or_b64 exec, exec, s[6:7]
	s_load_dwordx2 s[6:7], s[0:1], 0x20
	v_lshlrev_b32_e32 v1, 3, v0
	v_or_b32_e32 v6, 0x1000, v1
	s_mul_i32 s18, s19, 0x7f
	v_mov_b32_e32 v5, 0
	s_waitcnt vmcnt(0)
	ds_write_b64 v1, v[8:9] offset:4096
	s_and_saveexec_b64 s[10:11], s[4:5]
	s_cbranch_execz .LBB253_4
; %bb.3:
	s_mul_i32 s12, s19, 0x7f
	v_add_u32_e32 v4, s12, v2
	v_mov_b32_e32 v5, 0
	v_lshl_add_u64 v[4:5], v[4:5], 3, s[8:9]
	global_load_dwordx2 v[4:5], v[4:5], off
.LBB253_4:
	s_or_b64 exec, exec, s[10:11]
	s_waitcnt vmcnt(0)
	ds_write_b64 v6, v[4:5] offset:2048
	v_mov_b32_e32 v4, 0
	v_mov_b32_e32 v8, 0
	;; [unrolled: 1-line block ×3, first 2 shown]
	s_and_saveexec_b64 s[8:9], s[4:5]
	s_cbranch_execz .LBB253_6
; %bb.5:
	v_ashrrev_i32_e32 v3, 31, v2
	s_waitcnt lgkmcnt(0)
	v_lshl_add_u64 v[8:9], v[2:3], 3, s[6:7]
	global_load_dwordx2 v[8:9], v[8:9], off
.LBB253_6:
	s_or_b64 exec, exec, s[8:9]
	s_load_dwordx2 s[12:13], s[0:1], 0x10
	v_mov_b32_e32 v5, 0
	s_waitcnt vmcnt(0)
	ds_write_b64 v1, v[8:9]
	s_and_saveexec_b64 s[8:9], s[4:5]
	s_cbranch_execz .LBB253_8
; %bb.7:
	s_mul_i32 s10, s19, 0x7f
	v_add_u32_e32 v4, s10, v2
	v_mov_b32_e32 v5, 0
	s_waitcnt lgkmcnt(0)
	v_lshl_add_u64 v[4:5], v[4:5], 3, s[6:7]
	global_load_dwordx2 v[4:5], v[4:5], off
.LBB253_8:
	s_or_b64 exec, exec, s[8:9]
	s_mul_i32 s14, s14, s3
	s_waitcnt vmcnt(0)
	ds_write_b64 v1, v[4:5] offset:2048
	v_mov_b32_e32 v8, 0
	v_add_u32_e32 v4, s14, v2
	v_mov_b32_e32 v10, 0
	v_mov_b32_e32 v11, 0
	s_waitcnt lgkmcnt(0)
	s_and_saveexec_b64 s[6:7], s[4:5]
	s_cbranch_execz .LBB253_10
; %bb.9:
	v_ashrrev_i32_e32 v5, 31, v4
	v_lshl_add_u64 v[10:11], v[4:5], 3, s[12:13]
	global_load_dwordx2 v[10:11], v[10:11], off
.LBB253_10:
	s_or_b64 exec, exec, s[6:7]
	v_or_b32_e32 v5, 0x2000, v1
	v_mov_b32_e32 v9, 0
	s_waitcnt vmcnt(0)
	ds_write_b64 v1, v[10:11] offset:8192
	s_and_saveexec_b64 s[6:7], s[4:5]
	s_cbranch_execz .LBB253_12
; %bb.11:
	s_mul_i32 s8, s19, 0x7f
	s_add_i32 s8, s8, s14
	v_add_u32_e32 v8, s8, v2
	v_mov_b32_e32 v9, 0
	v_lshl_add_u64 v[8:9], v[8:9], 3, s[12:13]
	global_load_dwordx2 v[8:9], v[8:9], off
.LBB253_12:
	s_or_b64 exec, exec, s[6:7]
	s_movk_i32 s6, 0x80
	v_cmp_gt_u32_e32 vcc, s6, v0
	s_waitcnt vmcnt(0)
	ds_write_b64 v5, v[8:9] offset:2048
	s_waitcnt lgkmcnt(0)
	s_barrier
	s_and_saveexec_b64 s[6:7], vcc
	s_cbranch_execz .LBB253_14
; %bb.13:
	v_add_u32_e32 v3, v6, v1
	ds_read2_b64 v[8:11], v3 offset1:1
	v_add_u32_e32 v7, v1, v1
	ds_read_b128 v[12:15], v7 offset:2048
	ds_read_b64 v[36:37], v3 offset:2056
	s_mov_b64 s[8:9], 0x3f800000
	v_add_u32_e32 v47, v5, v1
	s_waitcnt lgkmcnt(2)
	v_xor_b32_e32 v20, 0x80000000, v11
	v_mov_b32_e32 v21, v10
	s_waitcnt lgkmcnt(1)
	v_pk_mul_f32 v[20:21], v[12:13], v[20:21] op_sel:[1,0]
	ds_read_b128 v[16:19], v7
	v_pk_fma_f32 v[12:13], v[10:11], v[12:13], v[20:21] op_sel_hi:[1,0,1]
	v_add_u32_e32 v28, 0x800, v47
	v_pk_add_f32 v[12:13], v[12:13], s[8:9] neg_lo:[1,0] neg_hi:[1,0]
	s_nop 0
	v_mul_f32_e32 v20, v13, v13
	v_fmac_f32_e32 v20, v12, v12
	v_div_scale_f32 v21, s[8:9], v20, v20, 1.0
	v_rcp_f32_e32 v22, v21
	v_fma_f32 v39, v12, 0, -v13
	v_fmac_f32_e32 v12, 0, v13
	v_add_u32_e32 v13, 0x800, v3
	v_fma_f32 v23, -v21, v22, 1.0
	v_fmac_f32_e32 v22, v23, v22
	v_div_scale_f32 v23, vcc, 1.0, v20, 1.0
	v_mul_f32_e32 v24, v23, v22
	v_fma_f32 v25, -v21, v24, v23
	v_fmac_f32_e32 v24, v25, v22
	v_fma_f32 v21, -v21, v24, v23
	v_div_fmas_f32 v21, v21, v22, v24
	v_div_fixup_f32 v38, v21, v20, 1.0
	ds_read_b128 v[20:23], v47
	ds_read2st64_b64 v[24:27], v7 offset1:4
	ds_read2_b64 v[28:31], v28 offset1:1
	s_waitcnt lgkmcnt(2)
	v_mov_b32_e32 v32, v23
	s_waitcnt lgkmcnt(1)
	v_pk_mul_f32 v[32:33], v[32:33], v[26:27] op_sel:[0,1] op_sel_hi:[0,0] neg_lo:[0,1]
	v_pk_fma_f32 v[32:33], v[26:27], v[22:23], v[32:33] op_sel_hi:[1,0,1]
	s_waitcnt lgkmcnt(0)
	v_pk_mul_f32 v[44:45], v[10:11], v[28:29] op_sel:[1,1] op_sel_hi:[1,0] neg_lo:[0,1]
	v_pk_add_f32 v[40:41], v[28:29], v[32:33] neg_lo:[0,1] neg_hi:[0,1]
	ds_read2_b64 v[32:35], v13 offset1:1
	v_pk_fma_f32 v[28:29], v[28:29], v[10:11], v[44:45] op_sel_hi:[1,0,1]
	v_mov_b32_e32 v13, v39
	v_xor_b32_e32 v42, 0x80000000, v41
	v_mov_b32_e32 v43, v40
	v_pk_add_f32 v[22:23], v[22:23], v[28:29] neg_lo:[0,1] neg_hi:[0,1]
	v_pk_mul_f32 v[38:39], v[12:13], v[38:39] op_sel_hi:[1,0]
	v_xor_b32_e32 v28, 0x80000000, v23
	v_mov_b32_e32 v29, v22
	v_mul_f32_e64 v46, v19, -v27
	v_mul_f32_e32 v48, v19, v26
	v_pk_mul_f32 v[12:13], v[38:39], v[42:43] op_sel:[1,0]
	v_fmac_f32_e32 v46, v26, v18
	v_fmac_f32_e32 v48, v27, v18
	v_pk_fma_f32 v[26:27], v[40:41], v[38:39], v[12:13] op_sel_hi:[1,0,1]
	v_pk_mul_f32 v[12:13], v[38:39], v[28:29] op_sel:[1,0]
	s_waitcnt lgkmcnt(0)
	v_xor_b32_e32 v44, 0x80000000, v35
	v_pk_fma_f32 v[22:23], v[22:23], v[38:39], v[12:13] op_sel_hi:[1,0,1]
	v_mov_b32_e32 v45, v34
	v_pk_mul_f32 v[12:13], v[22:23], v[16:17] op_sel:[1,1] op_sel_hi:[1,0] neg_lo:[0,1]
	s_nop 0
	v_pk_fma_f32 v[12:13], v[16:17], v[22:23], v[12:13] op_sel_hi:[1,0,1]
	v_pk_add_f32 v[16:17], v[38:39], 0 neg_lo:[1,1] neg_hi:[1,1]
	v_pk_add_f32 v[20:21], v[20:21], v[12:13] neg_lo:[0,1] neg_hi:[0,1]
	ds_write_b128 v47, v[20:23]
	v_pk_mov_b32 v[20:21], v[38:39], v[16:17] op_sel:[1,0]
	v_mov_b32_e32 v22, v19
	v_pk_mov_b32 v[16:17], v[16:17], v[38:39] op_sel:[1,0]
	v_pk_mul_f32 v[12:13], v[26:27], v[44:45] op_sel:[1,0]
	v_pk_mul_f32 v[16:17], v[22:23], v[16:17] op_sel_hi:[0,1]
	v_mul_f32_e32 v22, v11, v32
	v_pk_fma_f32 v[18:19], v[38:39], v[18:19], v[16:17] op_sel_hi:[1,0,1]
	v_mul_f32_e64 v16, v11, -v33
	v_fmac_f32_e32 v22, v33, v10
	v_pk_fma_f32 v[12:13], v[34:35], v[26:27], v[12:13] op_sel_hi:[1,0,1]
	v_fmac_f32_e32 v16, v32, v10
	v_pk_mul_f32 v[10:11], v[20:21], v[22:23] op_sel_hi:[1,0]
	v_pk_add_f32 v[28:29], v[30:31], v[12:13] neg_lo:[0,1] neg_hi:[0,1]
	v_pk_fma_f32 v[10:11], v[38:39], v[16:17], v[10:11] op_sel_hi:[1,0,1] neg_lo:[1,0,0] neg_hi:[1,0,0]
	ds_write_b128 v47, v[26:29] offset:2048
	v_xor_b32_e32 v26, 0x80000000, v39
	v_mov_b32_e32 v27, v38
	v_pk_mul_f32 v[22:23], v[10:11], v[24:25] op_sel:[1,1] op_sel_hi:[1,0] neg_lo:[0,1]
	v_pk_mul_f32 v[16:17], v[32:33], v[26:27] op_sel:[1,0]
	v_pk_fma_f32 v[22:23], v[24:25], v[10:11], v[22:23] op_sel_hi:[1,0,1]
	v_pk_mul_f32 v[12:13], v[20:21], v[48:49] op_sel_hi:[1,0]
	v_pk_fma_f32 v[20:21], v[38:39], v[32:33], v[16:17] op_sel_hi:[1,0,1]
	v_pk_add_f32 v[16:17], v[24:25], 0 neg_lo:[1,1] neg_hi:[1,1]
	v_pk_add_f32 v[8:9], v[8:9], v[22:23] neg_lo:[0,1] neg_hi:[0,1]
	ds_write_b128 v3, v[8:11]
	v_pk_mov_b32 v[8:9], v[24:25], v[16:17] op_sel:[1,0]
	v_pk_fma_f32 v[12:13], v[38:39], v[46:47], v[12:13] op_sel_hi:[1,0,1] neg_lo:[1,0,0] neg_hi:[1,0,0]
	v_pk_mul_f32 v[8:9], v[18:19], v[8:9] op_sel:[1,0]
	s_nop 0
	v_pk_fma_f32 v[16:17], v[24:25], v[18:19], v[8:9] op_sel_hi:[1,0,1] neg_lo:[1,0,0] neg_hi:[1,0,0]
	v_xor_b32_e32 v8, 0x80000000, v13
	v_mov_b32_e32 v9, v12
	v_pk_mul_f32 v[8:9], v[36:37], v[8:9] op_sel:[1,0]
	ds_write_b128 v7, v[16:19]
	v_pk_fma_f32 v[8:9], v[12:13], v[36:37], v[8:9] op_sel_hi:[1,0,1]
	s_nop 0
	v_pk_add_f32 v[14:15], v[14:15], v[8:9] neg_lo:[0,1] neg_hi:[0,1]
	v_pk_add_f32 v[8:9], v[36:37], 0 neg_lo:[1,1] neg_hi:[1,1]
	ds_write_b128 v7, v[12:15] offset:2048
	v_pk_mov_b32 v[8:9], v[36:37], v[8:9] op_sel:[1,0]
	s_nop 0
	v_pk_mul_f32 v[8:9], v[20:21], v[8:9] op_sel:[1,0]
	s_nop 0
	v_pk_fma_f32 v[22:23], v[36:37], v[20:21], v[8:9] op_sel_hi:[1,0,1] neg_lo:[1,0,0] neg_hi:[1,0,0]
	ds_write_b128 v3, v[20:23] offset:2048
.LBB253_14:
	s_or_b64 exec, exec, s[6:7]
	v_cmp_gt_u32_e32 vcc, 64, v0
	s_waitcnt lgkmcnt(0)
	s_barrier
	s_and_saveexec_b64 s[6:7], vcc
	s_cbranch_execz .LBB253_16
; %bb.15:
	v_lshlrev_b32_e32 v3, 5, v0
	v_add_u32_e32 v7, 0x1000, v3
	ds_read2_b64 v[8:11], v7 offset1:2
	v_add_u32_e32 v45, 0x800, v3
	ds_read2_b64 v[12:15], v45 offset0:1 offset1:3
	s_mov_b64 s[8:9], 0x3f800000
	v_add_u32_e32 v48, 0x1800, v3
	s_waitcnt lgkmcnt(1)
	v_xor_b32_e32 v16, 0x80000000, v11
	v_mov_b32_e32 v17, v10
	s_waitcnt lgkmcnt(0)
	v_pk_mul_f32 v[16:17], v[12:13], v[16:17] op_sel:[1,0]
	ds_read_b64 v[36:37], v3
	v_pk_fma_f32 v[16:17], v[10:11], v[12:13], v[16:17] op_sel_hi:[1,0,1]
	s_waitcnt lgkmcnt(0)
	v_xor_b32_e32 v40, 0x80000000, v37
	v_pk_add_f32 v[24:25], v[16:17], s[8:9] neg_lo:[1,0] neg_hi:[1,0]
	v_mov_b32_e32 v41, v36
	v_mul_f32_e32 v20, v25, v25
	v_fmac_f32_e32 v20, v24, v24
	v_div_scale_f32 v16, s[8:9], v20, v20, 1.0
	v_rcp_f32_e32 v21, v16
	v_fma_f32 v27, v24, 0, -v25
	v_fmac_f32_e32 v24, 0, v25
	v_mov_b32_e32 v25, v27
	v_fma_f32 v17, -v16, v21, 1.0
	v_fmac_f32_e32 v21, v17, v21
	v_div_scale_f32 v17, vcc, 1.0, v20, 1.0
	v_mul_f32_e32 v22, v17, v21
	v_fma_f32 v18, -v16, v22, v17
	v_fmac_f32_e32 v22, v18, v21
	v_fma_f32 v23, -v16, v22, v17
	v_add_u32_e32 v16, 0x2010, v3
	ds_read2_b64 v[16:19], v16 offset1:255
	v_div_fmas_f32 v21, v23, v21, v22
	v_div_fixup_f32 v26, v21, v20, 1.0
	v_pk_mul_f32 v[46:47], v[24:25], v[26:27] op_sel_hi:[1,0]
	s_waitcnt lgkmcnt(0)
	v_pk_mul_f32 v[20:21], v[16:17], v[12:13] op_sel:[1,1] op_sel_hi:[1,0] neg_lo:[0,1]
	s_nop 0
	v_pk_fma_f32 v[20:21], v[12:13], v[16:17], v[20:21] op_sel_hi:[1,0,1]
	s_nop 0
	v_pk_add_f32 v[28:29], v[18:19], v[20:21] neg_lo:[0,1] neg_hi:[0,1]
	v_pk_mul_f32 v[20:21], v[10:11], v[18:19] op_sel:[1,1] op_sel_hi:[1,0] neg_lo:[0,1]
	v_xor_b32_e32 v30, 0x80000000, v29
	v_pk_fma_f32 v[18:19], v[18:19], v[10:11], v[20:21] op_sel_hi:[1,0,1]
	v_mov_b32_e32 v31, v28
	v_pk_add_f32 v[32:33], v[16:17], v[18:19] neg_lo:[0,1] neg_hi:[0,1]
	ds_read2_b64 v[16:19], v48 offset0:1 offset1:3
	ds_read2_b64 v[20:23], v3 offset1:2
	ds_read_b64 v[38:39], v3 offset:10264
	v_pk_mul_f32 v[24:25], v[46:47], v[30:31] op_sel:[1,0]
	v_xor_b32_e32 v34, 0x80000000, v33
	v_mov_b32_e32 v35, v32
	s_waitcnt lgkmcnt(1)
	v_mul_f32_e64 v44, v23, -v13
	v_fmac_f32_e32 v44, v12, v22
	v_mul_f32_e32 v12, v23, v12
	v_fmac_f32_e32 v12, v13, v22
	v_add_u32_e32 v13, 0x1810, v3
	v_pk_fma_f32 v[28:29], v[28:29], v[46:47], v[24:25] op_sel_hi:[1,0,1]
	ds_read2_b64 v[24:27], v13 offset0:1 offset1:254
	v_pk_mul_f32 v[30:31], v[46:47], v[34:35] op_sel:[1,0]
	v_xor_b32_e32 v42, 0x80000000, v19
	v_pk_fma_f32 v[30:31], v[32:33], v[46:47], v[30:31] op_sel_hi:[1,0,1]
	v_mov_b32_e32 v43, v18
	v_pk_mul_f32 v[32:33], v[30:31], v[40:41] op_sel:[1,0]
	v_add_u32_e32 v13, 0x2000, v3
	v_pk_fma_f32 v[32:33], v[36:37], v[30:31], v[32:33] op_sel_hi:[1,0,1]
	s_waitcnt lgkmcnt(0)
	v_pk_add_f32 v[26:27], v[26:27], v[32:33] neg_lo:[0,1] neg_hi:[0,1]
	ds_write2_b64 v13, v[26:27], v[30:31] offset1:2
	v_pk_mul_f32 v[26:27], v[28:29], v[42:43] op_sel:[1,0]
	v_add_u32_e32 v13, 0x2800, v3
	v_pk_fma_f32 v[18:19], v[18:19], v[28:29], v[26:27] op_sel_hi:[1,0,1]
	s_nop 0
	v_pk_add_f32 v[18:19], v[38:39], v[18:19] neg_lo:[0,1] neg_hi:[0,1]
	ds_write2_b64 v13, v[28:29], v[18:19] offset0:1 offset1:3
	v_pk_add_f32 v[18:19], v[46:47], 0 neg_lo:[1,1] neg_hi:[1,1]
	v_mul_f32_e32 v28, v11, v16
	v_pk_mov_b32 v[26:27], v[46:47], v[18:19] op_sel:[1,0]
	v_pk_mov_b32 v[18:19], v[18:19], v[46:47] op_sel:[1,0]
	v_fmac_f32_e32 v28, v17, v10
	v_pk_mul_f32 v[18:19], v[22:23], v[18:19] op_sel:[1,0]
	v_pk_mul_f32 v[12:13], v[26:27], v[12:13] op_sel_hi:[1,0]
	v_pk_fma_f32 v[18:19], v[46:47], v[22:23], v[18:19] op_sel_hi:[1,0,1]
	v_mul_f32_e64 v22, v11, -v17
	v_fmac_f32_e32 v22, v16, v10
	v_pk_mul_f32 v[26:27], v[26:27], v[28:29] op_sel_hi:[1,0]
	v_xor_b32_e32 v10, 0x80000000, v47
	v_pk_fma_f32 v[22:23], v[46:47], v[22:23], v[26:27] op_sel_hi:[1,0,1] neg_lo:[1,0,0] neg_hi:[1,0,0]
	v_mov_b32_e32 v11, v46
	v_pk_mul_f32 v[26:27], v[22:23], v[20:21] op_sel:[1,1] op_sel_hi:[1,0] neg_lo:[0,1]
	v_pk_mul_f32 v[10:11], v[16:17], v[10:11] op_sel:[1,0]
	v_pk_fma_f32 v[26:27], v[20:21], v[22:23], v[26:27] op_sel_hi:[1,0,1]
	v_pk_fma_f32 v[10:11], v[46:47], v[16:17], v[10:11] op_sel_hi:[1,0,1]
	v_pk_add_f32 v[16:17], v[20:21], 0 neg_lo:[1,1] neg_hi:[1,1]
	v_pk_add_f32 v[8:9], v[8:9], v[26:27] neg_lo:[0,1] neg_hi:[0,1]
	ds_write2_b64 v7, v[8:9], v[22:23] offset1:2
	v_pk_mov_b32 v[8:9], v[20:21], v[16:17] op_sel:[1,0]
	v_pk_fma_f32 v[12:13], v[46:47], v[44:45], v[12:13] op_sel_hi:[1,0,1] neg_lo:[1,0,0] neg_hi:[1,0,0]
	v_pk_mul_f32 v[8:9], v[18:19], v[8:9] op_sel:[1,0]
	s_nop 0
	v_pk_fma_f32 v[8:9], v[20:21], v[18:19], v[8:9] op_sel_hi:[1,0,1] neg_lo:[1,0,0] neg_hi:[1,0,0]
	ds_write2_b64 v3, v[8:9], v[18:19] offset1:2
	v_xor_b32_e32 v8, 0x80000000, v13
	v_mov_b32_e32 v9, v12
	v_pk_mul_f32 v[8:9], v[24:25], v[8:9] op_sel:[1,0]
	s_nop 0
	v_pk_fma_f32 v[8:9], v[12:13], v[24:25], v[8:9] op_sel_hi:[1,0,1]
	s_nop 0
	v_pk_add_f32 v[8:9], v[14:15], v[8:9] neg_lo:[0,1] neg_hi:[0,1]
	ds_write2_b64 v45, v[12:13], v[8:9] offset0:1 offset1:3
	v_pk_add_f32 v[8:9], v[24:25], 0 neg_lo:[1,1] neg_hi:[1,1]
	s_nop 0
	v_pk_mov_b32 v[8:9], v[24:25], v[8:9] op_sel:[1,0]
	s_nop 0
	v_pk_mul_f32 v[8:9], v[10:11], v[8:9] op_sel:[1,0]
	s_nop 0
	v_pk_fma_f32 v[8:9], v[24:25], v[10:11], v[8:9] op_sel_hi:[1,0,1] neg_lo:[1,0,0] neg_hi:[1,0,0]
	ds_write2_b64 v48, v[10:11], v[8:9] offset0:1 offset1:3
.LBB253_16:
	s_or_b64 exec, exec, s[6:7]
	v_cmp_gt_u32_e32 vcc, 32, v0
	s_waitcnt lgkmcnt(0)
	s_barrier
	s_and_saveexec_b64 s[6:7], vcc
	s_cbranch_execz .LBB253_18
; %bb.17:
	v_lshlrev_b32_e32 v3, 6, v0
	v_add_u32_e32 v7, 0x1000, v3
	ds_read2_b64 v[8:11], v7 offset1:4
	v_add_u32_e32 v45, 0x800, v3
	ds_read2_b64 v[12:15], v45 offset0:3 offset1:7
	s_mov_b64 s[8:9], 0x3f800000
	v_add_u32_e32 v48, 0x1800, v3
	s_waitcnt lgkmcnt(1)
	v_xor_b32_e32 v16, 0x80000000, v11
	v_mov_b32_e32 v17, v10
	s_waitcnt lgkmcnt(0)
	v_pk_mul_f32 v[16:17], v[12:13], v[16:17] op_sel:[1,0]
	ds_read_b64 v[36:37], v3
	v_pk_fma_f32 v[16:17], v[10:11], v[12:13], v[16:17] op_sel_hi:[1,0,1]
	s_waitcnt lgkmcnt(0)
	v_xor_b32_e32 v40, 0x80000000, v37
	v_pk_add_f32 v[24:25], v[16:17], s[8:9] neg_lo:[1,0] neg_hi:[1,0]
	v_mov_b32_e32 v41, v36
	v_mul_f32_e32 v20, v25, v25
	v_fmac_f32_e32 v20, v24, v24
	v_div_scale_f32 v16, s[8:9], v20, v20, 1.0
	v_rcp_f32_e32 v21, v16
	v_fma_f32 v27, v24, 0, -v25
	v_fmac_f32_e32 v24, 0, v25
	v_mov_b32_e32 v25, v27
	v_fma_f32 v17, -v16, v21, 1.0
	v_fmac_f32_e32 v21, v17, v21
	v_div_scale_f32 v17, vcc, 1.0, v20, 1.0
	v_mul_f32_e32 v22, v17, v21
	v_fma_f32 v18, -v16, v22, v17
	v_fmac_f32_e32 v22, v18, v21
	v_fma_f32 v23, -v16, v22, v17
	v_add_u32_e32 v16, 0x2020, v3
	ds_read2_b64 v[16:19], v16 offset1:255
	v_div_fmas_f32 v21, v23, v21, v22
	v_div_fixup_f32 v26, v21, v20, 1.0
	v_pk_mul_f32 v[46:47], v[24:25], v[26:27] op_sel_hi:[1,0]
	s_waitcnt lgkmcnt(0)
	v_pk_mul_f32 v[20:21], v[16:17], v[12:13] op_sel:[1,1] op_sel_hi:[1,0] neg_lo:[0,1]
	s_nop 0
	v_pk_fma_f32 v[20:21], v[12:13], v[16:17], v[20:21] op_sel_hi:[1,0,1]
	s_nop 0
	v_pk_add_f32 v[28:29], v[18:19], v[20:21] neg_lo:[0,1] neg_hi:[0,1]
	v_pk_mul_f32 v[20:21], v[10:11], v[18:19] op_sel:[1,1] op_sel_hi:[1,0] neg_lo:[0,1]
	v_xor_b32_e32 v30, 0x80000000, v29
	v_pk_fma_f32 v[18:19], v[18:19], v[10:11], v[20:21] op_sel_hi:[1,0,1]
	v_mov_b32_e32 v31, v28
	v_pk_add_f32 v[32:33], v[16:17], v[18:19] neg_lo:[0,1] neg_hi:[0,1]
	ds_read2_b64 v[16:19], v48 offset0:3 offset1:7
	ds_read2_b64 v[20:23], v3 offset1:4
	ds_read_b64 v[38:39], v3 offset:10296
	v_pk_mul_f32 v[24:25], v[46:47], v[30:31] op_sel:[1,0]
	v_xor_b32_e32 v34, 0x80000000, v33
	v_mov_b32_e32 v35, v32
	s_waitcnt lgkmcnt(1)
	v_mul_f32_e64 v44, v23, -v13
	v_fmac_f32_e32 v44, v12, v22
	v_mul_f32_e32 v12, v23, v12
	v_fmac_f32_e32 v12, v13, v22
	v_add_u32_e32 v13, 0x1820, v3
	v_pk_fma_f32 v[28:29], v[28:29], v[46:47], v[24:25] op_sel_hi:[1,0,1]
	ds_read2_b64 v[24:27], v13 offset0:3 offset1:252
	v_pk_mul_f32 v[30:31], v[46:47], v[34:35] op_sel:[1,0]
	v_xor_b32_e32 v42, 0x80000000, v19
	v_pk_fma_f32 v[30:31], v[32:33], v[46:47], v[30:31] op_sel_hi:[1,0,1]
	v_mov_b32_e32 v43, v18
	v_pk_mul_f32 v[32:33], v[30:31], v[40:41] op_sel:[1,0]
	v_add_u32_e32 v13, 0x2000, v3
	v_pk_fma_f32 v[32:33], v[36:37], v[30:31], v[32:33] op_sel_hi:[1,0,1]
	s_waitcnt lgkmcnt(0)
	v_pk_add_f32 v[26:27], v[26:27], v[32:33] neg_lo:[0,1] neg_hi:[0,1]
	ds_write2_b64 v13, v[26:27], v[30:31] offset1:4
	v_pk_mul_f32 v[26:27], v[28:29], v[42:43] op_sel:[1,0]
	v_add_u32_e32 v13, 0x2800, v3
	v_pk_fma_f32 v[18:19], v[18:19], v[28:29], v[26:27] op_sel_hi:[1,0,1]
	s_nop 0
	v_pk_add_f32 v[18:19], v[38:39], v[18:19] neg_lo:[0,1] neg_hi:[0,1]
	ds_write2_b64 v13, v[28:29], v[18:19] offset0:3 offset1:7
	v_pk_add_f32 v[18:19], v[46:47], 0 neg_lo:[1,1] neg_hi:[1,1]
	v_mul_f32_e32 v28, v11, v16
	v_pk_mov_b32 v[26:27], v[46:47], v[18:19] op_sel:[1,0]
	v_pk_mov_b32 v[18:19], v[18:19], v[46:47] op_sel:[1,0]
	v_fmac_f32_e32 v28, v17, v10
	v_pk_mul_f32 v[18:19], v[22:23], v[18:19] op_sel:[1,0]
	v_pk_mul_f32 v[12:13], v[26:27], v[12:13] op_sel_hi:[1,0]
	v_pk_fma_f32 v[18:19], v[46:47], v[22:23], v[18:19] op_sel_hi:[1,0,1]
	v_mul_f32_e64 v22, v11, -v17
	v_fmac_f32_e32 v22, v16, v10
	v_pk_mul_f32 v[26:27], v[26:27], v[28:29] op_sel_hi:[1,0]
	v_xor_b32_e32 v10, 0x80000000, v47
	v_pk_fma_f32 v[22:23], v[46:47], v[22:23], v[26:27] op_sel_hi:[1,0,1] neg_lo:[1,0,0] neg_hi:[1,0,0]
	v_mov_b32_e32 v11, v46
	v_pk_mul_f32 v[26:27], v[22:23], v[20:21] op_sel:[1,1] op_sel_hi:[1,0] neg_lo:[0,1]
	v_pk_mul_f32 v[10:11], v[16:17], v[10:11] op_sel:[1,0]
	v_pk_fma_f32 v[26:27], v[20:21], v[22:23], v[26:27] op_sel_hi:[1,0,1]
	v_pk_fma_f32 v[10:11], v[46:47], v[16:17], v[10:11] op_sel_hi:[1,0,1]
	v_pk_add_f32 v[16:17], v[20:21], 0 neg_lo:[1,1] neg_hi:[1,1]
	v_pk_add_f32 v[8:9], v[8:9], v[26:27] neg_lo:[0,1] neg_hi:[0,1]
	ds_write2_b64 v7, v[8:9], v[22:23] offset1:4
	v_pk_mov_b32 v[8:9], v[20:21], v[16:17] op_sel:[1,0]
	v_pk_fma_f32 v[12:13], v[46:47], v[44:45], v[12:13] op_sel_hi:[1,0,1] neg_lo:[1,0,0] neg_hi:[1,0,0]
	v_pk_mul_f32 v[8:9], v[18:19], v[8:9] op_sel:[1,0]
	s_nop 0
	v_pk_fma_f32 v[8:9], v[20:21], v[18:19], v[8:9] op_sel_hi:[1,0,1] neg_lo:[1,0,0] neg_hi:[1,0,0]
	ds_write2_b64 v3, v[8:9], v[18:19] offset1:4
	v_xor_b32_e32 v8, 0x80000000, v13
	v_mov_b32_e32 v9, v12
	v_pk_mul_f32 v[8:9], v[24:25], v[8:9] op_sel:[1,0]
	s_nop 0
	v_pk_fma_f32 v[8:9], v[12:13], v[24:25], v[8:9] op_sel_hi:[1,0,1]
	s_nop 0
	v_pk_add_f32 v[8:9], v[14:15], v[8:9] neg_lo:[0,1] neg_hi:[0,1]
	ds_write2_b64 v45, v[12:13], v[8:9] offset0:3 offset1:7
	v_pk_add_f32 v[8:9], v[24:25], 0 neg_lo:[1,1] neg_hi:[1,1]
	s_nop 0
	v_pk_mov_b32 v[8:9], v[24:25], v[8:9] op_sel:[1,0]
	s_nop 0
	v_pk_mul_f32 v[8:9], v[10:11], v[8:9] op_sel:[1,0]
	s_nop 0
	v_pk_fma_f32 v[8:9], v[24:25], v[10:11], v[8:9] op_sel_hi:[1,0,1] neg_lo:[1,0,0] neg_hi:[1,0,0]
	ds_write2_b64 v48, v[10:11], v[8:9] offset0:3 offset1:7
.LBB253_18:
	s_or_b64 exec, exec, s[6:7]
	v_cmp_gt_u32_e32 vcc, 16, v0
	s_waitcnt lgkmcnt(0)
	s_barrier
	s_and_saveexec_b64 s[6:7], vcc
	s_cbranch_execz .LBB253_20
; %bb.19:
	v_lshlrev_b32_e32 v3, 7, v0
	v_add_u32_e32 v7, 0x1000, v3
	ds_read2_b64 v[8:11], v7 offset1:8
	v_add_u32_e32 v45, 0x800, v3
	ds_read2_b64 v[12:15], v45 offset0:7 offset1:15
	s_mov_b64 s[8:9], 0x3f800000
	v_add_u32_e32 v48, 0x1800, v3
	s_waitcnt lgkmcnt(1)
	v_xor_b32_e32 v16, 0x80000000, v11
	v_mov_b32_e32 v17, v10
	s_waitcnt lgkmcnt(0)
	v_pk_mul_f32 v[16:17], v[12:13], v[16:17] op_sel:[1,0]
	ds_read_b64 v[36:37], v3
	v_pk_fma_f32 v[16:17], v[10:11], v[12:13], v[16:17] op_sel_hi:[1,0,1]
	s_waitcnt lgkmcnt(0)
	v_xor_b32_e32 v40, 0x80000000, v37
	v_pk_add_f32 v[24:25], v[16:17], s[8:9] neg_lo:[1,0] neg_hi:[1,0]
	v_mov_b32_e32 v41, v36
	v_mul_f32_e32 v20, v25, v25
	v_fmac_f32_e32 v20, v24, v24
	v_div_scale_f32 v16, s[8:9], v20, v20, 1.0
	v_rcp_f32_e32 v21, v16
	v_fma_f32 v27, v24, 0, -v25
	v_fmac_f32_e32 v24, 0, v25
	v_mov_b32_e32 v25, v27
	v_fma_f32 v17, -v16, v21, 1.0
	v_fmac_f32_e32 v21, v17, v21
	v_div_scale_f32 v17, vcc, 1.0, v20, 1.0
	v_mul_f32_e32 v22, v17, v21
	v_fma_f32 v18, -v16, v22, v17
	v_fmac_f32_e32 v22, v18, v21
	v_fma_f32 v23, -v16, v22, v17
	v_add_u32_e32 v16, 0x2040, v3
	ds_read2_b64 v[16:19], v16 offset1:255
	v_div_fmas_f32 v21, v23, v21, v22
	v_div_fixup_f32 v26, v21, v20, 1.0
	v_pk_mul_f32 v[46:47], v[24:25], v[26:27] op_sel_hi:[1,0]
	s_waitcnt lgkmcnt(0)
	v_pk_mul_f32 v[20:21], v[16:17], v[12:13] op_sel:[1,1] op_sel_hi:[1,0] neg_lo:[0,1]
	s_nop 0
	v_pk_fma_f32 v[20:21], v[12:13], v[16:17], v[20:21] op_sel_hi:[1,0,1]
	s_nop 0
	v_pk_add_f32 v[28:29], v[18:19], v[20:21] neg_lo:[0,1] neg_hi:[0,1]
	v_pk_mul_f32 v[20:21], v[10:11], v[18:19] op_sel:[1,1] op_sel_hi:[1,0] neg_lo:[0,1]
	v_xor_b32_e32 v30, 0x80000000, v29
	v_pk_fma_f32 v[18:19], v[18:19], v[10:11], v[20:21] op_sel_hi:[1,0,1]
	v_mov_b32_e32 v31, v28
	v_pk_add_f32 v[32:33], v[16:17], v[18:19] neg_lo:[0,1] neg_hi:[0,1]
	ds_read2_b64 v[16:19], v48 offset0:7 offset1:15
	ds_read2_b64 v[20:23], v3 offset1:8
	ds_read_b64 v[38:39], v3 offset:10360
	v_pk_mul_f32 v[24:25], v[46:47], v[30:31] op_sel:[1,0]
	v_xor_b32_e32 v34, 0x80000000, v33
	v_mov_b32_e32 v35, v32
	s_waitcnt lgkmcnt(1)
	v_mul_f32_e64 v44, v23, -v13
	v_fmac_f32_e32 v44, v12, v22
	v_mul_f32_e32 v12, v23, v12
	v_fmac_f32_e32 v12, v13, v22
	v_add_u32_e32 v13, 0x1840, v3
	v_pk_fma_f32 v[28:29], v[28:29], v[46:47], v[24:25] op_sel_hi:[1,0,1]
	ds_read2_b64 v[24:27], v13 offset0:7 offset1:248
	v_pk_mul_f32 v[30:31], v[46:47], v[34:35] op_sel:[1,0]
	v_xor_b32_e32 v42, 0x80000000, v19
	v_pk_fma_f32 v[30:31], v[32:33], v[46:47], v[30:31] op_sel_hi:[1,0,1]
	v_mov_b32_e32 v43, v18
	v_pk_mul_f32 v[32:33], v[30:31], v[40:41] op_sel:[1,0]
	v_add_u32_e32 v13, 0x2000, v3
	v_pk_fma_f32 v[32:33], v[36:37], v[30:31], v[32:33] op_sel_hi:[1,0,1]
	s_waitcnt lgkmcnt(0)
	v_pk_add_f32 v[26:27], v[26:27], v[32:33] neg_lo:[0,1] neg_hi:[0,1]
	ds_write2_b64 v13, v[26:27], v[30:31] offset1:8
	v_pk_mul_f32 v[26:27], v[28:29], v[42:43] op_sel:[1,0]
	v_add_u32_e32 v13, 0x2800, v3
	v_pk_fma_f32 v[18:19], v[18:19], v[28:29], v[26:27] op_sel_hi:[1,0,1]
	s_nop 0
	v_pk_add_f32 v[18:19], v[38:39], v[18:19] neg_lo:[0,1] neg_hi:[0,1]
	ds_write2_b64 v13, v[28:29], v[18:19] offset0:7 offset1:15
	v_pk_add_f32 v[18:19], v[46:47], 0 neg_lo:[1,1] neg_hi:[1,1]
	v_mul_f32_e32 v28, v11, v16
	v_pk_mov_b32 v[26:27], v[46:47], v[18:19] op_sel:[1,0]
	v_pk_mov_b32 v[18:19], v[18:19], v[46:47] op_sel:[1,0]
	v_fmac_f32_e32 v28, v17, v10
	v_pk_mul_f32 v[18:19], v[22:23], v[18:19] op_sel:[1,0]
	v_pk_mul_f32 v[12:13], v[26:27], v[12:13] op_sel_hi:[1,0]
	v_pk_fma_f32 v[18:19], v[46:47], v[22:23], v[18:19] op_sel_hi:[1,0,1]
	v_mul_f32_e64 v22, v11, -v17
	v_fmac_f32_e32 v22, v16, v10
	v_pk_mul_f32 v[26:27], v[26:27], v[28:29] op_sel_hi:[1,0]
	v_xor_b32_e32 v10, 0x80000000, v47
	v_pk_fma_f32 v[22:23], v[46:47], v[22:23], v[26:27] op_sel_hi:[1,0,1] neg_lo:[1,0,0] neg_hi:[1,0,0]
	v_mov_b32_e32 v11, v46
	v_pk_mul_f32 v[26:27], v[22:23], v[20:21] op_sel:[1,1] op_sel_hi:[1,0] neg_lo:[0,1]
	v_pk_mul_f32 v[10:11], v[16:17], v[10:11] op_sel:[1,0]
	v_pk_fma_f32 v[26:27], v[20:21], v[22:23], v[26:27] op_sel_hi:[1,0,1]
	v_pk_fma_f32 v[10:11], v[46:47], v[16:17], v[10:11] op_sel_hi:[1,0,1]
	v_pk_add_f32 v[16:17], v[20:21], 0 neg_lo:[1,1] neg_hi:[1,1]
	v_pk_add_f32 v[8:9], v[8:9], v[26:27] neg_lo:[0,1] neg_hi:[0,1]
	ds_write2_b64 v7, v[8:9], v[22:23] offset1:8
	v_pk_mov_b32 v[8:9], v[20:21], v[16:17] op_sel:[1,0]
	v_pk_fma_f32 v[12:13], v[46:47], v[44:45], v[12:13] op_sel_hi:[1,0,1] neg_lo:[1,0,0] neg_hi:[1,0,0]
	v_pk_mul_f32 v[8:9], v[18:19], v[8:9] op_sel:[1,0]
	s_nop 0
	v_pk_fma_f32 v[8:9], v[20:21], v[18:19], v[8:9] op_sel_hi:[1,0,1] neg_lo:[1,0,0] neg_hi:[1,0,0]
	ds_write2_b64 v3, v[8:9], v[18:19] offset1:8
	v_xor_b32_e32 v8, 0x80000000, v13
	v_mov_b32_e32 v9, v12
	v_pk_mul_f32 v[8:9], v[24:25], v[8:9] op_sel:[1,0]
	s_nop 0
	v_pk_fma_f32 v[8:9], v[12:13], v[24:25], v[8:9] op_sel_hi:[1,0,1]
	s_nop 0
	v_pk_add_f32 v[8:9], v[14:15], v[8:9] neg_lo:[0,1] neg_hi:[0,1]
	ds_write2_b64 v45, v[12:13], v[8:9] offset0:7 offset1:15
	v_pk_add_f32 v[8:9], v[24:25], 0 neg_lo:[1,1] neg_hi:[1,1]
	s_nop 0
	v_pk_mov_b32 v[8:9], v[24:25], v[8:9] op_sel:[1,0]
	s_nop 0
	v_pk_mul_f32 v[8:9], v[10:11], v[8:9] op_sel:[1,0]
	s_nop 0
	v_pk_fma_f32 v[8:9], v[24:25], v[10:11], v[8:9] op_sel_hi:[1,0,1] neg_lo:[1,0,0] neg_hi:[1,0,0]
	ds_write2_b64 v48, v[10:11], v[8:9] offset0:7 offset1:15
.LBB253_20:
	s_or_b64 exec, exec, s[6:7]
	v_cmp_gt_u32_e32 vcc, 8, v0
	s_waitcnt lgkmcnt(0)
	s_barrier
	s_and_saveexec_b64 s[6:7], vcc
	s_cbranch_execz .LBB253_22
; %bb.21:
	v_lshlrev_b32_e32 v3, 8, v0
	v_add_u32_e32 v7, 0x1000, v3
	ds_read2_b64 v[8:11], v7 offset1:16
	v_add_u32_e32 v45, 0x800, v3
	ds_read2_b64 v[12:15], v45 offset0:15 offset1:31
	s_mov_b64 s[8:9], 0x3f800000
	v_add_u32_e32 v48, 0x1800, v3
	s_waitcnt lgkmcnt(1)
	v_xor_b32_e32 v16, 0x80000000, v11
	v_mov_b32_e32 v17, v10
	s_waitcnt lgkmcnt(0)
	v_pk_mul_f32 v[16:17], v[12:13], v[16:17] op_sel:[1,0]
	ds_read_b64 v[36:37], v3
	v_pk_fma_f32 v[16:17], v[10:11], v[12:13], v[16:17] op_sel_hi:[1,0,1]
	s_waitcnt lgkmcnt(0)
	v_xor_b32_e32 v40, 0x80000000, v37
	v_pk_add_f32 v[24:25], v[16:17], s[8:9] neg_lo:[1,0] neg_hi:[1,0]
	v_mov_b32_e32 v41, v36
	v_mul_f32_e32 v20, v25, v25
	v_fmac_f32_e32 v20, v24, v24
	v_div_scale_f32 v16, s[8:9], v20, v20, 1.0
	v_rcp_f32_e32 v21, v16
	v_fma_f32 v27, v24, 0, -v25
	v_fmac_f32_e32 v24, 0, v25
	v_mov_b32_e32 v25, v27
	v_fma_f32 v17, -v16, v21, 1.0
	v_fmac_f32_e32 v21, v17, v21
	v_div_scale_f32 v17, vcc, 1.0, v20, 1.0
	v_mul_f32_e32 v22, v17, v21
	v_fma_f32 v18, -v16, v22, v17
	v_fmac_f32_e32 v22, v18, v21
	v_fma_f32 v23, -v16, v22, v17
	v_add_u32_e32 v16, 0x2080, v3
	ds_read2_b64 v[16:19], v16 offset1:255
	v_div_fmas_f32 v21, v23, v21, v22
	v_div_fixup_f32 v26, v21, v20, 1.0
	v_pk_mul_f32 v[46:47], v[24:25], v[26:27] op_sel_hi:[1,0]
	s_waitcnt lgkmcnt(0)
	v_pk_mul_f32 v[20:21], v[16:17], v[12:13] op_sel:[1,1] op_sel_hi:[1,0] neg_lo:[0,1]
	s_nop 0
	v_pk_fma_f32 v[20:21], v[12:13], v[16:17], v[20:21] op_sel_hi:[1,0,1]
	s_nop 0
	v_pk_add_f32 v[28:29], v[18:19], v[20:21] neg_lo:[0,1] neg_hi:[0,1]
	v_pk_mul_f32 v[20:21], v[10:11], v[18:19] op_sel:[1,1] op_sel_hi:[1,0] neg_lo:[0,1]
	v_xor_b32_e32 v30, 0x80000000, v29
	v_pk_fma_f32 v[18:19], v[18:19], v[10:11], v[20:21] op_sel_hi:[1,0,1]
	v_mov_b32_e32 v31, v28
	v_pk_add_f32 v[32:33], v[16:17], v[18:19] neg_lo:[0,1] neg_hi:[0,1]
	ds_read2_b64 v[16:19], v48 offset0:15 offset1:31
	ds_read2_b64 v[20:23], v3 offset1:16
	ds_read_b64 v[38:39], v3 offset:10488
	v_pk_mul_f32 v[24:25], v[46:47], v[30:31] op_sel:[1,0]
	v_xor_b32_e32 v34, 0x80000000, v33
	v_mov_b32_e32 v35, v32
	s_waitcnt lgkmcnt(1)
	v_mul_f32_e64 v44, v23, -v13
	v_fmac_f32_e32 v44, v12, v22
	v_mul_f32_e32 v12, v23, v12
	v_fmac_f32_e32 v12, v13, v22
	v_add_u32_e32 v13, 0x1880, v3
	v_pk_fma_f32 v[28:29], v[28:29], v[46:47], v[24:25] op_sel_hi:[1,0,1]
	ds_read2_b64 v[24:27], v13 offset0:15 offset1:240
	v_pk_mul_f32 v[30:31], v[46:47], v[34:35] op_sel:[1,0]
	v_xor_b32_e32 v42, 0x80000000, v19
	v_pk_fma_f32 v[30:31], v[32:33], v[46:47], v[30:31] op_sel_hi:[1,0,1]
	v_mov_b32_e32 v43, v18
	v_pk_mul_f32 v[32:33], v[30:31], v[40:41] op_sel:[1,0]
	v_add_u32_e32 v13, 0x2000, v3
	v_pk_fma_f32 v[32:33], v[36:37], v[30:31], v[32:33] op_sel_hi:[1,0,1]
	s_waitcnt lgkmcnt(0)
	v_pk_add_f32 v[26:27], v[26:27], v[32:33] neg_lo:[0,1] neg_hi:[0,1]
	ds_write2_b64 v13, v[26:27], v[30:31] offset1:16
	v_pk_mul_f32 v[26:27], v[28:29], v[42:43] op_sel:[1,0]
	v_add_u32_e32 v13, 0x2800, v3
	v_pk_fma_f32 v[18:19], v[18:19], v[28:29], v[26:27] op_sel_hi:[1,0,1]
	s_nop 0
	v_pk_add_f32 v[18:19], v[38:39], v[18:19] neg_lo:[0,1] neg_hi:[0,1]
	ds_write2_b64 v13, v[28:29], v[18:19] offset0:15 offset1:31
	v_pk_add_f32 v[18:19], v[46:47], 0 neg_lo:[1,1] neg_hi:[1,1]
	v_mul_f32_e32 v28, v11, v16
	v_pk_mov_b32 v[26:27], v[46:47], v[18:19] op_sel:[1,0]
	v_pk_mov_b32 v[18:19], v[18:19], v[46:47] op_sel:[1,0]
	v_fmac_f32_e32 v28, v17, v10
	v_pk_mul_f32 v[18:19], v[22:23], v[18:19] op_sel:[1,0]
	v_pk_mul_f32 v[12:13], v[26:27], v[12:13] op_sel_hi:[1,0]
	v_pk_fma_f32 v[18:19], v[46:47], v[22:23], v[18:19] op_sel_hi:[1,0,1]
	v_mul_f32_e64 v22, v11, -v17
	v_fmac_f32_e32 v22, v16, v10
	v_pk_mul_f32 v[26:27], v[26:27], v[28:29] op_sel_hi:[1,0]
	v_xor_b32_e32 v10, 0x80000000, v47
	v_pk_fma_f32 v[22:23], v[46:47], v[22:23], v[26:27] op_sel_hi:[1,0,1] neg_lo:[1,0,0] neg_hi:[1,0,0]
	v_mov_b32_e32 v11, v46
	v_pk_mul_f32 v[26:27], v[22:23], v[20:21] op_sel:[1,1] op_sel_hi:[1,0] neg_lo:[0,1]
	v_pk_mul_f32 v[10:11], v[16:17], v[10:11] op_sel:[1,0]
	v_pk_fma_f32 v[26:27], v[20:21], v[22:23], v[26:27] op_sel_hi:[1,0,1]
	v_pk_fma_f32 v[10:11], v[46:47], v[16:17], v[10:11] op_sel_hi:[1,0,1]
	v_pk_add_f32 v[16:17], v[20:21], 0 neg_lo:[1,1] neg_hi:[1,1]
	v_pk_add_f32 v[8:9], v[8:9], v[26:27] neg_lo:[0,1] neg_hi:[0,1]
	ds_write2_b64 v7, v[8:9], v[22:23] offset1:16
	v_pk_mov_b32 v[8:9], v[20:21], v[16:17] op_sel:[1,0]
	v_pk_fma_f32 v[12:13], v[46:47], v[44:45], v[12:13] op_sel_hi:[1,0,1] neg_lo:[1,0,0] neg_hi:[1,0,0]
	v_pk_mul_f32 v[8:9], v[18:19], v[8:9] op_sel:[1,0]
	s_nop 0
	v_pk_fma_f32 v[8:9], v[20:21], v[18:19], v[8:9] op_sel_hi:[1,0,1] neg_lo:[1,0,0] neg_hi:[1,0,0]
	ds_write2_b64 v3, v[8:9], v[18:19] offset1:16
	v_xor_b32_e32 v8, 0x80000000, v13
	v_mov_b32_e32 v9, v12
	v_pk_mul_f32 v[8:9], v[24:25], v[8:9] op_sel:[1,0]
	s_nop 0
	v_pk_fma_f32 v[8:9], v[12:13], v[24:25], v[8:9] op_sel_hi:[1,0,1]
	s_nop 0
	v_pk_add_f32 v[8:9], v[14:15], v[8:9] neg_lo:[0,1] neg_hi:[0,1]
	ds_write2_b64 v45, v[12:13], v[8:9] offset0:15 offset1:31
	v_pk_add_f32 v[8:9], v[24:25], 0 neg_lo:[1,1] neg_hi:[1,1]
	s_nop 0
	v_pk_mov_b32 v[8:9], v[24:25], v[8:9] op_sel:[1,0]
	s_nop 0
	v_pk_mul_f32 v[8:9], v[10:11], v[8:9] op_sel:[1,0]
	s_nop 0
	v_pk_fma_f32 v[8:9], v[24:25], v[10:11], v[8:9] op_sel_hi:[1,0,1] neg_lo:[1,0,0] neg_hi:[1,0,0]
	ds_write2_b64 v48, v[10:11], v[8:9] offset0:15 offset1:31
.LBB253_22:
	s_or_b64 exec, exec, s[6:7]
	v_cmp_gt_u32_e32 vcc, 4, v0
	s_waitcnt lgkmcnt(0)
	s_barrier
	s_and_saveexec_b64 s[6:7], vcc
	s_cbranch_execz .LBB253_24
; %bb.23:
	v_lshlrev_b32_e32 v3, 9, v0
	v_add_u32_e32 v7, 0x1000, v3
	ds_read2_b64 v[8:11], v7 offset1:32
	v_add_u32_e32 v45, 0x800, v3
	ds_read2_b64 v[12:15], v45 offset0:31 offset1:63
	s_mov_b64 s[8:9], 0x3f800000
	v_add_u32_e32 v48, 0x1800, v3
	s_waitcnt lgkmcnt(1)
	v_xor_b32_e32 v16, 0x80000000, v11
	v_mov_b32_e32 v17, v10
	s_waitcnt lgkmcnt(0)
	v_pk_mul_f32 v[16:17], v[12:13], v[16:17] op_sel:[1,0]
	ds_read_b64 v[36:37], v3
	v_pk_fma_f32 v[16:17], v[10:11], v[12:13], v[16:17] op_sel_hi:[1,0,1]
	s_waitcnt lgkmcnt(0)
	v_xor_b32_e32 v40, 0x80000000, v37
	v_pk_add_f32 v[24:25], v[16:17], s[8:9] neg_lo:[1,0] neg_hi:[1,0]
	v_mov_b32_e32 v41, v36
	v_mul_f32_e32 v20, v25, v25
	v_fmac_f32_e32 v20, v24, v24
	v_div_scale_f32 v16, s[8:9], v20, v20, 1.0
	v_rcp_f32_e32 v21, v16
	v_fma_f32 v27, v24, 0, -v25
	v_fmac_f32_e32 v24, 0, v25
	v_mov_b32_e32 v25, v27
	v_fma_f32 v17, -v16, v21, 1.0
	v_fmac_f32_e32 v21, v17, v21
	v_div_scale_f32 v17, vcc, 1.0, v20, 1.0
	v_mul_f32_e32 v22, v17, v21
	v_fma_f32 v18, -v16, v22, v17
	v_fmac_f32_e32 v22, v18, v21
	v_fma_f32 v23, -v16, v22, v17
	v_add_u32_e32 v16, 0x2100, v3
	ds_read2_b64 v[16:19], v16 offset1:255
	v_div_fmas_f32 v21, v23, v21, v22
	v_div_fixup_f32 v26, v21, v20, 1.0
	v_pk_mul_f32 v[46:47], v[24:25], v[26:27] op_sel_hi:[1,0]
	s_waitcnt lgkmcnt(0)
	v_pk_mul_f32 v[20:21], v[16:17], v[12:13] op_sel:[1,1] op_sel_hi:[1,0] neg_lo:[0,1]
	s_nop 0
	v_pk_fma_f32 v[20:21], v[12:13], v[16:17], v[20:21] op_sel_hi:[1,0,1]
	s_nop 0
	v_pk_add_f32 v[28:29], v[18:19], v[20:21] neg_lo:[0,1] neg_hi:[0,1]
	v_pk_mul_f32 v[20:21], v[10:11], v[18:19] op_sel:[1,1] op_sel_hi:[1,0] neg_lo:[0,1]
	v_xor_b32_e32 v30, 0x80000000, v29
	v_pk_fma_f32 v[18:19], v[18:19], v[10:11], v[20:21] op_sel_hi:[1,0,1]
	v_mov_b32_e32 v31, v28
	v_pk_add_f32 v[32:33], v[16:17], v[18:19] neg_lo:[0,1] neg_hi:[0,1]
	ds_read2_b64 v[16:19], v48 offset0:31 offset1:63
	ds_read2_b64 v[20:23], v3 offset1:32
	ds_read_b64 v[38:39], v3 offset:10744
	v_pk_mul_f32 v[24:25], v[46:47], v[30:31] op_sel:[1,0]
	v_xor_b32_e32 v34, 0x80000000, v33
	v_mov_b32_e32 v35, v32
	s_waitcnt lgkmcnt(1)
	v_mul_f32_e64 v44, v23, -v13
	v_fmac_f32_e32 v44, v12, v22
	v_mul_f32_e32 v12, v23, v12
	v_fmac_f32_e32 v12, v13, v22
	v_add_u32_e32 v13, 0x1900, v3
	v_pk_fma_f32 v[28:29], v[28:29], v[46:47], v[24:25] op_sel_hi:[1,0,1]
	ds_read2_b64 v[24:27], v13 offset0:31 offset1:224
	v_pk_mul_f32 v[30:31], v[46:47], v[34:35] op_sel:[1,0]
	v_xor_b32_e32 v42, 0x80000000, v19
	v_pk_fma_f32 v[30:31], v[32:33], v[46:47], v[30:31] op_sel_hi:[1,0,1]
	v_mov_b32_e32 v43, v18
	v_pk_mul_f32 v[32:33], v[30:31], v[40:41] op_sel:[1,0]
	v_add_u32_e32 v13, 0x2000, v3
	v_pk_fma_f32 v[32:33], v[36:37], v[30:31], v[32:33] op_sel_hi:[1,0,1]
	s_waitcnt lgkmcnt(0)
	v_pk_add_f32 v[26:27], v[26:27], v[32:33] neg_lo:[0,1] neg_hi:[0,1]
	ds_write2_b64 v13, v[26:27], v[30:31] offset1:32
	v_pk_mul_f32 v[26:27], v[28:29], v[42:43] op_sel:[1,0]
	v_add_u32_e32 v13, 0x2800, v3
	v_pk_fma_f32 v[18:19], v[18:19], v[28:29], v[26:27] op_sel_hi:[1,0,1]
	s_nop 0
	v_pk_add_f32 v[18:19], v[38:39], v[18:19] neg_lo:[0,1] neg_hi:[0,1]
	ds_write2_b64 v13, v[28:29], v[18:19] offset0:31 offset1:63
	v_pk_add_f32 v[18:19], v[46:47], 0 neg_lo:[1,1] neg_hi:[1,1]
	v_mul_f32_e32 v28, v11, v16
	v_pk_mov_b32 v[26:27], v[46:47], v[18:19] op_sel:[1,0]
	v_pk_mov_b32 v[18:19], v[18:19], v[46:47] op_sel:[1,0]
	v_fmac_f32_e32 v28, v17, v10
	v_pk_mul_f32 v[18:19], v[22:23], v[18:19] op_sel:[1,0]
	v_pk_mul_f32 v[12:13], v[26:27], v[12:13] op_sel_hi:[1,0]
	v_pk_fma_f32 v[18:19], v[46:47], v[22:23], v[18:19] op_sel_hi:[1,0,1]
	v_mul_f32_e64 v22, v11, -v17
	v_fmac_f32_e32 v22, v16, v10
	v_pk_mul_f32 v[26:27], v[26:27], v[28:29] op_sel_hi:[1,0]
	v_xor_b32_e32 v10, 0x80000000, v47
	v_pk_fma_f32 v[22:23], v[46:47], v[22:23], v[26:27] op_sel_hi:[1,0,1] neg_lo:[1,0,0] neg_hi:[1,0,0]
	v_mov_b32_e32 v11, v46
	v_pk_mul_f32 v[26:27], v[22:23], v[20:21] op_sel:[1,1] op_sel_hi:[1,0] neg_lo:[0,1]
	v_pk_mul_f32 v[10:11], v[16:17], v[10:11] op_sel:[1,0]
	v_pk_fma_f32 v[26:27], v[20:21], v[22:23], v[26:27] op_sel_hi:[1,0,1]
	v_pk_fma_f32 v[10:11], v[46:47], v[16:17], v[10:11] op_sel_hi:[1,0,1]
	v_pk_add_f32 v[16:17], v[20:21], 0 neg_lo:[1,1] neg_hi:[1,1]
	v_pk_add_f32 v[8:9], v[8:9], v[26:27] neg_lo:[0,1] neg_hi:[0,1]
	ds_write2_b64 v7, v[8:9], v[22:23] offset1:32
	v_pk_mov_b32 v[8:9], v[20:21], v[16:17] op_sel:[1,0]
	v_pk_fma_f32 v[12:13], v[46:47], v[44:45], v[12:13] op_sel_hi:[1,0,1] neg_lo:[1,0,0] neg_hi:[1,0,0]
	v_pk_mul_f32 v[8:9], v[18:19], v[8:9] op_sel:[1,0]
	s_nop 0
	v_pk_fma_f32 v[8:9], v[20:21], v[18:19], v[8:9] op_sel_hi:[1,0,1] neg_lo:[1,0,0] neg_hi:[1,0,0]
	ds_write2_b64 v3, v[8:9], v[18:19] offset1:32
	v_xor_b32_e32 v8, 0x80000000, v13
	v_mov_b32_e32 v9, v12
	v_pk_mul_f32 v[8:9], v[24:25], v[8:9] op_sel:[1,0]
	s_nop 0
	v_pk_fma_f32 v[8:9], v[12:13], v[24:25], v[8:9] op_sel_hi:[1,0,1]
	s_nop 0
	v_pk_add_f32 v[8:9], v[14:15], v[8:9] neg_lo:[0,1] neg_hi:[0,1]
	ds_write2_b64 v45, v[12:13], v[8:9] offset0:31 offset1:63
	v_pk_add_f32 v[8:9], v[24:25], 0 neg_lo:[1,1] neg_hi:[1,1]
	s_nop 0
	v_pk_mov_b32 v[8:9], v[24:25], v[8:9] op_sel:[1,0]
	s_nop 0
	v_pk_mul_f32 v[8:9], v[10:11], v[8:9] op_sel:[1,0]
	s_nop 0
	v_pk_fma_f32 v[8:9], v[24:25], v[10:11], v[8:9] op_sel_hi:[1,0,1] neg_lo:[1,0,0] neg_hi:[1,0,0]
	ds_write2_b64 v48, v[10:11], v[8:9] offset0:31 offset1:63
.LBB253_24:
	s_or_b64 exec, exec, s[6:7]
	v_cmp_gt_u32_e32 vcc, 2, v0
	s_waitcnt lgkmcnt(0)
	s_barrier
	s_and_saveexec_b64 s[6:7], vcc
	s_cbranch_execz .LBB253_26
; %bb.25:
	v_lshlrev_b32_e32 v3, 10, v0
	ds_read2st64_b64 v[8:11], v3 offset0:8 offset1:9
	v_add_u32_e32 v7, 0x1f8, v3
	ds_read2st64_b64 v[12:15], v7 offset0:4 offset1:5
	ds_read_b64 v[28:29], v3 offset:11256
	s_mov_b64 s[8:9], 0x3f800000
	ds_read2st64_b64 v[16:19], v7 offset0:12 offset1:13
	s_waitcnt lgkmcnt(3)
	v_xor_b32_e32 v20, 0x80000000, v11
	v_mov_b32_e32 v21, v10
	s_waitcnt lgkmcnt(2)
	v_pk_mul_f32 v[20:21], v[12:13], v[20:21] op_sel:[1,0]
	s_waitcnt lgkmcnt(0)
	v_xor_b32_e32 v42, 0x80000000, v19
	v_pk_fma_f32 v[20:21], v[10:11], v[12:13], v[20:21] op_sel_hi:[1,0,1]
	v_mov_b32_e32 v43, v18
	v_pk_add_f32 v[24:25], v[20:21], s[8:9] neg_lo:[1,0] neg_hi:[1,0]
	s_nop 0
	v_mul_f32_e32 v26, v25, v25
	v_fmac_f32_e32 v26, v24, v24
	v_div_scale_f32 v20, s[8:9], v26, v26, 1.0
	v_rcp_f32_e32 v27, v20
	s_nop 0
	v_fma_f32 v21, -v20, v27, 1.0
	v_fmac_f32_e32 v27, v21, v27
	v_div_scale_f32 v21, vcc, 1.0, v26, 1.0
	v_mul_f32_e32 v30, v21, v27
	v_fma_f32 v22, -v20, v30, v21
	v_fmac_f32_e32 v30, v22, v27
	v_fma_f32 v31, -v20, v30, v21
	v_add_u32_e32 v20, 0x2200, v3
	ds_read2_b64 v[20:23], v20 offset1:255
	v_div_fmas_f32 v27, v31, v27, v30
	v_div_fixup_f32 v26, v27, v26, 1.0
	v_fma_f32 v27, v24, 0, -v25
	v_fmac_f32_e32 v24, 0, v25
	s_waitcnt lgkmcnt(0)
	v_pk_mul_f32 v[30:31], v[20:21], v[12:13] op_sel:[1,1] op_sel_hi:[1,0] neg_lo:[0,1]
	v_pk_mul_f32 v[34:35], v[10:11], v[22:23] op_sel:[1,1] op_sel_hi:[1,0] neg_lo:[0,1]
	v_pk_fma_f32 v[30:31], v[12:13], v[20:21], v[30:31] op_sel_hi:[1,0,1]
	v_mov_b32_e32 v25, v27
	v_pk_add_f32 v[30:31], v[22:23], v[30:31] neg_lo:[0,1] neg_hi:[0,1]
	v_pk_fma_f32 v[22:23], v[22:23], v[10:11], v[34:35] op_sel_hi:[1,0,1]
	ds_read_b64 v[34:35], v3
	v_pk_add_f32 v[36:37], v[20:21], v[22:23] neg_lo:[0,1] neg_hi:[0,1]
	ds_read2st64_b64 v[20:23], v3 offset1:1
	v_xor_b32_e32 v32, 0x80000000, v31
	v_mov_b32_e32 v33, v30
	v_pk_mul_f32 v[46:47], v[24:25], v[26:27] op_sel_hi:[1,0]
	v_xor_b32_e32 v38, 0x80000000, v37
	s_waitcnt lgkmcnt(0)
	v_mul_f32_e64 v44, v23, -v13
	v_fmac_f32_e32 v44, v12, v22
	v_mul_f32_e32 v12, v23, v12
	v_fmac_f32_e32 v12, v13, v22
	v_pk_mul_f32 v[24:25], v[46:47], v[32:33] op_sel:[1,0]
	v_add_u32_e32 v13, 0x1a00, v3
	v_mov_b32_e32 v39, v36
	v_pk_fma_f32 v[30:31], v[30:31], v[46:47], v[24:25] op_sel_hi:[1,0,1]
	ds_read2_b64 v[24:27], v13 offset0:63 offset1:192
	v_pk_mul_f32 v[32:33], v[46:47], v[38:39] op_sel:[1,0]
	v_xor_b32_e32 v40, 0x80000000, v35
	v_mov_b32_e32 v41, v34
	v_pk_fma_f32 v[32:33], v[36:37], v[46:47], v[32:33] op_sel_hi:[1,0,1]
	s_nop 0
	v_pk_mul_f32 v[36:37], v[32:33], v[40:41] op_sel:[1,0]
	s_nop 0
	v_pk_fma_f32 v[34:35], v[34:35], v[32:33], v[36:37] op_sel_hi:[1,0,1]
	s_waitcnt lgkmcnt(0)
	v_pk_add_f32 v[26:27], v[26:27], v[34:35] neg_lo:[0,1] neg_hi:[0,1]
	ds_write2st64_b64 v3, v[26:27], v[32:33] offset0:16 offset1:17
	v_pk_mul_f32 v[26:27], v[30:31], v[42:43] op_sel:[1,0]
	s_nop 0
	v_pk_fma_f32 v[18:19], v[18:19], v[30:31], v[26:27] op_sel_hi:[1,0,1]
	s_nop 0
	v_pk_add_f32 v[18:19], v[28:29], v[18:19] neg_lo:[0,1] neg_hi:[0,1]
	ds_write2st64_b64 v7, v[30:31], v[18:19] offset0:20 offset1:21
	v_pk_add_f32 v[18:19], v[46:47], 0 neg_lo:[1,1] neg_hi:[1,1]
	v_mul_f32_e32 v28, v11, v16
	v_pk_mov_b32 v[26:27], v[46:47], v[18:19] op_sel:[1,0]
	v_pk_mov_b32 v[18:19], v[18:19], v[46:47] op_sel:[1,0]
	v_fmac_f32_e32 v28, v17, v10
	v_pk_mul_f32 v[18:19], v[22:23], v[18:19] op_sel:[1,0]
	v_pk_mul_f32 v[12:13], v[26:27], v[12:13] op_sel_hi:[1,0]
	v_pk_fma_f32 v[18:19], v[46:47], v[22:23], v[18:19] op_sel_hi:[1,0,1]
	v_mul_f32_e64 v22, v11, -v17
	v_fmac_f32_e32 v22, v16, v10
	v_pk_mul_f32 v[26:27], v[26:27], v[28:29] op_sel_hi:[1,0]
	v_xor_b32_e32 v10, 0x80000000, v47
	v_pk_fma_f32 v[22:23], v[46:47], v[22:23], v[26:27] op_sel_hi:[1,0,1] neg_lo:[1,0,0] neg_hi:[1,0,0]
	v_mov_b32_e32 v11, v46
	v_pk_mul_f32 v[26:27], v[22:23], v[20:21] op_sel:[1,1] op_sel_hi:[1,0] neg_lo:[0,1]
	v_pk_mul_f32 v[10:11], v[16:17], v[10:11] op_sel:[1,0]
	v_pk_fma_f32 v[26:27], v[20:21], v[22:23], v[26:27] op_sel_hi:[1,0,1]
	v_pk_fma_f32 v[10:11], v[46:47], v[16:17], v[10:11] op_sel_hi:[1,0,1]
	v_pk_add_f32 v[16:17], v[20:21], 0 neg_lo:[1,1] neg_hi:[1,1]
	v_pk_add_f32 v[8:9], v[8:9], v[26:27] neg_lo:[0,1] neg_hi:[0,1]
	ds_write2st64_b64 v3, v[8:9], v[22:23] offset0:8 offset1:9
	v_pk_mov_b32 v[8:9], v[20:21], v[16:17] op_sel:[1,0]
	v_pk_fma_f32 v[12:13], v[46:47], v[44:45], v[12:13] op_sel_hi:[1,0,1] neg_lo:[1,0,0] neg_hi:[1,0,0]
	v_pk_mul_f32 v[8:9], v[18:19], v[8:9] op_sel:[1,0]
	s_nop 0
	v_pk_fma_f32 v[8:9], v[20:21], v[18:19], v[8:9] op_sel_hi:[1,0,1] neg_lo:[1,0,0] neg_hi:[1,0,0]
	ds_write2st64_b64 v3, v[8:9], v[18:19] offset1:1
	v_xor_b32_e32 v8, 0x80000000, v13
	v_mov_b32_e32 v9, v12
	v_pk_mul_f32 v[8:9], v[24:25], v[8:9] op_sel:[1,0]
	s_nop 0
	v_pk_fma_f32 v[8:9], v[12:13], v[24:25], v[8:9] op_sel_hi:[1,0,1]
	s_nop 0
	v_pk_add_f32 v[8:9], v[14:15], v[8:9] neg_lo:[0,1] neg_hi:[0,1]
	ds_write2st64_b64 v7, v[12:13], v[8:9] offset0:4 offset1:5
	v_pk_add_f32 v[8:9], v[24:25], 0 neg_lo:[1,1] neg_hi:[1,1]
	s_nop 0
	v_pk_mov_b32 v[8:9], v[24:25], v[8:9] op_sel:[1,0]
	s_nop 0
	v_pk_mul_f32 v[8:9], v[10:11], v[8:9] op_sel:[1,0]
	s_nop 0
	v_pk_fma_f32 v[8:9], v[24:25], v[10:11], v[8:9] op_sel_hi:[1,0,1] neg_lo:[1,0,0] neg_hi:[1,0,0]
	ds_write2st64_b64 v7, v[10:11], v[8:9] offset0:12 offset1:13
.LBB253_26:
	s_or_b64 exec, exec, s[6:7]
	s_mov_b32 s11, 0
	v_cmp_eq_u32_e64 s[6:7], 0, v0
	s_waitcnt lgkmcnt(0)
	s_barrier
	s_and_saveexec_b64 s[8:9], s[6:7]
	s_cbranch_execz .LBB253_28
; %bb.27:
	v_mov_b32_e32 v3, 0
	s_movk_i32 s10, 0x1f8
	ds_read2st64_b64 v[8:11], v3 offset0:8 offset1:10
	v_add_u32_e64 v7, s10, 0
	ds_read2st64_b64 v[12:15], v7 offset0:5 offset1:7
	s_mov_b32 s10, 1.0
	s_waitcnt lgkmcnt(1)
	v_xor_b32_e32 v16, 0x80000000, v11
	v_mov_b32_e32 v17, v10
	s_waitcnt lgkmcnt(0)
	v_pk_mul_f32 v[16:17], v[12:13], v[16:17] op_sel:[1,0]
	s_nop 0
	v_pk_fma_f32 v[16:17], v[10:11], v[12:13], v[16:17] op_sel_hi:[1,0,1]
	s_nop 0
	v_pk_add_f32 v[26:27], v[16:17], s[10:11] neg_lo:[1,0] neg_hi:[1,0]
	s_nop 0
	v_mul_f32_e32 v0, v27, v27
	v_fmac_f32_e32 v0, v26, v26
	v_div_scale_f32 v16, s[10:11], v0, v0, 1.0
	v_rcp_f32_e32 v20, v16
	s_movk_i32 s10, 0x2400
	v_add_u32_e64 v39, s10, 0
	v_fma_f32 v40, v26, 0, -v27
	v_fma_f32 v17, -v16, v20, 1.0
	v_fmac_f32_e32 v20, v17, v20
	v_div_scale_f32 v17, vcc, 1.0, v0, 1.0
	v_mul_f32_e32 v21, v17, v20
	v_fma_f32 v18, -v16, v21, v17
	v_fmac_f32_e32 v21, v18, v20
	v_fma_f32 v22, -v16, v21, v17
	ds_read2_b64 v[16:19], v39 offset1:255
	v_div_fmas_f32 v20, v22, v20, v21
	v_div_fixup_f32 v0, v20, v0, 1.0
	v_fmac_f32_e32 v26, 0, v27
	v_mov_b32_e32 v27, v40
	s_waitcnt lgkmcnt(0)
	v_pk_mul_f32 v[20:21], v[16:17], v[12:13] op_sel:[1,1] op_sel_hi:[1,0] neg_lo:[0,1]
	v_pk_mul_f32 v[40:41], v[26:27], v[0:1] op_sel_hi:[1,0]
	v_pk_fma_f32 v[20:21], v[12:13], v[16:17], v[20:21] op_sel_hi:[1,0,1]
	s_movk_i32 s10, 0x1400
	v_pk_add_f32 v[28:29], v[18:19], v[20:21] neg_lo:[0,1] neg_hi:[0,1]
	v_pk_mul_f32 v[20:21], v[10:11], v[18:19] op_sel:[1,1] op_sel_hi:[1,0] neg_lo:[0,1]
	v_xor_b32_e32 v30, 0x80000000, v29
	v_pk_fma_f32 v[22:23], v[18:19], v[10:11], v[20:21] op_sel_hi:[1,0,1]
	ds_read2st64_b64 v[18:21], v3 offset1:2
	v_mov_b32_e32 v31, v28
	v_pk_add_f32 v[16:17], v[16:17], v[22:23] neg_lo:[0,1] neg_hi:[0,1]
	v_pk_mul_f32 v[26:27], v[40:41], v[30:31] op_sel:[1,0]
	v_xor_b32_e32 v32, 0x80000000, v17
	v_mov_b32_e32 v33, v16
	ds_read2st64_b64 v[22:25], v7 offset0:13 offset1:15
	v_pk_fma_f32 v[30:31], v[28:29], v[40:41], v[26:27] op_sel_hi:[1,0,1]
	v_pk_mul_f32 v[26:27], v[40:41], v[32:33] op_sel:[1,0]
	v_mov_b32_e32 v7, 0x1ff8
	v_pk_fma_f32 v[16:17], v[16:17], v[40:41], v[26:27] op_sel_hi:[1,0,1]
	ds_read2_b64 v[26:29], v7 offset1:1
	s_waitcnt lgkmcnt(2)
	v_xor_b32_e32 v34, 0x80000000, v19
	v_mov_b32_e32 v35, v18
	v_pk_mul_f32 v[32:33], v[16:17], v[34:35] op_sel:[1,0]
	ds_read_b64 v[34:35], v3 offset:12280
	s_waitcnt lgkmcnt(2)
	v_xor_b32_e32 v36, 0x80000000, v25
	v_mov_b32_e32 v37, v24
	ds_write2_b64 v39, v[16:17], v[30:31] offset1:255
	v_pk_fma_f32 v[16:17], v[18:19], v[16:17], v[32:33] op_sel_hi:[1,0,1]
	v_mul_f32_e64 v38, v21, -v13
	s_waitcnt lgkmcnt(2)
	v_pk_add_f32 v[16:17], v[28:29], v[16:17] neg_lo:[0,1] neg_hi:[0,1]
	v_pk_mul_f32 v[28:29], v[30:31], v[36:37] op_sel:[1,0]
	v_fmac_f32_e32 v38, v12, v20
	v_pk_fma_f32 v[24:25], v[24:25], v[30:31], v[28:29] op_sel_hi:[1,0,1]
	v_mul_f32_e32 v12, v21, v12
	s_waitcnt lgkmcnt(1)
	v_pk_add_f32 v[24:25], v[34:35], v[24:25] neg_lo:[0,1] neg_hi:[0,1]
	ds_write_b64 v3, v[24:25] offset:12280
	v_xor_b32_e32 v24, 0x80000000, v41
	v_mov_b32_e32 v25, v40
	v_pk_mul_f32 v[30:31], v[20:21], v[24:25] op_sel:[1,0]
	v_fmac_f32_e32 v12, v13, v20
	v_pk_fma_f32 v[20:21], v[40:41], v[20:21], v[30:31] op_sel_hi:[1,0,1]
	v_mul_f32_e32 v30, v11, v22
	v_xor_b32_e32 v29, 0x80000000, v40
	v_mov_b32_e32 v28, v41
	v_mul_f32_e64 v0, v11, -v23
	v_fmac_f32_e32 v30, v23, v10
	v_fmac_f32_e32 v0, v22, v10
	v_pk_mul_f32 v[10:11], v[28:29], v[30:31] op_sel_hi:[1,0]
	v_pk_mul_f32 v[24:25], v[22:23], v[24:25] op_sel:[1,0]
	v_pk_fma_f32 v[10:11], v[40:41], v[0:1], v[10:11] op_sel_hi:[1,0,1] neg_lo:[1,0,0] neg_hi:[1,0,0]
	v_pk_mul_f32 v[12:13], v[28:29], v[12:13] op_sel_hi:[1,0]
	v_pk_fma_f32 v[22:23], v[40:41], v[22:23], v[24:25] op_sel_hi:[1,0,1]
	v_add_u32_e64 v0, s10, 0
	v_pk_mul_f32 v[28:29], v[10:11], v[18:19] op_sel:[1,1] op_sel_hi:[1,0] neg_lo:[0,1]
	ds_write2_b64 v0, v[10:11], v[22:23] offset1:255
	v_xor_b32_e32 v25, 0x80000000, v18
	v_pk_fma_f32 v[10:11], v[18:19], v[10:11], v[28:29] op_sel_hi:[1,0,1]
	v_mov_b32_e32 v24, v19
	v_pk_add_f32 v[8:9], v[8:9], v[10:11] neg_lo:[0,1] neg_hi:[0,1]
	v_pk_mul_f32 v[10:11], v[20:21], v[24:25] op_sel:[1,0]
	v_pk_fma_f32 v[12:13], v[40:41], v[38:39], v[12:13] op_sel_hi:[1,0,1] neg_lo:[1,0,0] neg_hi:[1,0,0]
	v_pk_fma_f32 v[10:11], v[18:19], v[20:21], v[10:11] op_sel_hi:[1,0,1] neg_lo:[1,0,0] neg_hi:[1,0,0]
	ds_write2st64_b64 v3, v[10:11], v[20:21] offset1:2
	v_xor_b32_e32 v10, 0x80000000, v13
	v_mov_b32_e32 v11, v12
	v_pk_mul_f32 v[10:11], v[26:27], v[10:11] op_sel:[1,0]
	v_mov_b32_e32 v0, 0xff8
	v_pk_fma_f32 v[10:11], v[12:13], v[26:27], v[10:11] op_sel_hi:[1,0,1]
	ds_write_b64 v3, v[12:13] offset:3064
	v_pk_add_f32 v[10:11], v[14:15], v[10:11] neg_lo:[0,1] neg_hi:[0,1]
	ds_write2_b64 v0, v[10:11], v[8:9] offset1:1
	v_xor_b32_e32 v9, 0x80000000, v26
	v_mov_b32_e32 v8, v27
	v_pk_mul_f32 v[8:9], v[22:23], v[8:9] op_sel:[1,0]
	s_nop 0
	v_pk_fma_f32 v[8:9], v[26:27], v[22:23], v[8:9] op_sel_hi:[1,0,1] neg_lo:[1,0,0] neg_hi:[1,0,0]
	ds_write2_b64 v7, v[8:9], v[16:17] offset1:1
.LBB253_28:
	s_or_b64 exec, exec, s[8:9]
	s_load_dwordx2 s[14:15], s[0:1], 0x48
	s_load_dwordx4 s[8:11], s[0:1], 0x38
	s_waitcnt lgkmcnt(0)
	s_barrier
	s_and_saveexec_b64 s[16:17], s[4:5]
	s_cbranch_execnz .LBB253_31
; %bb.29:
	s_or_b64 exec, exec, s[16:17]
	s_and_saveexec_b64 s[4:5], s[6:7]
	s_cbranch_execnz .LBB253_35
.LBB253_30:
	s_endpgm
.LBB253_31:
	s_cmp_eq_u32 s3, 0
	s_cbranch_scc1 .LBB253_39
; %bb.32:
	s_mulk_i32 s19, 0x7f
	s_cbranch_execnz .LBB253_34
.LBB253_33:
	s_load_dwordx4 s[20:23], s[0:1], 0x28
	ds_read2st64_b64 v[6:9], v6 offset1:4
	v_ashrrev_i32_e32 v3, 31, v2
	v_lshlrev_b64 v[12:13], 3, v[2:3]
	v_add_u32_e32 v10, s18, v2
	s_waitcnt lgkmcnt(0)
	v_lshl_add_u64 v[2:3], s[20:21], 0, v[12:13]
	global_store_dwordx2 v[2:3], v[6:7], off
	ds_read2st64_b64 v[0:3], v1 offset1:4
	v_mov_b32_e32 v11, 0
	v_lshlrev_b64 v[6:7], 3, v[10:11]
	v_lshl_add_u64 v[10:11], s[20:21], 0, v[6:7]
	global_store_dwordx2 v[10:11], v[8:9], off
	v_lshl_add_u64 v[8:9], s[22:23], 0, v[12:13]
	s_waitcnt lgkmcnt(0)
	global_store_dwordx2 v[8:9], v[0:1], off
	v_lshl_add_u64 v[0:1], s[22:23], 0, v[6:7]
	s_mov_b32 s19, s18
	global_store_dwordx2 v[0:1], v[2:3], off
.LBB253_34:
	ds_read2st64_b64 v[0:3], v5 offset1:4
	v_ashrrev_i32_e32 v5, 31, v4
	v_add_u32_e32 v6, s19, v4
	v_mov_b32_e32 v7, 0
	v_lshl_add_u64 v[4:5], v[4:5], 3, s[12:13]
	s_waitcnt lgkmcnt(0)
	global_store_dwordx2 v[4:5], v[0:1], off
	v_lshl_add_u64 v[0:1], v[6:7], 3, s[12:13]
	global_store_dwordx2 v[0:1], v[2:3], off
	s_or_b64 exec, exec, s[16:17]
	s_and_saveexec_b64 s[4:5], s[6:7]
	s_cbranch_execz .LBB253_30
.LBB253_35:
	s_cmp_eq_u32 s3, 0
	s_cbranch_scc1 .LBB253_40
; %bb.36:
	s_load_dword s6, s[0:1], 0x50
	s_cbranch_execnz .LBB253_38
.LBB253_37:
	s_waitcnt lgkmcnt(0)
	s_load_dword s6, s[0:1], 0x50
	v_mov_b32_e32 v0, 0xff8
	s_mov_b32 s4, s3
	s_ashr_i32 s3, s2, 31
	ds_read2_b64 v[6:9], v0 offset1:1
	s_lshl_b64 s[12:13], s[2:3], 3
	v_mov_b32_e32 v4, 0
	s_mov_b32 s3, s4
	s_add_u32 s4, s10, s12
	ds_read_b64 v[2:3], v4 offset:8184
	s_addc_u32 s5, s11, s13
	s_waitcnt lgkmcnt(0)
	s_add_i32 s0, s6, s2
	s_mov_b32 s1, 0
	s_lshl_b64 s[0:1], s[0:1], 3
	global_store_dwordx2 v4, v[8:9], s[4:5]
	s_add_u32 s4, s10, s0
	ds_read_b64 v[0:1], v4
	s_addc_u32 s5, s11, s1
	global_store_dwordx2 v4, v[2:3], s[4:5]
	s_add_u32 s4, s14, s12
	s_addc_u32 s5, s15, s13
	s_add_u32 s0, s14, s0
	s_addc_u32 s1, s15, s1
	s_waitcnt lgkmcnt(0)
	global_store_dwordx2 v4, v[0:1], s[4:5]
	global_store_dwordx2 v4, v[6:7], s[0:1]
.LBB253_38:
	s_waitcnt lgkmcnt(0)
	s_mul_i32 s0, s6, s3
	s_lshl_b32 s0, s0, 1
	s_add_i32 s0, s0, s2
	s_mov_b32 s1, 0
	v_mov_b32_e32 v4, 0
	s_lshl_b64 s[2:3], s[0:1], 3
	ds_read_b64 v[0:1], v4 offset:8192
	ds_read_b64 v[2:3], v4 offset:12280
	s_add_u32 s2, s8, s2
	s_addc_u32 s3, s9, s3
	s_add_i32 s0, s0, s6
	s_lshl_b64 s[0:1], s[0:1], 3
	s_add_u32 s0, s8, s0
	s_addc_u32 s1, s9, s1
	s_waitcnt lgkmcnt(1)
	global_store_dwordx2 v4, v[0:1], s[2:3]
	s_waitcnt lgkmcnt(0)
	global_store_dwordx2 v4, v[2:3], s[0:1]
	s_endpgm
.LBB253_39:
                                        ; implicit-def: $sgpr19
	s_branch .LBB253_33
.LBB253_40:
                                        ; implicit-def: $sgpr6
	s_branch .LBB253_37
	.section	.rodata,"a",@progbits
	.p2align	6, 0x0
	.amdhsa_kernel _ZN9rocsparseL29gtsv_spike_block_level_kernelILj256ELj128E21rocsparse_complex_numIfEEEviiiPT1_PKS3_S6_S4_S4_S4_S4_S4_
		.amdhsa_group_segment_fixed_size 12288
		.amdhsa_private_segment_fixed_size 0
		.amdhsa_kernarg_size 336
		.amdhsa_user_sgpr_count 2
		.amdhsa_user_sgpr_dispatch_ptr 0
		.amdhsa_user_sgpr_queue_ptr 0
		.amdhsa_user_sgpr_kernarg_segment_ptr 1
		.amdhsa_user_sgpr_dispatch_id 0
		.amdhsa_user_sgpr_kernarg_preload_length 0
		.amdhsa_user_sgpr_kernarg_preload_offset 0
		.amdhsa_user_sgpr_private_segment_size 0
		.amdhsa_uses_dynamic_stack 0
		.amdhsa_enable_private_segment 0
		.amdhsa_system_sgpr_workgroup_id_x 1
		.amdhsa_system_sgpr_workgroup_id_y 1
		.amdhsa_system_sgpr_workgroup_id_z 0
		.amdhsa_system_sgpr_workgroup_info 0
		.amdhsa_system_vgpr_workitem_id 0
		.amdhsa_next_free_vgpr 50
		.amdhsa_next_free_sgpr 24
		.amdhsa_accum_offset 52
		.amdhsa_reserve_vcc 1
		.amdhsa_float_round_mode_32 0
		.amdhsa_float_round_mode_16_64 0
		.amdhsa_float_denorm_mode_32 3
		.amdhsa_float_denorm_mode_16_64 3
		.amdhsa_dx10_clamp 1
		.amdhsa_ieee_mode 1
		.amdhsa_fp16_overflow 0
		.amdhsa_tg_split 0
		.amdhsa_exception_fp_ieee_invalid_op 0
		.amdhsa_exception_fp_denorm_src 0
		.amdhsa_exception_fp_ieee_div_zero 0
		.amdhsa_exception_fp_ieee_overflow 0
		.amdhsa_exception_fp_ieee_underflow 0
		.amdhsa_exception_fp_ieee_inexact 0
		.amdhsa_exception_int_div_zero 0
	.end_amdhsa_kernel
	.section	.text._ZN9rocsparseL29gtsv_spike_block_level_kernelILj256ELj128E21rocsparse_complex_numIfEEEviiiPT1_PKS3_S6_S4_S4_S4_S4_S4_,"axG",@progbits,_ZN9rocsparseL29gtsv_spike_block_level_kernelILj256ELj128E21rocsparse_complex_numIfEEEviiiPT1_PKS3_S6_S4_S4_S4_S4_S4_,comdat
.Lfunc_end253:
	.size	_ZN9rocsparseL29gtsv_spike_block_level_kernelILj256ELj128E21rocsparse_complex_numIfEEEviiiPT1_PKS3_S6_S4_S4_S4_S4_S4_, .Lfunc_end253-_ZN9rocsparseL29gtsv_spike_block_level_kernelILj256ELj128E21rocsparse_complex_numIfEEEviiiPT1_PKS3_S6_S4_S4_S4_S4_S4_
                                        ; -- End function
	.set _ZN9rocsparseL29gtsv_spike_block_level_kernelILj256ELj128E21rocsparse_complex_numIfEEEviiiPT1_PKS3_S6_S4_S4_S4_S4_S4_.num_vgpr, 50
	.set _ZN9rocsparseL29gtsv_spike_block_level_kernelILj256ELj128E21rocsparse_complex_numIfEEEviiiPT1_PKS3_S6_S4_S4_S4_S4_S4_.num_agpr, 0
	.set _ZN9rocsparseL29gtsv_spike_block_level_kernelILj256ELj128E21rocsparse_complex_numIfEEEviiiPT1_PKS3_S6_S4_S4_S4_S4_S4_.numbered_sgpr, 24
	.set _ZN9rocsparseL29gtsv_spike_block_level_kernelILj256ELj128E21rocsparse_complex_numIfEEEviiiPT1_PKS3_S6_S4_S4_S4_S4_S4_.num_named_barrier, 0
	.set _ZN9rocsparseL29gtsv_spike_block_level_kernelILj256ELj128E21rocsparse_complex_numIfEEEviiiPT1_PKS3_S6_S4_S4_S4_S4_S4_.private_seg_size, 0
	.set _ZN9rocsparseL29gtsv_spike_block_level_kernelILj256ELj128E21rocsparse_complex_numIfEEEviiiPT1_PKS3_S6_S4_S4_S4_S4_S4_.uses_vcc, 1
	.set _ZN9rocsparseL29gtsv_spike_block_level_kernelILj256ELj128E21rocsparse_complex_numIfEEEviiiPT1_PKS3_S6_S4_S4_S4_S4_S4_.uses_flat_scratch, 0
	.set _ZN9rocsparseL29gtsv_spike_block_level_kernelILj256ELj128E21rocsparse_complex_numIfEEEviiiPT1_PKS3_S6_S4_S4_S4_S4_S4_.has_dyn_sized_stack, 0
	.set _ZN9rocsparseL29gtsv_spike_block_level_kernelILj256ELj128E21rocsparse_complex_numIfEEEviiiPT1_PKS3_S6_S4_S4_S4_S4_S4_.has_recursion, 0
	.set _ZN9rocsparseL29gtsv_spike_block_level_kernelILj256ELj128E21rocsparse_complex_numIfEEEviiiPT1_PKS3_S6_S4_S4_S4_S4_S4_.has_indirect_call, 0
	.section	.AMDGPU.csdata,"",@progbits
; Kernel info:
; codeLenInByte = 7640
; TotalNumSgprs: 30
; NumVgprs: 50
; NumAgprs: 0
; TotalNumVgprs: 50
; ScratchSize: 0
; MemoryBound: 0
; FloatMode: 240
; IeeeMode: 1
; LDSByteSize: 12288 bytes/workgroup (compile time only)
; SGPRBlocks: 3
; VGPRBlocks: 6
; NumSGPRsForWavesPerEU: 30
; NumVGPRsForWavesPerEU: 50
; AccumOffset: 52
; Occupancy: 8
; WaveLimiterHint : 0
; COMPUTE_PGM_RSRC2:SCRATCH_EN: 0
; COMPUTE_PGM_RSRC2:USER_SGPR: 2
; COMPUTE_PGM_RSRC2:TRAP_HANDLER: 0
; COMPUTE_PGM_RSRC2:TGID_X_EN: 1
; COMPUTE_PGM_RSRC2:TGID_Y_EN: 1
; COMPUTE_PGM_RSRC2:TGID_Z_EN: 0
; COMPUTE_PGM_RSRC2:TIDIG_COMP_CNT: 0
; COMPUTE_PGM_RSRC3_GFX90A:ACCUM_OFFSET: 12
; COMPUTE_PGM_RSRC3_GFX90A:TG_SPLIT: 0
	.section	.text._ZN9rocsparseL33gtsv_solve_spike_propagate_kernelILj256ELj128E21rocsparse_complex_numIfEEEviiiPT1_PKS3_S6_S6_,"axG",@progbits,_ZN9rocsparseL33gtsv_solve_spike_propagate_kernelILj256ELj128E21rocsparse_complex_numIfEEEviiiPT1_PKS3_S6_S6_,comdat
	.globl	_ZN9rocsparseL33gtsv_solve_spike_propagate_kernelILj256ELj128E21rocsparse_complex_numIfEEEviiiPT1_PKS3_S6_S6_ ; -- Begin function _ZN9rocsparseL33gtsv_solve_spike_propagate_kernelILj256ELj128E21rocsparse_complex_numIfEEEviiiPT1_PKS3_S6_S6_
	.p2align	8
	.type	_ZN9rocsparseL33gtsv_solve_spike_propagate_kernelILj256ELj128E21rocsparse_complex_numIfEEEviiiPT1_PKS3_S6_S6_,@function
_ZN9rocsparseL33gtsv_solve_spike_propagate_kernelILj256ELj128E21rocsparse_complex_numIfEEEviiiPT1_PKS3_S6_S6_: ; @_ZN9rocsparseL33gtsv_solve_spike_propagate_kernelILj256ELj128E21rocsparse_complex_numIfEEEviiiPT1_PKS3_S6_S6_
; %bb.0:
	s_load_dword s8, s[0:1], 0x0
	v_lshl_or_b32 v2, s2, 8, v0
	v_lshlrev_b32_e32 v1, 3, v0
	s_waitcnt lgkmcnt(0)
	s_lshr_b32 s14, s8, 7
	v_cmp_gt_i32_e32 vcc, s14, v2
	v_cmp_le_i32_e64 s[4:5], s14, v2
	s_and_saveexec_b64 s[6:7], s[4:5]
	s_xor_b64 s[6:7], exec, s[6:7]
; %bb.1:
	v_mov_b32_e32 v4, 0
	v_mov_b32_e32 v5, v4
	ds_write_b64 v1, v[4:5] offset:8208
; %bb.2:
	s_or_saveexec_b64 s[6:7], s[6:7]
	v_mov_b32_e32 v4, 0
	v_ashrrev_i32_e32 v3, 31, v2
	s_mulk_i32 s14, 0x7f
	v_mov_b32_e32 v5, 0
	s_xor_b64 exec, exec, s[6:7]
	s_cbranch_execz .LBB254_4
; %bb.3:
	s_load_dwordx2 s[10:11], s[0:1], 0x18
	v_add_u32_e32 v4, s14, v2
	v_mov_b32_e32 v5, 0
	s_waitcnt lgkmcnt(0)
	v_lshl_add_u64 v[6:7], v[2:3], 3, s[10:11]
	v_lshl_add_u64 v[8:9], v[4:5], 3, s[10:11]
	global_load_dwordx2 v[10:11], v[6:7], off
	global_load_dwordx2 v[4:5], v[8:9], off
	s_waitcnt vmcnt(1)
	ds_write_b64 v1, v[10:11] offset:8208
.LBB254_4:
	s_or_b64 exec, exec, s[6:7]
	s_load_dwordx2 s[6:7], s[0:1], 0x10
	s_waitcnt vmcnt(0)
	ds_write_b64 v1, v[4:5] offset:10256
	s_and_saveexec_b64 s[10:11], s[4:5]
	s_xor_b64 s[4:5], exec, s[10:11]
; %bb.5:
	s_mov_b32 s10, 0
	s_mov_b32 s11, s10
	v_mov_b64_e32 v[4:5], s[10:11]
	v_add_u32_e32 v3, 16, v1
	ds_write2st64_b64 v3, v[4:5], v[4:5] offset0:8 offset1:12
; %bb.6:
	s_or_saveexec_b64 s[4:5], s[4:5]
	v_mov_b32_e32 v4, 0
	s_mul_i32 s8, s8, s3
	v_mov_b32_e32 v6, 0
	v_mov_b32_e32 v7, 0
	s_xor_b64 exec, exec, s[4:5]
	s_cbranch_execz .LBB254_8
; %bb.7:
	s_load_dwordx2 s[10:11], s[0:1], 0x20
	v_add_u32_e32 v6, s14, v2
	v_mov_b32_e32 v7, 0
	s_waitcnt lgkmcnt(0)
	v_lshl_add_u64 v[10:11], v[6:7], 3, s[10:11]
	v_add_u32_e32 v6, s8, v6
	v_lshl_add_u64 v[8:9], v[2:3], 3, s[10:11]
	v_lshl_add_u64 v[6:7], v[6:7], 3, s[6:7]
	global_load_dwordx2 v[12:13], v[8:9], off
	global_load_dwordx2 v[14:15], v[10:11], off
	v_add_u32_e32 v3, 16, v1
	global_load_dwordx2 v[6:7], v[6:7], off
	s_waitcnt vmcnt(1)
	ds_write2st64_b64 v3, v[12:13], v[14:15] offset0:8 offset1:12
.LBB254_8:
	s_or_b64 exec, exec, s[4:5]
	v_add_u32_e32 v2, s8, v2
	v_mov_b32_e32 v5, 0
	s_waitcnt vmcnt(0)
	ds_write_b64 v1, v[6:7] offset:8
	s_and_saveexec_b64 s[4:5], vcc
	s_cbranch_execz .LBB254_10
; %bb.9:
	v_ashrrev_i32_e32 v3, 31, v2
	s_waitcnt lgkmcnt(0)
	v_lshl_add_u64 v[4:5], v[2:3], 3, s[6:7]
	global_load_dwordx2 v[4:5], v[4:5], off
.LBB254_10:
	s_or_b64 exec, exec, s[4:5]
	s_mov_b32 s12, 0
	v_cmp_eq_u32_e64 s[4:5], 0, v0
	s_waitcnt vmcnt(0)
	ds_write_b64 v1, v[4:5] offset:2056
	s_waitcnt lgkmcnt(0)
	s_barrier
	s_and_saveexec_b64 s[8:9], s[4:5]
	s_cbranch_execz .LBB254_16
; %bb.11:
	s_load_dword s15, s[0:1], 0x30
	s_load_dwordx2 s[10:11], s[0:1], 0x28
	s_cmp_lt_i32 s2, 1
	s_mov_b32 s13, 0
	s_waitcnt lgkmcnt(0)
	s_mul_i32 s3, s3, s15
	s_cbranch_scc1 .LBB254_13
; %bb.12:
	s_lshl_b32 s0, s3, 1
	s_add_i32 s1, s2, s15
	s_add_i32 s0, s1, s0
	s_add_i32 s0, s0, -1
	s_mov_b32 s1, 0
	s_lshl_b64 s[0:1], s[0:1], 3
	s_add_u32 s0, s10, s0
	s_addc_u32 s1, s11, s1
	s_load_dwordx2 s[12:13], s[0:1], 0x0
.LBB254_13:
	s_add_i32 s0, s15, -1
	s_waitcnt lgkmcnt(0)
	v_mov_b32_e32 v4, s12
	v_mov_b32_e32 v5, s13
	;; [unrolled: 1-line block ×3, first 2 shown]
	s_mov_b32 s1, 0
	s_cmp_ge_u32 s2, s0
	s_mov_b32 s12, 0
	s_mov_b32 s13, 0
	ds_write_b64 v3, v[4:5]
	s_cbranch_scc1 .LBB254_15
; %bb.14:
	s_lshl_b32 s0, s3, 1
	s_add_i32 s0, s2, s0
	s_add_i32 s12, s0, 1
	s_lshl_b64 s[12:13], s[12:13], 3
	s_add_u32 s16, s10, s12
	s_addc_u32 s17, s11, s13
	s_load_dwordx2 s[12:13], s[16:17], 0x0
.LBB254_15:
	s_lshl_b32 s0, s3, 1
	s_add_i32 s0, s0, s2
	s_lshl_b64 s[2:3], s[0:1], 3
	s_add_u32 s2, s10, s2
	s_addc_u32 s3, s11, s3
	s_add_i32 s0, s0, s15
	s_lshl_b64 s[0:1], s[0:1], 3
	s_add_u32 s0, s10, s0
	s_addc_u32 s1, s11, s1
	s_load_dwordx2 s[10:11], s[0:1], 0x0
	s_load_dwordx2 s[16:17], s[2:3], 0x0
	s_waitcnt lgkmcnt(0)
	v_mov_b32_e32 v4, s12
	v_mov_b32_e32 v5, s13
	ds_write_b64 v3, v[4:5] offset:4104
	v_mov_b32_e32 v4, s10
	v_mov_b32_e32 v5, s11
	v_mov_b32_e32 v6, s16
	v_mov_b32_e32 v7, s17
	ds_write_b128 v3, v[4:7] offset:2048
.LBB254_16:
	s_or_b64 exec, exec, s[8:9]
	s_waitcnt lgkmcnt(0)
	s_barrier
	s_and_saveexec_b64 s[0:1], s[4:5]
	s_cbranch_execz .LBB254_18
; %bb.17:
	s_movk_i32 s2, 0x1410
	v_add_u32_e64 v3, s2, 0
	ds_read2_b64 v[4:7], v3 offset1:255
	v_add_u32_e64 v8, 8, 0
	s_movk_i32 s2, 0x2410
	v_mov_b32_e32 v3, 0
	ds_read2st64_b64 v[8:11], v8 offset0:6 offset1:8
	ds_read2st64_b64 v[12:15], v3 offset1:2
	v_add_u32_e64 v16, s2, 0
	ds_read2_b64 v[16:19], v16 offset1:255
	s_waitcnt lgkmcnt(3)
	v_xor_b32_e32 v20, 0x80000000, v7
	v_mov_b32_e32 v21, v6
	s_waitcnt lgkmcnt(2)
	v_pk_mul_f32 v[20:21], v[10:11], v[20:21] op_sel:[1,0]
	s_nop 0
	v_pk_fma_f32 v[6:7], v[6:7], v[10:11], v[20:21] op_sel_hi:[1,0,1]
	s_waitcnt lgkmcnt(1)
	v_pk_add_f32 v[6:7], v[14:15], v[6:7] neg_lo:[0,1] neg_hi:[0,1]
	s_waitcnt lgkmcnt(0)
	v_xor_b32_e32 v14, 0x80000000, v19
	v_mov_b32_e32 v15, v18
	v_pk_mul_f32 v[14:15], v[12:13], v[14:15] op_sel:[1,0]
	s_nop 0
	v_pk_fma_f32 v[14:15], v[18:19], v[12:13], v[14:15] op_sel_hi:[1,0,1]
	s_nop 0
	v_pk_add_f32 v[6:7], v[6:7], v[14:15] neg_lo:[0,1] neg_hi:[0,1]
	ds_write_b64 v3, v[6:7] offset:1024
	v_xor_b32_e32 v6, 0x80000000, v5
	v_mov_b32_e32 v7, v4
	v_pk_mul_f32 v[6:7], v[10:11], v[6:7] op_sel:[1,0]
	s_nop 0
	v_pk_fma_f32 v[4:5], v[4:5], v[10:11], v[6:7] op_sel_hi:[1,0,1]
	v_xor_b32_e32 v6, 0x80000000, v17
	v_mov_b32_e32 v7, v16
	v_pk_mul_f32 v[6:7], v[12:13], v[6:7] op_sel:[1,0]
	v_pk_add_f32 v[4:5], v[8:9], v[4:5] neg_lo:[0,1] neg_hi:[0,1]
	v_pk_fma_f32 v[6:7], v[16:17], v[12:13], v[6:7] op_sel_hi:[1,0,1]
	s_nop 0
	v_pk_add_f32 v[4:5], v[4:5], v[6:7] neg_lo:[0,1] neg_hi:[0,1]
	ds_write_b64 v3, v[4:5] offset:3080
.LBB254_18:
	s_or_b64 exec, exec, s[0:1]
	v_cmp_gt_u32_e64 s[0:1], 2, v0
	s_waitcnt lgkmcnt(0)
	s_barrier
	s_and_saveexec_b64 s[2:3], s[0:1]
	s_cbranch_execz .LBB254_20
; %bb.19:
	v_lshlrev_b32_e32 v3, 10, v0
	v_add_u32_e32 v4, 0x1210, v3
	ds_read2_b64 v[4:7], v4 offset1:255
	v_add_u32_e32 v12, 8, v3
	ds_read2st64_b64 v[8:11], v3 offset1:1
	ds_read2st64_b64 v[12:15], v12 offset0:5 offset1:6
	v_add_u32_e32 v16, 0x2210, v3
	ds_read2_b64 v[16:19], v16 offset1:255
	s_waitcnt lgkmcnt(3)
	v_xor_b32_e32 v20, 0x80000000, v7
	v_mov_b32_e32 v21, v6
	s_waitcnt lgkmcnt(1)
	v_pk_mul_f32 v[20:21], v[14:15], v[20:21] op_sel:[1,0]
	s_nop 0
	v_pk_fma_f32 v[6:7], v[6:7], v[14:15], v[20:21] op_sel_hi:[1,0,1]
	s_nop 0
	v_pk_add_f32 v[6:7], v[10:11], v[6:7] neg_lo:[0,1] neg_hi:[0,1]
	s_waitcnt lgkmcnt(0)
	v_xor_b32_e32 v10, 0x80000000, v19
	v_mov_b32_e32 v11, v18
	v_pk_mul_f32 v[10:11], v[8:9], v[10:11] op_sel:[1,0]
	s_nop 0
	v_pk_fma_f32 v[10:11], v[18:19], v[8:9], v[10:11] op_sel_hi:[1,0,1]
	s_nop 0
	v_pk_add_f32 v[6:7], v[6:7], v[10:11] neg_lo:[0,1] neg_hi:[0,1]
	ds_write_b64 v3, v[6:7] offset:512
	v_xor_b32_e32 v6, 0x80000000, v5
	v_mov_b32_e32 v7, v4
	v_pk_mul_f32 v[6:7], v[14:15], v[6:7] op_sel:[1,0]
	s_nop 0
	v_pk_fma_f32 v[4:5], v[4:5], v[14:15], v[6:7] op_sel_hi:[1,0,1]
	v_xor_b32_e32 v6, 0x80000000, v17
	v_mov_b32_e32 v7, v16
	v_pk_mul_f32 v[6:7], v[8:9], v[6:7] op_sel:[1,0]
	v_pk_add_f32 v[4:5], v[12:13], v[4:5] neg_lo:[0,1] neg_hi:[0,1]
	v_pk_fma_f32 v[6:7], v[16:17], v[8:9], v[6:7] op_sel_hi:[1,0,1]
	s_nop 0
	v_pk_add_f32 v[4:5], v[4:5], v[6:7] neg_lo:[0,1] neg_hi:[0,1]
	ds_write_b64 v3, v[4:5] offset:2568
.LBB254_20:
	s_or_b64 exec, exec, s[2:3]
	v_cmp_gt_u32_e64 s[0:1], 4, v0
	s_waitcnt lgkmcnt(0)
	s_barrier
	s_and_saveexec_b64 s[2:3], s[0:1]
	s_cbranch_execz .LBB254_22
; %bb.21:
	v_lshlrev_b32_e32 v3, 9, v0
	v_add_u32_e32 v4, 0x1110, v3
	ds_read2_b64 v[4:7], v4 offset1:255
	v_add_u32_e32 v12, 0x800, v3
	ds_read2_b64 v[8:11], v3 offset1:32
	ds_read2_b64 v[12:15], v12 offset0:33 offset1:65
	v_add_u32_e32 v16, 0x2110, v3
	ds_read2_b64 v[16:19], v16 offset1:255
	s_waitcnt lgkmcnt(3)
	v_xor_b32_e32 v20, 0x80000000, v7
	v_mov_b32_e32 v21, v6
	s_waitcnt lgkmcnt(1)
	v_pk_mul_f32 v[20:21], v[14:15], v[20:21] op_sel:[1,0]
	s_nop 0
	v_pk_fma_f32 v[6:7], v[6:7], v[14:15], v[20:21] op_sel_hi:[1,0,1]
	s_nop 0
	v_pk_add_f32 v[6:7], v[10:11], v[6:7] neg_lo:[0,1] neg_hi:[0,1]
	s_waitcnt lgkmcnt(0)
	v_xor_b32_e32 v10, 0x80000000, v19
	v_mov_b32_e32 v11, v18
	v_pk_mul_f32 v[10:11], v[8:9], v[10:11] op_sel:[1,0]
	s_nop 0
	v_pk_fma_f32 v[10:11], v[18:19], v[8:9], v[10:11] op_sel_hi:[1,0,1]
	s_nop 0
	v_pk_add_f32 v[6:7], v[6:7], v[10:11] neg_lo:[0,1] neg_hi:[0,1]
	ds_write_b64 v3, v[6:7] offset:256
	v_xor_b32_e32 v6, 0x80000000, v5
	v_mov_b32_e32 v7, v4
	v_pk_mul_f32 v[6:7], v[14:15], v[6:7] op_sel:[1,0]
	s_nop 0
	v_pk_fma_f32 v[4:5], v[4:5], v[14:15], v[6:7] op_sel_hi:[1,0,1]
	v_xor_b32_e32 v6, 0x80000000, v17
	v_mov_b32_e32 v7, v16
	v_pk_mul_f32 v[6:7], v[8:9], v[6:7] op_sel:[1,0]
	v_pk_add_f32 v[4:5], v[12:13], v[4:5] neg_lo:[0,1] neg_hi:[0,1]
	v_pk_fma_f32 v[6:7], v[16:17], v[8:9], v[6:7] op_sel_hi:[1,0,1]
	s_nop 0
	v_pk_add_f32 v[4:5], v[4:5], v[6:7] neg_lo:[0,1] neg_hi:[0,1]
	ds_write_b64 v3, v[4:5] offset:2312
.LBB254_22:
	s_or_b64 exec, exec, s[2:3]
	v_cmp_gt_u32_e64 s[0:1], 8, v0
	s_waitcnt lgkmcnt(0)
	s_barrier
	s_and_saveexec_b64 s[2:3], s[0:1]
	s_cbranch_execz .LBB254_24
; %bb.23:
	v_lshlrev_b32_e32 v3, 8, v0
	v_add_u32_e32 v4, 0x1090, v3
	ds_read2_b64 v[4:7], v4 offset1:255
	v_add_u32_e32 v12, 0x800, v3
	ds_read2_b64 v[8:11], v3 offset1:16
	ds_read2_b64 v[12:15], v12 offset0:17 offset1:33
	v_add_u32_e32 v16, 0x2090, v3
	ds_read2_b64 v[16:19], v16 offset1:255
	s_waitcnt lgkmcnt(3)
	v_xor_b32_e32 v20, 0x80000000, v7
	v_mov_b32_e32 v21, v6
	s_waitcnt lgkmcnt(1)
	v_pk_mul_f32 v[20:21], v[14:15], v[20:21] op_sel:[1,0]
	s_nop 0
	v_pk_fma_f32 v[6:7], v[6:7], v[14:15], v[20:21] op_sel_hi:[1,0,1]
	s_nop 0
	v_pk_add_f32 v[6:7], v[10:11], v[6:7] neg_lo:[0,1] neg_hi:[0,1]
	s_waitcnt lgkmcnt(0)
	v_xor_b32_e32 v10, 0x80000000, v19
	v_mov_b32_e32 v11, v18
	v_pk_mul_f32 v[10:11], v[8:9], v[10:11] op_sel:[1,0]
	s_nop 0
	v_pk_fma_f32 v[10:11], v[18:19], v[8:9], v[10:11] op_sel_hi:[1,0,1]
	s_nop 0
	v_pk_add_f32 v[6:7], v[6:7], v[10:11] neg_lo:[0,1] neg_hi:[0,1]
	ds_write_b64 v3, v[6:7] offset:128
	v_xor_b32_e32 v6, 0x80000000, v5
	v_mov_b32_e32 v7, v4
	v_pk_mul_f32 v[6:7], v[14:15], v[6:7] op_sel:[1,0]
	s_nop 0
	v_pk_fma_f32 v[4:5], v[4:5], v[14:15], v[6:7] op_sel_hi:[1,0,1]
	v_xor_b32_e32 v6, 0x80000000, v17
	v_mov_b32_e32 v7, v16
	v_pk_mul_f32 v[6:7], v[8:9], v[6:7] op_sel:[1,0]
	v_pk_add_f32 v[4:5], v[12:13], v[4:5] neg_lo:[0,1] neg_hi:[0,1]
	v_pk_fma_f32 v[6:7], v[16:17], v[8:9], v[6:7] op_sel_hi:[1,0,1]
	s_nop 0
	v_pk_add_f32 v[4:5], v[4:5], v[6:7] neg_lo:[0,1] neg_hi:[0,1]
	ds_write_b64 v3, v[4:5] offset:2184
.LBB254_24:
	;; [unrolled: 47-line block ×5, first 2 shown]
	s_or_b64 exec, exec, s[2:3]
	s_movk_i32 s0, 0x80
	v_cmp_gt_u32_e64 s[0:1], s0, v0
	s_waitcnt lgkmcnt(0)
	s_barrier
	s_and_saveexec_b64 s[2:3], s[0:1]
	s_cbranch_execz .LBB254_32
; %bb.31:
	v_lshlrev_b32_e32 v3, 4, v0
	v_add_u32_e32 v0, 0x1018, v3
	ds_read_b128 v[4:7], v3 offset:2064
	ds_read2_b64 v[8:11], v0 offset1:255
	ds_read_b128 v[12:15], v3
	v_add_u32_e32 v16, 0x2018, v3
	ds_read2_b64 v[16:19], v16 offset1:255
	s_waitcnt lgkmcnt(3)
	v_mov_b32_e32 v0, v7
	s_waitcnt lgkmcnt(2)
	v_xor_b32_e32 v20, 0x80000000, v11
	v_mov_b32_e32 v21, v10
	v_pk_mul_f32 v[20:21], v[0:1], v[20:21] op_sel_hi:[0,1]
	v_pk_fma_f32 v[10:11], v[10:11], v[6:7], v[20:21] op_sel_hi:[1,0,1]
	s_waitcnt lgkmcnt(1)
	v_pk_add_f32 v[10:11], v[14:15], v[10:11] neg_lo:[0,1] neg_hi:[0,1]
	s_waitcnt lgkmcnt(0)
	v_xor_b32_e32 v14, 0x80000000, v19
	v_mov_b32_e32 v15, v18
	v_pk_mul_f32 v[14:15], v[12:13], v[14:15] op_sel:[1,0]
	s_nop 0
	v_pk_fma_f32 v[14:15], v[18:19], v[12:13], v[14:15] op_sel_hi:[1,0,1]
	s_nop 0
	v_pk_add_f32 v[10:11], v[10:11], v[14:15] neg_lo:[0,1] neg_hi:[0,1]
	ds_write_b64 v3, v[10:11] offset:8
	v_xor_b32_e32 v10, 0x80000000, v9
	v_mov_b32_e32 v11, v8
	v_pk_mul_f32 v[10:11], v[0:1], v[10:11] op_sel_hi:[0,1]
	v_pk_fma_f32 v[6:7], v[8:9], v[6:7], v[10:11] op_sel_hi:[1,0,1]
	s_nop 0
	v_pk_add_f32 v[4:5], v[4:5], v[6:7] neg_lo:[0,1] neg_hi:[0,1]
	v_xor_b32_e32 v6, 0x80000000, v17
	v_mov_b32_e32 v7, v16
	v_pk_mul_f32 v[6:7], v[12:13], v[6:7] op_sel:[1,0]
	s_nop 0
	v_pk_fma_f32 v[6:7], v[16:17], v[12:13], v[6:7] op_sel_hi:[1,0,1]
	s_nop 0
	v_pk_add_f32 v[4:5], v[4:5], v[6:7] neg_lo:[0,1] neg_hi:[0,1]
	ds_write_b64 v3, v[4:5] offset:2064
.LBB254_32:
	s_or_b64 exec, exec, s[2:3]
	s_waitcnt lgkmcnt(0)
	s_barrier
	s_and_saveexec_b64 s[0:1], vcc
	s_cbranch_execz .LBB254_34
; %bb.33:
	v_add_u32_e32 v0, 8, v1
	ds_read2st64_b64 v[4:7], v0 offset1:4
	v_ashrrev_i32_e32 v3, 31, v2
	v_add_u32_e32 v0, s14, v2
	v_mov_b32_e32 v1, 0
	v_lshl_add_u64 v[2:3], v[2:3], 3, s[6:7]
	v_lshl_add_u64 v[0:1], v[0:1], 3, s[6:7]
	s_waitcnt lgkmcnt(0)
	global_store_dwordx2 v[2:3], v[6:7], off
	global_store_dwordx2 v[0:1], v[4:5], off
.LBB254_34:
	s_endpgm
	.section	.rodata,"a",@progbits
	.p2align	6, 0x0
	.amdhsa_kernel _ZN9rocsparseL33gtsv_solve_spike_propagate_kernelILj256ELj128E21rocsparse_complex_numIfEEEviiiPT1_PKS3_S6_S6_
		.amdhsa_group_segment_fixed_size 12304
		.amdhsa_private_segment_fixed_size 0
		.amdhsa_kernarg_size 304
		.amdhsa_user_sgpr_count 2
		.amdhsa_user_sgpr_dispatch_ptr 0
		.amdhsa_user_sgpr_queue_ptr 0
		.amdhsa_user_sgpr_kernarg_segment_ptr 1
		.amdhsa_user_sgpr_dispatch_id 0
		.amdhsa_user_sgpr_kernarg_preload_length 0
		.amdhsa_user_sgpr_kernarg_preload_offset 0
		.amdhsa_user_sgpr_private_segment_size 0
		.amdhsa_uses_dynamic_stack 0
		.amdhsa_enable_private_segment 0
		.amdhsa_system_sgpr_workgroup_id_x 1
		.amdhsa_system_sgpr_workgroup_id_y 1
		.amdhsa_system_sgpr_workgroup_id_z 0
		.amdhsa_system_sgpr_workgroup_info 0
		.amdhsa_system_vgpr_workitem_id 0
		.amdhsa_next_free_vgpr 22
		.amdhsa_next_free_sgpr 18
		.amdhsa_accum_offset 24
		.amdhsa_reserve_vcc 1
		.amdhsa_float_round_mode_32 0
		.amdhsa_float_round_mode_16_64 0
		.amdhsa_float_denorm_mode_32 3
		.amdhsa_float_denorm_mode_16_64 3
		.amdhsa_dx10_clamp 1
		.amdhsa_ieee_mode 1
		.amdhsa_fp16_overflow 0
		.amdhsa_tg_split 0
		.amdhsa_exception_fp_ieee_invalid_op 0
		.amdhsa_exception_fp_denorm_src 0
		.amdhsa_exception_fp_ieee_div_zero 0
		.amdhsa_exception_fp_ieee_overflow 0
		.amdhsa_exception_fp_ieee_underflow 0
		.amdhsa_exception_fp_ieee_inexact 0
		.amdhsa_exception_int_div_zero 0
	.end_amdhsa_kernel
	.section	.text._ZN9rocsparseL33gtsv_solve_spike_propagate_kernelILj256ELj128E21rocsparse_complex_numIfEEEviiiPT1_PKS3_S6_S6_,"axG",@progbits,_ZN9rocsparseL33gtsv_solve_spike_propagate_kernelILj256ELj128E21rocsparse_complex_numIfEEEviiiPT1_PKS3_S6_S6_,comdat
.Lfunc_end254:
	.size	_ZN9rocsparseL33gtsv_solve_spike_propagate_kernelILj256ELj128E21rocsparse_complex_numIfEEEviiiPT1_PKS3_S6_S6_, .Lfunc_end254-_ZN9rocsparseL33gtsv_solve_spike_propagate_kernelILj256ELj128E21rocsparse_complex_numIfEEEviiiPT1_PKS3_S6_S6_
                                        ; -- End function
	.set _ZN9rocsparseL33gtsv_solve_spike_propagate_kernelILj256ELj128E21rocsparse_complex_numIfEEEviiiPT1_PKS3_S6_S6_.num_vgpr, 22
	.set _ZN9rocsparseL33gtsv_solve_spike_propagate_kernelILj256ELj128E21rocsparse_complex_numIfEEEviiiPT1_PKS3_S6_S6_.num_agpr, 0
	.set _ZN9rocsparseL33gtsv_solve_spike_propagate_kernelILj256ELj128E21rocsparse_complex_numIfEEEviiiPT1_PKS3_S6_S6_.numbered_sgpr, 18
	.set _ZN9rocsparseL33gtsv_solve_spike_propagate_kernelILj256ELj128E21rocsparse_complex_numIfEEEviiiPT1_PKS3_S6_S6_.num_named_barrier, 0
	.set _ZN9rocsparseL33gtsv_solve_spike_propagate_kernelILj256ELj128E21rocsparse_complex_numIfEEEviiiPT1_PKS3_S6_S6_.private_seg_size, 0
	.set _ZN9rocsparseL33gtsv_solve_spike_propagate_kernelILj256ELj128E21rocsparse_complex_numIfEEEviiiPT1_PKS3_S6_S6_.uses_vcc, 1
	.set _ZN9rocsparseL33gtsv_solve_spike_propagate_kernelILj256ELj128E21rocsparse_complex_numIfEEEviiiPT1_PKS3_S6_S6_.uses_flat_scratch, 0
	.set _ZN9rocsparseL33gtsv_solve_spike_propagate_kernelILj256ELj128E21rocsparse_complex_numIfEEEviiiPT1_PKS3_S6_S6_.has_dyn_sized_stack, 0
	.set _ZN9rocsparseL33gtsv_solve_spike_propagate_kernelILj256ELj128E21rocsparse_complex_numIfEEEviiiPT1_PKS3_S6_S6_.has_recursion, 0
	.set _ZN9rocsparseL33gtsv_solve_spike_propagate_kernelILj256ELj128E21rocsparse_complex_numIfEEEviiiPT1_PKS3_S6_S6_.has_indirect_call, 0
	.section	.AMDGPU.csdata,"",@progbits
; Kernel info:
; codeLenInByte = 3032
; TotalNumSgprs: 24
; NumVgprs: 22
; NumAgprs: 0
; TotalNumVgprs: 22
; ScratchSize: 0
; MemoryBound: 0
; FloatMode: 240
; IeeeMode: 1
; LDSByteSize: 12304 bytes/workgroup (compile time only)
; SGPRBlocks: 2
; VGPRBlocks: 2
; NumSGPRsForWavesPerEU: 24
; NumVGPRsForWavesPerEU: 22
; AccumOffset: 24
; Occupancy: 8
; WaveLimiterHint : 0
; COMPUTE_PGM_RSRC2:SCRATCH_EN: 0
; COMPUTE_PGM_RSRC2:USER_SGPR: 2
; COMPUTE_PGM_RSRC2:TRAP_HANDLER: 0
; COMPUTE_PGM_RSRC2:TGID_X_EN: 1
; COMPUTE_PGM_RSRC2:TGID_Y_EN: 1
; COMPUTE_PGM_RSRC2:TGID_Z_EN: 0
; COMPUTE_PGM_RSRC2:TIDIG_COMP_CNT: 0
; COMPUTE_PGM_RSRC3_GFX90A:ACCUM_OFFSET: 5
; COMPUTE_PGM_RSRC3_GFX90A:TG_SPLIT: 0
	.section	.text._ZN9rocsparseL39gtsv_spike_backward_substitution_kernelILj256ELj128E21rocsparse_complex_numIfEEEviiiPT1_PKS3_S6_,"axG",@progbits,_ZN9rocsparseL39gtsv_spike_backward_substitution_kernelILj256ELj128E21rocsparse_complex_numIfEEEviiiPT1_PKS3_S6_,comdat
	.globl	_ZN9rocsparseL39gtsv_spike_backward_substitution_kernelILj256ELj128E21rocsparse_complex_numIfEEEviiiPT1_PKS3_S6_ ; -- Begin function _ZN9rocsparseL39gtsv_spike_backward_substitution_kernelILj256ELj128E21rocsparse_complex_numIfEEEviiiPT1_PKS3_S6_
	.p2align	8
	.type	_ZN9rocsparseL39gtsv_spike_backward_substitution_kernelILj256ELj128E21rocsparse_complex_numIfEEEviiiPT1_PKS3_S6_,@function
_ZN9rocsparseL39gtsv_spike_backward_substitution_kernelILj256ELj128E21rocsparse_complex_numIfEEEviiiPT1_PKS3_S6_: ; @_ZN9rocsparseL39gtsv_spike_backward_substitution_kernelILj256ELj128E21rocsparse_complex_numIfEEEviiiPT1_PKS3_S6_
; %bb.0:
	s_load_dword s6, s[0:1], 0x0
	s_lshl_b32 s10, s2, 8
	v_or_b32_e32 v10, s10, v0
	s_waitcnt lgkmcnt(0)
	s_lshr_b32 s11, s6, 7
	v_cmp_gt_i32_e32 vcc, s11, v10
	s_and_saveexec_b64 s[4:5], vcc
	s_cbranch_execz .LBB255_9
; %bb.1:
	s_load_dwordx2 s[8:9], s[0:1], 0x10
	v_cmp_lt_i32_e32 vcc, 0, v10
	v_mov_b32_e32 v2, 0
	s_mul_i32 s2, s6, s3
	v_mov_b32_e32 v4, 0
	s_and_saveexec_b64 s[4:5], vcc
	s_cbranch_execz .LBB255_3
; %bb.2:
	s_mul_i32 s7, s11, 0x7f
	s_mul_i32 s3, s6, s3
	s_add_i32 s7, s7, s3
	v_add3_u32 v2, v10, s7, -1
	v_mov_b32_e32 v3, 0
	s_waitcnt lgkmcnt(0)
	v_lshl_add_u64 v[2:3], v[2:3], 3, s[8:9]
	global_load_dwordx2 v[2:3], v[2:3], off
	s_waitcnt vmcnt(0)
	v_mov_b32_e32 v4, v3
.LBB255_3:
	s_or_b64 exec, exec, s[4:5]
	v_add_u32_e32 v1, 0x80, v10
	v_cmp_le_u32_e32 vcc, s6, v1
	s_and_saveexec_b64 s[4:5], vcc
	s_xor_b64 s[4:5], exec, s[4:5]
; %bb.4:
                                        ; implicit-def: $vgpr10
; %bb.5:
	s_or_saveexec_b64 s[4:5], s[4:5]
	v_mov_b32_e32 v6, 0
	v_mov_b32_e32 v19, s2
	;; [unrolled: 1-line block ×3, first 2 shown]
	s_xor_b64 exec, exec, s[4:5]
	s_cbranch_execz .LBB255_7
; %bb.6:
	s_ashr_i32 s3, s2, 31
	v_ashrrev_i32_e32 v11, 31, v10
	v_lshl_add_u64 v[6:7], v[10:11], 0, s[2:3]
	s_waitcnt lgkmcnt(0)
	v_lshl_add_u64 v[6:7], v[6:7], 3, s[8:9]
	global_load_dwordx2 v[6:7], v[6:7], off offset:8
	v_mov_b32_e32 v19, s2
	s_waitcnt vmcnt(0)
	v_mov_b32_e32 v8, v7
.LBB255_7:
	s_or_b64 exec, exec, s[4:5]
	s_load_dwordx4 s[4:7], s[0:1], 0x18
	v_add_u32_e32 v17, v0, v19
	s_lshl_b32 s1, s11, 1
	v_add_u32_e32 v1, s1, v17
	v_add_u32_e32 v10, s1, v0
	s_mul_i32 s1, s11, 3
	v_add_u32_e32 v11, s1, v17
	v_add_u32_e32 v12, s1, v0
	s_lshl_b32 s1, s11, 2
	s_mul_i32 s0, s11, 6
	v_add_u32_e32 v13, s1, v17
	v_add_u32_e32 v14, s1, v0
	s_mul_i32 s1, s11, 5
	v_add_u32_e32 v16, s1, v0
	v_add_u32_e32 v18, s0, v0
	;; [unrolled: 1-line block ×3, first 2 shown]
	v_mov_b32_e32 v7, v6
	v_mov_b32_e32 v3, v2
	;; [unrolled: 1-line block ×4, first 2 shown]
	v_add_u32_e32 v15, s1, v17
	v_add_u32_e32 v17, s0, v17
	v_add_u32_e32 v19, v0, v19
	s_movk_i32 s1, 0x7e
.LBB255_8:                              ; =>This Inner Loop Header: Depth=1
	v_add_u32_e32 v20, s10, v0
	v_ashrrev_i32_e32 v21, 31, v20
	v_add_u32_e32 v22, s10, v19
	v_lshlrev_b64 v[20:21], 3, v[20:21]
	v_ashrrev_i32_e32 v23, 31, v22
	s_waitcnt lgkmcnt(0)
	v_lshl_add_u64 v[24:25], s[4:5], 0, v[20:21]
	v_lshl_add_u64 v[22:23], v[22:23], 3, s[8:9]
	;; [unrolled: 1-line block ×3, first 2 shown]
	global_load_dwordx2 v[26:27], v[24:25], off
	global_load_dwordx2 v[28:29], v[20:21], off
	;; [unrolled: 1-line block ×3, first 2 shown]
	v_add_u32_e32 v20, s10, v10
	v_ashrrev_i32_e32 v21, 31, v20
	v_lshlrev_b64 v[20:21], 3, v[20:21]
	v_lshl_add_u64 v[32:33], s[4:5], 0, v[20:21]
	v_lshl_add_u64 v[20:21], s[6:7], 0, v[20:21]
	global_load_dwordx2 v[34:35], v[32:33], off
	global_load_dwordx2 v[36:37], v[20:21], off
	v_add_u32_e32 v24, s10, v1
	v_ashrrev_i32_e32 v25, 31, v24
	v_lshl_add_u64 v[24:25], v[24:25], 3, s[8:9]
	s_add_i32 s1, s1, -6
	v_add_u32_e32 v1, s0, v1
	v_add_u32_e32 v10, s0, v10
	;; [unrolled: 1-line block ×4, first 2 shown]
	s_cmp_lg_u32 s1, 0
	s_waitcnt vmcnt(4)
	v_xor_b32_e32 v20, 0x80000000, v27
	v_mov_b32_e32 v21, v26
	s_waitcnt vmcnt(3)
	v_xor_b32_e32 v32, 0x80000000, v29
	v_mov_b32_e32 v33, v28
	v_pk_mul_f32 v[20:21], v[4:5], v[20:21]
	v_pk_mul_f32 v[32:33], v[8:9], v[32:33]
	v_pk_fma_f32 v[20:21], v[26:27], v[2:3], v[20:21]
	v_pk_fma_f32 v[26:27], v[28:29], v[6:7], v[32:33]
	s_waitcnt vmcnt(2)
	v_pk_add_f32 v[20:21], v[30:31], v[20:21] neg_lo:[0,1] neg_hi:[0,1]
	s_nop 0
	v_pk_add_f32 v[20:21], v[20:21], v[26:27] neg_lo:[0,1] neg_hi:[0,1]
	global_store_dwordx2 v[22:23], v[20:21], off
	global_load_dwordx2 v[20:21], v[24:25], off
	v_add_u32_e32 v22, s10, v12
	v_ashrrev_i32_e32 v23, 31, v22
	v_lshlrev_b64 v[22:23], 3, v[22:23]
	v_lshl_add_u64 v[28:29], s[4:5], 0, v[22:23]
	v_lshl_add_u64 v[22:23], s[6:7], 0, v[22:23]
	global_load_dwordx2 v[30:31], v[28:29], off
	global_load_dwordx2 v[32:33], v[22:23], off
	s_waitcnt vmcnt(5)
	v_xor_b32_e32 v22, 0x80000000, v35
	v_mov_b32_e32 v23, v34
	s_waitcnt vmcnt(4)
	v_xor_b32_e32 v28, 0x80000000, v37
	v_mov_b32_e32 v29, v36
	v_pk_mul_f32 v[22:23], v[4:5], v[22:23]
	v_pk_mul_f32 v[28:29], v[8:9], v[28:29]
	v_pk_fma_f32 v[22:23], v[34:35], v[2:3], v[22:23]
	v_add_u32_e32 v26, s10, v11
	v_pk_fma_f32 v[28:29], v[36:37], v[6:7], v[28:29]
	v_ashrrev_i32_e32 v27, 31, v26
	v_lshl_add_u64 v[26:27], v[26:27], 3, s[8:9]
	v_add_u32_e32 v11, s0, v11
	v_add_u32_e32 v12, s0, v12
	s_waitcnt vmcnt(2)
	v_pk_add_f32 v[20:21], v[20:21], v[22:23] neg_lo:[0,1] neg_hi:[0,1]
	s_nop 0
	v_pk_add_f32 v[20:21], v[20:21], v[28:29] neg_lo:[0,1] neg_hi:[0,1]
	global_store_dwordx2 v[24:25], v[20:21], off
	global_load_dwordx2 v[20:21], v[26:27], off
	v_add_u32_e32 v22, s10, v14
	v_ashrrev_i32_e32 v23, 31, v22
	v_lshlrev_b64 v[22:23], 3, v[22:23]
	v_lshl_add_u64 v[28:29], s[4:5], 0, v[22:23]
	v_lshl_add_u64 v[22:23], s[6:7], 0, v[22:23]
	global_load_dwordx2 v[34:35], v[28:29], off
	global_load_dwordx2 v[36:37], v[22:23], off
	s_waitcnt vmcnt(5)
	v_xor_b32_e32 v22, 0x80000000, v31
	v_mov_b32_e32 v23, v30
	s_waitcnt vmcnt(4)
	v_xor_b32_e32 v28, 0x80000000, v33
	v_mov_b32_e32 v29, v32
	v_pk_mul_f32 v[22:23], v[4:5], v[22:23]
	v_pk_mul_f32 v[28:29], v[8:9], v[28:29]
	v_pk_fma_f32 v[22:23], v[30:31], v[2:3], v[22:23]
	v_add_u32_e32 v24, s10, v13
	v_pk_fma_f32 v[28:29], v[32:33], v[6:7], v[28:29]
	v_ashrrev_i32_e32 v25, 31, v24
	v_lshl_add_u64 v[24:25], v[24:25], 3, s[8:9]
	v_add_u32_e32 v13, s0, v13
	v_add_u32_e32 v14, s0, v14
	;; [unrolled: 28-line block ×4, first 2 shown]
	s_waitcnt vmcnt(2)
	v_pk_add_f32 v[20:21], v[20:21], v[22:23] neg_lo:[0,1] neg_hi:[0,1]
	global_store_dwordx2 v[26:27], v[20:21], off
	v_pk_add_f32 v[20:21], v[20:21], v[28:29] neg_lo:[0,1] neg_hi:[0,1]
	global_store_dwordx2 v[26:27], v[20:21], off
	global_load_dwordx2 v[20:21], v[24:25], off
	s_waitcnt vmcnt(4)
	v_xor_b32_e32 v22, 0x80000000, v35
	v_mov_b32_e32 v23, v34
	s_waitcnt vmcnt(3)
	v_xor_b32_e32 v26, 0x80000000, v37
	v_mov_b32_e32 v27, v36
	v_pk_mul_f32 v[22:23], v[4:5], v[22:23]
	v_pk_mul_f32 v[26:27], v[8:9], v[26:27]
	v_pk_fma_f32 v[22:23], v[34:35], v[2:3], v[22:23]
	v_pk_fma_f32 v[26:27], v[36:37], v[6:7], v[26:27]
	s_waitcnt vmcnt(0)
	v_pk_add_f32 v[20:21], v[20:21], v[22:23] neg_lo:[0,1] neg_hi:[0,1]
	global_store_dwordx2 v[24:25], v[20:21], off
	v_pk_add_f32 v[20:21], v[20:21], v[26:27] neg_lo:[0,1] neg_hi:[0,1]
	global_store_dwordx2 v[24:25], v[20:21], off
	s_cbranch_scc1 .LBB255_8
.LBB255_9:
	s_endpgm
	.section	.rodata,"a",@progbits
	.p2align	6, 0x0
	.amdhsa_kernel _ZN9rocsparseL39gtsv_spike_backward_substitution_kernelILj256ELj128E21rocsparse_complex_numIfEEEviiiPT1_PKS3_S6_
		.amdhsa_group_segment_fixed_size 0
		.amdhsa_private_segment_fixed_size 0
		.amdhsa_kernarg_size 40
		.amdhsa_user_sgpr_count 2
		.amdhsa_user_sgpr_dispatch_ptr 0
		.amdhsa_user_sgpr_queue_ptr 0
		.amdhsa_user_sgpr_kernarg_segment_ptr 1
		.amdhsa_user_sgpr_dispatch_id 0
		.amdhsa_user_sgpr_kernarg_preload_length 0
		.amdhsa_user_sgpr_kernarg_preload_offset 0
		.amdhsa_user_sgpr_private_segment_size 0
		.amdhsa_uses_dynamic_stack 0
		.amdhsa_enable_private_segment 0
		.amdhsa_system_sgpr_workgroup_id_x 1
		.amdhsa_system_sgpr_workgroup_id_y 1
		.amdhsa_system_sgpr_workgroup_id_z 0
		.amdhsa_system_sgpr_workgroup_info 0
		.amdhsa_system_vgpr_workitem_id 0
		.amdhsa_next_free_vgpr 38
		.amdhsa_next_free_sgpr 12
		.amdhsa_accum_offset 40
		.amdhsa_reserve_vcc 1
		.amdhsa_float_round_mode_32 0
		.amdhsa_float_round_mode_16_64 0
		.amdhsa_float_denorm_mode_32 3
		.amdhsa_float_denorm_mode_16_64 3
		.amdhsa_dx10_clamp 1
		.amdhsa_ieee_mode 1
		.amdhsa_fp16_overflow 0
		.amdhsa_tg_split 0
		.amdhsa_exception_fp_ieee_invalid_op 0
		.amdhsa_exception_fp_denorm_src 0
		.amdhsa_exception_fp_ieee_div_zero 0
		.amdhsa_exception_fp_ieee_overflow 0
		.amdhsa_exception_fp_ieee_underflow 0
		.amdhsa_exception_fp_ieee_inexact 0
		.amdhsa_exception_int_div_zero 0
	.end_amdhsa_kernel
	.section	.text._ZN9rocsparseL39gtsv_spike_backward_substitution_kernelILj256ELj128E21rocsparse_complex_numIfEEEviiiPT1_PKS3_S6_,"axG",@progbits,_ZN9rocsparseL39gtsv_spike_backward_substitution_kernelILj256ELj128E21rocsparse_complex_numIfEEEviiiPT1_PKS3_S6_,comdat
.Lfunc_end255:
	.size	_ZN9rocsparseL39gtsv_spike_backward_substitution_kernelILj256ELj128E21rocsparse_complex_numIfEEEviiiPT1_PKS3_S6_, .Lfunc_end255-_ZN9rocsparseL39gtsv_spike_backward_substitution_kernelILj256ELj128E21rocsparse_complex_numIfEEEviiiPT1_PKS3_S6_
                                        ; -- End function
	.set _ZN9rocsparseL39gtsv_spike_backward_substitution_kernelILj256ELj128E21rocsparse_complex_numIfEEEviiiPT1_PKS3_S6_.num_vgpr, 38
	.set _ZN9rocsparseL39gtsv_spike_backward_substitution_kernelILj256ELj128E21rocsparse_complex_numIfEEEviiiPT1_PKS3_S6_.num_agpr, 0
	.set _ZN9rocsparseL39gtsv_spike_backward_substitution_kernelILj256ELj128E21rocsparse_complex_numIfEEEviiiPT1_PKS3_S6_.numbered_sgpr, 12
	.set _ZN9rocsparseL39gtsv_spike_backward_substitution_kernelILj256ELj128E21rocsparse_complex_numIfEEEviiiPT1_PKS3_S6_.num_named_barrier, 0
	.set _ZN9rocsparseL39gtsv_spike_backward_substitution_kernelILj256ELj128E21rocsparse_complex_numIfEEEviiiPT1_PKS3_S6_.private_seg_size, 0
	.set _ZN9rocsparseL39gtsv_spike_backward_substitution_kernelILj256ELj128E21rocsparse_complex_numIfEEEviiiPT1_PKS3_S6_.uses_vcc, 1
	.set _ZN9rocsparseL39gtsv_spike_backward_substitution_kernelILj256ELj128E21rocsparse_complex_numIfEEEviiiPT1_PKS3_S6_.uses_flat_scratch, 0
	.set _ZN9rocsparseL39gtsv_spike_backward_substitution_kernelILj256ELj128E21rocsparse_complex_numIfEEEviiiPT1_PKS3_S6_.has_dyn_sized_stack, 0
	.set _ZN9rocsparseL39gtsv_spike_backward_substitution_kernelILj256ELj128E21rocsparse_complex_numIfEEEviiiPT1_PKS3_S6_.has_recursion, 0
	.set _ZN9rocsparseL39gtsv_spike_backward_substitution_kernelILj256ELj128E21rocsparse_complex_numIfEEEviiiPT1_PKS3_S6_.has_indirect_call, 0
	.section	.AMDGPU.csdata,"",@progbits
; Kernel info:
; codeLenInByte = 1408
; TotalNumSgprs: 18
; NumVgprs: 38
; NumAgprs: 0
; TotalNumVgprs: 38
; ScratchSize: 0
; MemoryBound: 0
; FloatMode: 240
; IeeeMode: 1
; LDSByteSize: 0 bytes/workgroup (compile time only)
; SGPRBlocks: 2
; VGPRBlocks: 4
; NumSGPRsForWavesPerEU: 18
; NumVGPRsForWavesPerEU: 38
; AccumOffset: 40
; Occupancy: 8
; WaveLimiterHint : 0
; COMPUTE_PGM_RSRC2:SCRATCH_EN: 0
; COMPUTE_PGM_RSRC2:USER_SGPR: 2
; COMPUTE_PGM_RSRC2:TRAP_HANDLER: 0
; COMPUTE_PGM_RSRC2:TGID_X_EN: 1
; COMPUTE_PGM_RSRC2:TGID_Y_EN: 1
; COMPUTE_PGM_RSRC2:TGID_Z_EN: 0
; COMPUTE_PGM_RSRC2:TIDIG_COMP_CNT: 0
; COMPUTE_PGM_RSRC3_GFX90A:ACCUM_OFFSET: 9
; COMPUTE_PGM_RSRC3_GFX90A:TG_SPLIT: 0
	.section	.text._ZN9rocsparseL32gtsv_transpose_back_array_kernelILj256ELj128E21rocsparse_complex_numIfEEEviiiPKT1_PS3_,"axG",@progbits,_ZN9rocsparseL32gtsv_transpose_back_array_kernelILj256ELj128E21rocsparse_complex_numIfEEEviiiPKT1_PS3_,comdat
	.globl	_ZN9rocsparseL32gtsv_transpose_back_array_kernelILj256ELj128E21rocsparse_complex_numIfEEEviiiPKT1_PS3_ ; -- Begin function _ZN9rocsparseL32gtsv_transpose_back_array_kernelILj256ELj128E21rocsparse_complex_numIfEEEviiiPKT1_PS3_
	.p2align	8
	.type	_ZN9rocsparseL32gtsv_transpose_back_array_kernelILj256ELj128E21rocsparse_complex_numIfEEEviiiPKT1_PS3_,@function
_ZN9rocsparseL32gtsv_transpose_back_array_kernelILj256ELj128E21rocsparse_complex_numIfEEEviiiPKT1_PS3_: ; @_ZN9rocsparseL32gtsv_transpose_back_array_kernelILj256ELj128E21rocsparse_complex_numIfEEEviiiPKT1_PS3_
; %bb.0:
	s_load_dwordx4 s[4:7], s[0:1], 0x0
	v_lshl_or_b32 v0, s2, 8, v0
	v_lshlrev_b32_e32 v2, 7, v0
	s_waitcnt lgkmcnt(0)
	v_cvt_f32_u32_e32 v1, s5
	s_sub_i32 s2, 0, s5
	v_rcp_iflag_f32_e32 v1, v1
	s_nop 0
	v_mul_f32_e32 v1, 0x4f7ffffe, v1
	v_cvt_u32_f32_e32 v1, v1
	v_mul_lo_u32 v3, s2, v1
	v_mul_hi_u32 v3, v1, v3
	v_add_u32_e32 v1, v1, v3
	v_mul_hi_u32 v1, v2, v1
	v_mul_lo_u32 v3, v1, s5
	v_sub_u32_e32 v3, v2, v3
	v_add_u32_e32 v4, 1, v1
	v_cmp_le_u32_e32 vcc, s5, v3
	s_nop 1
	v_cndmask_b32_e32 v1, v1, v4, vcc
	v_subrev_u32_e32 v4, s5, v3
	v_cndmask_b32_e32 v3, v3, v4, vcc
	v_add_u32_e32 v4, 1, v1
	v_cmp_le_u32_e32 vcc, s5, v3
	s_nop 1
	v_cndmask_b32_e32 v1, v1, v4, vcc
	v_mul_lo_u32 v3, v1, s5
	v_sub_u32_e32 v2, v2, v3
	v_add_u32_e32 v1, v1, v2
	v_cmp_gt_i32_e32 vcc, s4, v1
	s_and_saveexec_b64 s[8:9], vcc
	s_cbranch_execz .LBB256_2
; %bb.1:
	s_load_dwordx4 s[8:11], s[0:1], 0x10
	s_mul_i32 s0, s5, s3
	v_add_u32_e32 v2, s0, v0
	v_ashrrev_i32_e32 v3, 31, v2
	s_mul_i32 s0, s6, s3
	s_waitcnt lgkmcnt(0)
	v_lshl_add_u64 v[2:3], v[2:3], 3, s[8:9]
	global_load_dwordx2 v[2:3], v[2:3], off
	v_add_u32_e32 v0, s0, v1
	v_ashrrev_i32_e32 v1, 31, v0
	v_lshl_add_u64 v[0:1], v[0:1], 3, s[10:11]
	s_waitcnt vmcnt(0)
	global_store_dwordx2 v[0:1], v[2:3], off
.LBB256_2:
	s_endpgm
	.section	.rodata,"a",@progbits
	.p2align	6, 0x0
	.amdhsa_kernel _ZN9rocsparseL32gtsv_transpose_back_array_kernelILj256ELj128E21rocsparse_complex_numIfEEEviiiPKT1_PS3_
		.amdhsa_group_segment_fixed_size 0
		.amdhsa_private_segment_fixed_size 0
		.amdhsa_kernarg_size 32
		.amdhsa_user_sgpr_count 2
		.amdhsa_user_sgpr_dispatch_ptr 0
		.amdhsa_user_sgpr_queue_ptr 0
		.amdhsa_user_sgpr_kernarg_segment_ptr 1
		.amdhsa_user_sgpr_dispatch_id 0
		.amdhsa_user_sgpr_kernarg_preload_length 0
		.amdhsa_user_sgpr_kernarg_preload_offset 0
		.amdhsa_user_sgpr_private_segment_size 0
		.amdhsa_uses_dynamic_stack 0
		.amdhsa_enable_private_segment 0
		.amdhsa_system_sgpr_workgroup_id_x 1
		.amdhsa_system_sgpr_workgroup_id_y 1
		.amdhsa_system_sgpr_workgroup_id_z 0
		.amdhsa_system_sgpr_workgroup_info 0
		.amdhsa_system_vgpr_workitem_id 0
		.amdhsa_next_free_vgpr 5
		.amdhsa_next_free_sgpr 12
		.amdhsa_accum_offset 8
		.amdhsa_reserve_vcc 1
		.amdhsa_float_round_mode_32 0
		.amdhsa_float_round_mode_16_64 0
		.amdhsa_float_denorm_mode_32 3
		.amdhsa_float_denorm_mode_16_64 3
		.amdhsa_dx10_clamp 1
		.amdhsa_ieee_mode 1
		.amdhsa_fp16_overflow 0
		.amdhsa_tg_split 0
		.amdhsa_exception_fp_ieee_invalid_op 0
		.amdhsa_exception_fp_denorm_src 0
		.amdhsa_exception_fp_ieee_div_zero 0
		.amdhsa_exception_fp_ieee_overflow 0
		.amdhsa_exception_fp_ieee_underflow 0
		.amdhsa_exception_fp_ieee_inexact 0
		.amdhsa_exception_int_div_zero 0
	.end_amdhsa_kernel
	.section	.text._ZN9rocsparseL32gtsv_transpose_back_array_kernelILj256ELj128E21rocsparse_complex_numIfEEEviiiPKT1_PS3_,"axG",@progbits,_ZN9rocsparseL32gtsv_transpose_back_array_kernelILj256ELj128E21rocsparse_complex_numIfEEEviiiPKT1_PS3_,comdat
.Lfunc_end256:
	.size	_ZN9rocsparseL32gtsv_transpose_back_array_kernelILj256ELj128E21rocsparse_complex_numIfEEEviiiPKT1_PS3_, .Lfunc_end256-_ZN9rocsparseL32gtsv_transpose_back_array_kernelILj256ELj128E21rocsparse_complex_numIfEEEviiiPKT1_PS3_
                                        ; -- End function
	.set _ZN9rocsparseL32gtsv_transpose_back_array_kernelILj256ELj128E21rocsparse_complex_numIfEEEviiiPKT1_PS3_.num_vgpr, 5
	.set _ZN9rocsparseL32gtsv_transpose_back_array_kernelILj256ELj128E21rocsparse_complex_numIfEEEviiiPKT1_PS3_.num_agpr, 0
	.set _ZN9rocsparseL32gtsv_transpose_back_array_kernelILj256ELj128E21rocsparse_complex_numIfEEEviiiPKT1_PS3_.numbered_sgpr, 12
	.set _ZN9rocsparseL32gtsv_transpose_back_array_kernelILj256ELj128E21rocsparse_complex_numIfEEEviiiPKT1_PS3_.num_named_barrier, 0
	.set _ZN9rocsparseL32gtsv_transpose_back_array_kernelILj256ELj128E21rocsparse_complex_numIfEEEviiiPKT1_PS3_.private_seg_size, 0
	.set _ZN9rocsparseL32gtsv_transpose_back_array_kernelILj256ELj128E21rocsparse_complex_numIfEEEviiiPKT1_PS3_.uses_vcc, 1
	.set _ZN9rocsparseL32gtsv_transpose_back_array_kernelILj256ELj128E21rocsparse_complex_numIfEEEviiiPKT1_PS3_.uses_flat_scratch, 0
	.set _ZN9rocsparseL32gtsv_transpose_back_array_kernelILj256ELj128E21rocsparse_complex_numIfEEEviiiPKT1_PS3_.has_dyn_sized_stack, 0
	.set _ZN9rocsparseL32gtsv_transpose_back_array_kernelILj256ELj128E21rocsparse_complex_numIfEEEviiiPKT1_PS3_.has_recursion, 0
	.set _ZN9rocsparseL32gtsv_transpose_back_array_kernelILj256ELj128E21rocsparse_complex_numIfEEEviiiPKT1_PS3_.has_indirect_call, 0
	.section	.AMDGPU.csdata,"",@progbits
; Kernel info:
; codeLenInByte = 236
; TotalNumSgprs: 18
; NumVgprs: 5
; NumAgprs: 0
; TotalNumVgprs: 5
; ScratchSize: 0
; MemoryBound: 0
; FloatMode: 240
; IeeeMode: 1
; LDSByteSize: 0 bytes/workgroup (compile time only)
; SGPRBlocks: 2
; VGPRBlocks: 0
; NumSGPRsForWavesPerEU: 18
; NumVGPRsForWavesPerEU: 5
; AccumOffset: 8
; Occupancy: 8
; WaveLimiterHint : 0
; COMPUTE_PGM_RSRC2:SCRATCH_EN: 0
; COMPUTE_PGM_RSRC2:USER_SGPR: 2
; COMPUTE_PGM_RSRC2:TRAP_HANDLER: 0
; COMPUTE_PGM_RSRC2:TGID_X_EN: 1
; COMPUTE_PGM_RSRC2:TGID_Y_EN: 1
; COMPUTE_PGM_RSRC2:TGID_Z_EN: 0
; COMPUTE_PGM_RSRC2:TIDIG_COMP_CNT: 0
; COMPUTE_PGM_RSRC3_GFX90A:ACCUM_OFFSET: 1
; COMPUTE_PGM_RSRC3_GFX90A:TG_SPLIT: 0
	.section	.text._ZN9rocsparseL42gtsv_transpose_and_pad_array_shared_kernelILj256ELj256E21rocsparse_complex_numIfEEEviiiPKT1_PS3_S3_,"axG",@progbits,_ZN9rocsparseL42gtsv_transpose_and_pad_array_shared_kernelILj256ELj256E21rocsparse_complex_numIfEEEviiiPKT1_PS3_S3_,comdat
	.globl	_ZN9rocsparseL42gtsv_transpose_and_pad_array_shared_kernelILj256ELj256E21rocsparse_complex_numIfEEEviiiPKT1_PS3_S3_ ; -- Begin function _ZN9rocsparseL42gtsv_transpose_and_pad_array_shared_kernelILj256ELj256E21rocsparse_complex_numIfEEEviiiPKT1_PS3_S3_
	.p2align	8
	.type	_ZN9rocsparseL42gtsv_transpose_and_pad_array_shared_kernelILj256ELj256E21rocsparse_complex_numIfEEEviiiPKT1_PS3_S3_,@function
_ZN9rocsparseL42gtsv_transpose_and_pad_array_shared_kernelILj256ELj256E21rocsparse_complex_numIfEEEviiiPKT1_PS3_S3_: ; @_ZN9rocsparseL42gtsv_transpose_and_pad_array_shared_kernelILj256ELj256E21rocsparse_complex_numIfEEEviiiPKT1_PS3_S3_
; %bb.0:
	s_load_dwordx4 s[4:7], s[0:1], 0x0
	v_lshl_or_b32 v1, s2, 8, v0
                                        ; implicit-def: $sgpr10_sgpr11
	s_waitcnt lgkmcnt(0)
	v_cmp_le_i32_e32 vcc, s4, v1
	s_and_saveexec_b64 s[8:9], vcc
	s_xor_b64 s[8:9], exec, s[8:9]
; %bb.1:
	s_load_dwordx2 s[10:11], s[0:1], 0x20
                                        ; implicit-def: $vgpr1
; %bb.2:
	s_or_saveexec_b64 s[8:9], s[8:9]
	s_waitcnt lgkmcnt(0)
	v_mov_b64_e32 v[2:3], s[10:11]
	s_xor_b64 exec, exec, s[8:9]
	s_cbranch_execz .LBB257_4
; %bb.3:
	s_load_dwordx2 s[10:11], s[0:1], 0x10
	s_mul_i32 s4, s6, s3
	v_add_u32_e32 v2, s4, v1
	v_ashrrev_i32_e32 v3, 31, v2
	s_waitcnt lgkmcnt(0)
	v_lshl_add_u64 v[2:3], v[2:3], 3, s[10:11]
	global_load_dwordx2 v[2:3], v[2:3], off
.LBB257_4:
	s_or_b64 exec, exec, s[8:9]
	v_lshlrev_b32_e32 v1, 3, v0
	s_waitcnt vmcnt(0)
	ds_write_b64 v1, v[2:3]
	s_lshr_b32 s4, s5, 8
	v_mov_b32_e32 v2, s2
	v_mad_u32_u24 v0, s4, v0, v2
	v_cmp_gt_i32_e32 vcc, s5, v0
	s_waitcnt lgkmcnt(0)
	s_barrier
	s_and_saveexec_b64 s[6:7], vcc
	s_cbranch_execz .LBB257_6
; %bb.5:
	s_load_dwordx2 s[0:1], s[0:1], 0x18
	ds_read_b64 v[2:3], v1
	s_mul_i32 s2, s5, s3
	v_add_u32_e32 v0, s2, v0
	v_ashrrev_i32_e32 v1, 31, v0
	s_waitcnt lgkmcnt(0)
	v_lshl_add_u64 v[0:1], v[0:1], 3, s[0:1]
	global_store_dwordx2 v[0:1], v[2:3], off
.LBB257_6:
	s_endpgm
	.section	.rodata,"a",@progbits
	.p2align	6, 0x0
	.amdhsa_kernel _ZN9rocsparseL42gtsv_transpose_and_pad_array_shared_kernelILj256ELj256E21rocsparse_complex_numIfEEEviiiPKT1_PS3_S3_
		.amdhsa_group_segment_fixed_size 2048
		.amdhsa_private_segment_fixed_size 0
		.amdhsa_kernarg_size 40
		.amdhsa_user_sgpr_count 2
		.amdhsa_user_sgpr_dispatch_ptr 0
		.amdhsa_user_sgpr_queue_ptr 0
		.amdhsa_user_sgpr_kernarg_segment_ptr 1
		.amdhsa_user_sgpr_dispatch_id 0
		.amdhsa_user_sgpr_kernarg_preload_length 0
		.amdhsa_user_sgpr_kernarg_preload_offset 0
		.amdhsa_user_sgpr_private_segment_size 0
		.amdhsa_uses_dynamic_stack 0
		.amdhsa_enable_private_segment 0
		.amdhsa_system_sgpr_workgroup_id_x 1
		.amdhsa_system_sgpr_workgroup_id_y 1
		.amdhsa_system_sgpr_workgroup_id_z 0
		.amdhsa_system_sgpr_workgroup_info 0
		.amdhsa_system_vgpr_workitem_id 0
		.amdhsa_next_free_vgpr 4
		.amdhsa_next_free_sgpr 12
		.amdhsa_accum_offset 4
		.amdhsa_reserve_vcc 1
		.amdhsa_float_round_mode_32 0
		.amdhsa_float_round_mode_16_64 0
		.amdhsa_float_denorm_mode_32 3
		.amdhsa_float_denorm_mode_16_64 3
		.amdhsa_dx10_clamp 1
		.amdhsa_ieee_mode 1
		.amdhsa_fp16_overflow 0
		.amdhsa_tg_split 0
		.amdhsa_exception_fp_ieee_invalid_op 0
		.amdhsa_exception_fp_denorm_src 0
		.amdhsa_exception_fp_ieee_div_zero 0
		.amdhsa_exception_fp_ieee_overflow 0
		.amdhsa_exception_fp_ieee_underflow 0
		.amdhsa_exception_fp_ieee_inexact 0
		.amdhsa_exception_int_div_zero 0
	.end_amdhsa_kernel
	.section	.text._ZN9rocsparseL42gtsv_transpose_and_pad_array_shared_kernelILj256ELj256E21rocsparse_complex_numIfEEEviiiPKT1_PS3_S3_,"axG",@progbits,_ZN9rocsparseL42gtsv_transpose_and_pad_array_shared_kernelILj256ELj256E21rocsparse_complex_numIfEEEviiiPKT1_PS3_S3_,comdat
.Lfunc_end257:
	.size	_ZN9rocsparseL42gtsv_transpose_and_pad_array_shared_kernelILj256ELj256E21rocsparse_complex_numIfEEEviiiPKT1_PS3_S3_, .Lfunc_end257-_ZN9rocsparseL42gtsv_transpose_and_pad_array_shared_kernelILj256ELj256E21rocsparse_complex_numIfEEEviiiPKT1_PS3_S3_
                                        ; -- End function
	.set _ZN9rocsparseL42gtsv_transpose_and_pad_array_shared_kernelILj256ELj256E21rocsparse_complex_numIfEEEviiiPKT1_PS3_S3_.num_vgpr, 4
	.set _ZN9rocsparseL42gtsv_transpose_and_pad_array_shared_kernelILj256ELj256E21rocsparse_complex_numIfEEEviiiPKT1_PS3_S3_.num_agpr, 0
	.set _ZN9rocsparseL42gtsv_transpose_and_pad_array_shared_kernelILj256ELj256E21rocsparse_complex_numIfEEEviiiPKT1_PS3_S3_.numbered_sgpr, 12
	.set _ZN9rocsparseL42gtsv_transpose_and_pad_array_shared_kernelILj256ELj256E21rocsparse_complex_numIfEEEviiiPKT1_PS3_S3_.num_named_barrier, 0
	.set _ZN9rocsparseL42gtsv_transpose_and_pad_array_shared_kernelILj256ELj256E21rocsparse_complex_numIfEEEviiiPKT1_PS3_S3_.private_seg_size, 0
	.set _ZN9rocsparseL42gtsv_transpose_and_pad_array_shared_kernelILj256ELj256E21rocsparse_complex_numIfEEEviiiPKT1_PS3_S3_.uses_vcc, 1
	.set _ZN9rocsparseL42gtsv_transpose_and_pad_array_shared_kernelILj256ELj256E21rocsparse_complex_numIfEEEviiiPKT1_PS3_S3_.uses_flat_scratch, 0
	.set _ZN9rocsparseL42gtsv_transpose_and_pad_array_shared_kernelILj256ELj256E21rocsparse_complex_numIfEEEviiiPKT1_PS3_S3_.has_dyn_sized_stack, 0
	.set _ZN9rocsparseL42gtsv_transpose_and_pad_array_shared_kernelILj256ELj256E21rocsparse_complex_numIfEEEviiiPKT1_PS3_S3_.has_recursion, 0
	.set _ZN9rocsparseL42gtsv_transpose_and_pad_array_shared_kernelILj256ELj256E21rocsparse_complex_numIfEEEviiiPKT1_PS3_S3_.has_indirect_call, 0
	.section	.AMDGPU.csdata,"",@progbits
; Kernel info:
; codeLenInByte = 208
; TotalNumSgprs: 18
; NumVgprs: 4
; NumAgprs: 0
; TotalNumVgprs: 4
; ScratchSize: 0
; MemoryBound: 0
; FloatMode: 240
; IeeeMode: 1
; LDSByteSize: 2048 bytes/workgroup (compile time only)
; SGPRBlocks: 2
; VGPRBlocks: 0
; NumSGPRsForWavesPerEU: 18
; NumVGPRsForWavesPerEU: 4
; AccumOffset: 4
; Occupancy: 8
; WaveLimiterHint : 0
; COMPUTE_PGM_RSRC2:SCRATCH_EN: 0
; COMPUTE_PGM_RSRC2:USER_SGPR: 2
; COMPUTE_PGM_RSRC2:TRAP_HANDLER: 0
; COMPUTE_PGM_RSRC2:TGID_X_EN: 1
; COMPUTE_PGM_RSRC2:TGID_Y_EN: 1
; COMPUTE_PGM_RSRC2:TGID_Z_EN: 0
; COMPUTE_PGM_RSRC2:TIDIG_COMP_CNT: 0
; COMPUTE_PGM_RSRC3_GFX90A:ACCUM_OFFSET: 0
; COMPUTE_PGM_RSRC3_GFX90A:TG_SPLIT: 0
	.section	.text._ZN9rocsparseL18gtsv_LBM_wv_kernelILj256ELj256E21rocsparse_complex_numIfEEEviiiPKT1_S5_S5_PS3_S6_S6_Pi,"axG",@progbits,_ZN9rocsparseL18gtsv_LBM_wv_kernelILj256ELj256E21rocsparse_complex_numIfEEEviiiPKT1_S5_S5_PS3_S6_S6_Pi,comdat
	.globl	_ZN9rocsparseL18gtsv_LBM_wv_kernelILj256ELj256E21rocsparse_complex_numIfEEEviiiPKT1_S5_S5_PS3_S6_S6_Pi ; -- Begin function _ZN9rocsparseL18gtsv_LBM_wv_kernelILj256ELj256E21rocsparse_complex_numIfEEEviiiPKT1_S5_S5_PS3_S6_S6_Pi
	.p2align	8
	.type	_ZN9rocsparseL18gtsv_LBM_wv_kernelILj256ELj256E21rocsparse_complex_numIfEEEviiiPKT1_S5_S5_PS3_S6_S6_Pi,@function
_ZN9rocsparseL18gtsv_LBM_wv_kernelILj256ELj256E21rocsparse_complex_numIfEEEviiiPKT1_S5_S5_PS3_S6_S6_Pi: ; @_ZN9rocsparseL18gtsv_LBM_wv_kernelILj256ELj256E21rocsparse_complex_numIfEEEviiiPKT1_S5_S5_PS3_S6_S6_Pi
; %bb.0:
	s_load_dword s29, s[0:1], 0x0
	v_lshl_or_b32 v0, s2, 8, v0
	s_waitcnt lgkmcnt(0)
	s_lshr_b32 s28, s29, 8
	v_cmp_gt_i32_e32 vcc, s28, v0
	s_and_saveexec_b64 s[2:3], vcc
	s_cbranch_execz .LBB258_72
; %bb.1:
	s_load_dwordx2 s[16:17], s[0:1], 0x10
	s_load_dwordx8 s[8:15], s[0:1], 0x20
	v_ashrrev_i32_e32 v1, 31, v0
	s_mul_i32 s30, s28, 0xff
	v_lshlrev_b64 v[2:3], 3, v[0:1]
	v_add_u32_e32 v6, s30, v0
	v_mov_b32_e32 v7, 0
	s_waitcnt lgkmcnt(0)
	v_lshl_add_u64 v[4:5], s[16:17], 0, v[2:3]
	v_lshlrev_b64 v[8:9], 3, v[6:7]
	global_load_dwordx2 v[4:5], v[4:5], off
	v_lshl_add_u64 v[10:11], s[8:9], 0, v[8:9]
	global_load_dwordx2 v[10:11], v[10:11], off
	s_load_dwordx2 s[6:7], s[0:1], 0x40
	v_lshl_add_u64 v[2:3], s[10:11], 0, v[2:3]
	s_cmp_lt_i32 s29, 1
	v_add_u32_e32 v46, s28, v0
	v_lshl_add_u64 v[8:9], s[12:13], 0, v[8:9]
	s_waitcnt vmcnt(1)
	global_store_dwordx2 v[2:3], v[4:5], off
	s_waitcnt vmcnt(1)
	global_store_dwordx2 v[8:9], v[10:11], off
	v_mov_b32_e32 v4, v7
	s_cbranch_scc1 .LBB258_65
; %bb.2:
	s_load_dwordx2 s[18:19], s[0:1], 0x18
	s_mov_b32 s22, 0x372fe950
	s_mul_i32 s31, s28, 0xfe
	s_lshl_b32 s33, s28, 1
	v_mov_b32_e32 v50, 0
	s_waitcnt lgkmcnt(0)
	v_lshl_add_u64 v[4:5], v[0:1], 3, s[18:19]
	global_load_dwordx2 v[6:7], v[4:5], off
	v_add_u32_e32 v1, s28, v46
	s_mov_b64 s[20:21], 0
	s_mov_b32 s34, 0xf800000
	v_mov_b32_e32 v47, 0x260
	s_mov_b32 s23, 0x3fe3c6ef
	v_mov_b32_e32 v48, 2
	v_mov_b32_e32 v49, 1
	;; [unrolled: 1-line block ×3, first 2 shown]
	s_branch .LBB258_5
.LBB258_3:                              ;   in Loop: Header=BB258_5 Depth=1
	s_or_b64 exec, exec, s[4:5]
	v_xor_b32_e32 v8, 0x80000000, v25
	v_mov_b32_e32 v9, v24
	v_pk_mul_f32 v[8:9], v[16:17], v[8:9] op_sel_hi:[0,1]
	v_pk_fma_f32 v[6:7], v[24:25], v[6:7], v[8:9] op_sel_hi:[1,0,1]
	v_mov_b32_e32 v5, s28
	v_pk_add_f32 v[6:7], v[12:13], v[6:7] neg_lo:[0,1] neg_hi:[0,1]
.LBB258_4:                              ;   in Loop: Header=BB258_5 Depth=1
	s_or_b64 exec, exec, s[2:3]
	v_add_u32_e32 v4, v5, v4
	v_cmp_le_i32_e32 vcc, s29, v4
	s_or_b64 s[20:21], vcc, s[20:21]
	s_andn2_b64 exec, exec, s[20:21]
	s_cbranch_execz .LBB258_64
.LBB258_5:                              ; =>This Inner Loop Header: Depth=1
	v_add_u32_e32 v20, v4, v0
	v_ashrrev_i32_e32 v21, 31, v20
	v_lshl_add_u64 v[8:9], v[20:21], 3, s[8:9]
	global_load_dwordx2 v[14:15], v[8:9], off
	v_cmp_gt_u32_e64 s[0:1], s30, v4
	v_mov_b32_e32 v8, 0
	v_mov_b32_e32 v9, 0
	s_and_saveexec_b64 s[2:3], s[0:1]
	s_cbranch_execz .LBB258_7
; %bb.6:                                ;   in Loop: Header=BB258_5 Depth=1
	v_add_u32_e32 v8, v46, v4
	v_ashrrev_i32_e32 v9, 31, v8
	v_lshl_add_u64 v[8:9], v[8:9], 3, s[16:17]
	global_load_dwordx2 v[8:9], v[8:9], off
.LBB258_7:                              ;   in Loop: Header=BB258_5 Depth=1
	s_or_b64 exec, exec, s[2:3]
	v_mov_b32_e32 v11, 0
	v_mov_b32_e32 v12, 0
	;; [unrolled: 1-line block ×3, first 2 shown]
	s_and_saveexec_b64 s[2:3], s[0:1]
	s_cbranch_execz .LBB258_9
; %bb.8:                                ;   in Loop: Header=BB258_5 Depth=1
	v_add_u32_e32 v12, v46, v4
	v_ashrrev_i32_e32 v13, 31, v12
	v_lshl_add_u64 v[12:13], v[12:13], 3, s[18:19]
	global_load_dwordx2 v[12:13], v[12:13], off
.LBB258_9:                              ;   in Loop: Header=BB258_5 Depth=1
	s_or_b64 exec, exec, s[2:3]
	v_mov_b32_e32 v16, 0
	s_and_saveexec_b64 s[2:3], s[0:1]
	s_cbranch_execz .LBB258_11
; %bb.10:                               ;   in Loop: Header=BB258_5 Depth=1
	v_add_u32_e32 v10, v46, v4
	v_ashrrev_i32_e32 v11, 31, v10
	v_lshl_add_u64 v[10:11], v[10:11], 3, s[8:9]
	global_load_dwordx2 v[16:17], v[10:11], off
	s_waitcnt vmcnt(0)
	v_mov_b32_e32 v11, v16
	v_mov_b32_e32 v16, v17
.LBB258_11:                             ;   in Loop: Header=BB258_5 Depth=1
	s_or_b64 exec, exec, s[2:3]
	v_cmp_gt_u32_e64 s[2:3], s31, v4
	v_mov_b32_e32 v18, 0
	v_mov_b32_e32 v19, 0
	s_and_saveexec_b64 s[4:5], s[2:3]
	s_cbranch_execz .LBB258_13
; %bb.12:                               ;   in Loop: Header=BB258_5 Depth=1
	v_add_u32_e32 v18, v1, v4
	v_ashrrev_i32_e32 v19, 31, v18
	v_lshl_add_u64 v[18:19], v[18:19], 3, s[16:17]
	global_load_dwordx2 v[18:19], v[18:19], off
.LBB258_13:                             ;   in Loop: Header=BB258_5 Depth=1
	s_or_b64 exec, exec, s[4:5]
	s_waitcnt vmcnt(0)
	v_cmp_gt_f32_e32 vcc, 0, v8
                                        ; implicit-def: $vgpr5
	s_nop 1
	v_cndmask_b32_e64 v10, v8, -v8, vcc
	v_cmp_gt_f32_e32 vcc, 0, v9
	s_nop 1
	v_cndmask_b32_e64 v17, v9, -v9, vcc
	v_cmp_ngt_f32_e32 vcc, v10, v17
	s_and_saveexec_b64 s[4:5], vcc
	s_xor_b64 s[24:25], exec, s[4:5]
	s_cbranch_execz .LBB258_17
; %bb.14:                               ;   in Loop: Header=BB258_5 Depth=1
	v_mov_b32_e32 v5, 0
	v_cmp_neq_f32_e32 vcc, 0, v9
	s_and_saveexec_b64 s[26:27], vcc
	s_cbranch_execz .LBB258_16
; %bb.15:                               ;   in Loop: Header=BB258_5 Depth=1
	v_div_scale_f32 v5, s[4:5], v17, v17, v10
	v_rcp_f32_e32 v22, v5
	v_div_scale_f32 v23, vcc, v10, v17, v10
	v_fma_f32 v24, -v5, v22, 1.0
	v_fmac_f32_e32 v22, v24, v22
	v_mul_f32_e32 v24, v23, v22
	v_fma_f32 v25, -v5, v24, v23
	v_fmac_f32_e32 v24, v25, v22
	v_fma_f32 v5, -v5, v24, v23
	v_div_fmas_f32 v5, v5, v22, v24
	v_div_fixup_f32 v5, v5, v17, v10
	v_fma_f32 v5, v5, v5, 1.0
	v_mul_f32_e32 v10, 0x4f800000, v5
	v_cmp_gt_f32_e32 vcc, s34, v5
	s_nop 1
	v_cndmask_b32_e32 v5, v5, v10, vcc
	v_sqrt_f32_e32 v10, v5
	s_nop 0
	v_add_u32_e32 v22, -1, v10
	v_fma_f32 v23, -v22, v10, v5
	v_cmp_ge_f32_e64 s[4:5], 0, v23
	v_add_u32_e32 v23, 1, v10
	s_nop 0
	v_cndmask_b32_e64 v22, v10, v22, s[4:5]
	v_fma_f32 v10, -v23, v10, v5
	v_cmp_lt_f32_e64 s[4:5], 0, v10
	s_nop 1
	v_cndmask_b32_e64 v10, v22, v23, s[4:5]
	v_mul_f32_e32 v22, 0x37800000, v10
	v_cndmask_b32_e32 v10, v10, v22, vcc
	v_cmp_class_f32_e32 vcc, v5, v47
	s_nop 1
	v_cndmask_b32_e32 v5, v10, v5, vcc
	v_mul_f32_e32 v5, v17, v5
.LBB258_16:                             ;   in Loop: Header=BB258_5 Depth=1
	s_or_b64 exec, exec, s[26:27]
                                        ; implicit-def: $vgpr10
                                        ; implicit-def: $vgpr17
.LBB258_17:                             ;   in Loop: Header=BB258_5 Depth=1
	s_andn2_saveexec_b64 s[24:25], s[24:25]
	s_cbranch_execz .LBB258_19
; %bb.18:                               ;   in Loop: Header=BB258_5 Depth=1
	v_div_scale_f32 v5, s[4:5], v10, v10, v17
	v_rcp_f32_e32 v22, v5
	v_div_scale_f32 v23, vcc, v17, v10, v17
	v_fma_f32 v24, -v5, v22, 1.0
	v_fmac_f32_e32 v22, v24, v22
	v_mul_f32_e32 v24, v23, v22
	v_fma_f32 v25, -v5, v24, v23
	v_fmac_f32_e32 v24, v25, v22
	v_fma_f32 v5, -v5, v24, v23
	v_div_fmas_f32 v5, v5, v22, v24
	v_div_fixup_f32 v5, v5, v10, v17
	v_fma_f32 v5, v5, v5, 1.0
	v_mul_f32_e32 v17, 0x4f800000, v5
	v_cmp_gt_f32_e32 vcc, s34, v5
	s_nop 1
	v_cndmask_b32_e32 v5, v5, v17, vcc
	v_sqrt_f32_e32 v17, v5
	s_nop 0
	v_add_u32_e32 v22, -1, v17
	v_fma_f32 v23, -v22, v17, v5
	v_cmp_ge_f32_e64 s[4:5], 0, v23
	v_add_u32_e32 v23, 1, v17
	s_nop 0
	v_cndmask_b32_e64 v22, v17, v22, s[4:5]
	v_fma_f32 v17, -v23, v17, v5
	v_cmp_lt_f32_e64 s[4:5], 0, v17
	s_nop 1
	v_cndmask_b32_e64 v17, v22, v23, s[4:5]
	v_mul_f32_e32 v22, 0x37800000, v17
	v_cndmask_b32_e32 v17, v17, v22, vcc
	v_cmp_class_f32_e32 vcc, v5, v47
	s_nop 1
	v_cndmask_b32_e32 v5, v17, v5, vcc
	v_mul_f32_e32 v5, v10, v5
.LBB258_19:                             ;   in Loop: Header=BB258_5 Depth=1
	s_or_b64 exec, exec, s[24:25]
	v_cmp_gt_f32_e32 vcc, 0, v18
                                        ; implicit-def: $vgpr10
	s_nop 1
	v_cndmask_b32_e64 v17, v18, -v18, vcc
	v_cmp_gt_f32_e32 vcc, 0, v19
	s_nop 1
	v_cndmask_b32_e64 v22, v19, -v19, vcc
	v_cmp_ngt_f32_e32 vcc, v17, v22
	s_and_saveexec_b64 s[4:5], vcc
	s_xor_b64 s[24:25], exec, s[4:5]
	s_cbranch_execz .LBB258_23
; %bb.20:                               ;   in Loop: Header=BB258_5 Depth=1
	v_mov_b32_e32 v10, 0
	v_cmp_neq_f32_e32 vcc, 0, v19
	s_and_saveexec_b64 s[26:27], vcc
	s_cbranch_execz .LBB258_22
; %bb.21:                               ;   in Loop: Header=BB258_5 Depth=1
	v_div_scale_f32 v10, s[4:5], v22, v22, v17
	v_rcp_f32_e32 v23, v10
	v_div_scale_f32 v24, vcc, v17, v22, v17
	v_fma_f32 v25, -v10, v23, 1.0
	v_fmac_f32_e32 v23, v25, v23
	v_mul_f32_e32 v25, v24, v23
	v_fma_f32 v26, -v10, v25, v24
	v_fmac_f32_e32 v25, v26, v23
	v_fma_f32 v10, -v10, v25, v24
	v_div_fmas_f32 v10, v10, v23, v25
	v_div_fixup_f32 v10, v10, v22, v17
	v_fma_f32 v10, v10, v10, 1.0
	v_mul_f32_e32 v17, 0x4f800000, v10
	v_cmp_gt_f32_e32 vcc, s34, v10
	s_nop 1
	v_cndmask_b32_e32 v10, v10, v17, vcc
	v_sqrt_f32_e32 v17, v10
	s_nop 0
	v_add_u32_e32 v23, -1, v17
	v_fma_f32 v24, -v23, v17, v10
	v_cmp_ge_f32_e64 s[4:5], 0, v24
	v_add_u32_e32 v24, 1, v17
	s_nop 0
	v_cndmask_b32_e64 v23, v17, v23, s[4:5]
	v_fma_f32 v17, -v24, v17, v10
	v_cmp_lt_f32_e64 s[4:5], 0, v17
	s_nop 1
	v_cndmask_b32_e64 v17, v23, v24, s[4:5]
	v_mul_f32_e32 v23, 0x37800000, v17
	v_cndmask_b32_e32 v17, v17, v23, vcc
	v_cmp_class_f32_e32 vcc, v10, v47
	s_nop 1
	v_cndmask_b32_e32 v10, v17, v10, vcc
	v_mul_f32_e32 v10, v22, v10
.LBB258_22:                             ;   in Loop: Header=BB258_5 Depth=1
	s_or_b64 exec, exec, s[26:27]
                                        ; implicit-def: $vgpr17
                                        ; implicit-def: $vgpr22
.LBB258_23:                             ;   in Loop: Header=BB258_5 Depth=1
	s_andn2_saveexec_b64 s[24:25], s[24:25]
	s_cbranch_execz .LBB258_25
; %bb.24:                               ;   in Loop: Header=BB258_5 Depth=1
	v_div_scale_f32 v10, s[4:5], v17, v17, v22
	v_rcp_f32_e32 v23, v10
	v_div_scale_f32 v24, vcc, v22, v17, v22
	v_fma_f32 v25, -v10, v23, 1.0
	v_fmac_f32_e32 v23, v25, v23
	v_mul_f32_e32 v25, v24, v23
	v_fma_f32 v26, -v10, v25, v24
	v_fmac_f32_e32 v25, v26, v23
	v_fma_f32 v10, -v10, v25, v24
	v_div_fmas_f32 v10, v10, v23, v25
	v_div_fixup_f32 v10, v10, v17, v22
	v_fma_f32 v10, v10, v10, 1.0
	v_mul_f32_e32 v22, 0x4f800000, v10
	v_cmp_gt_f32_e32 vcc, s34, v10
	s_nop 1
	v_cndmask_b32_e32 v10, v10, v22, vcc
	v_sqrt_f32_e32 v22, v10
	s_nop 0
	v_add_u32_e32 v23, -1, v22
	v_fma_f32 v24, -v23, v22, v10
	v_cmp_ge_f32_e64 s[4:5], 0, v24
	v_add_u32_e32 v24, 1, v22
	s_nop 0
	v_cndmask_b32_e64 v23, v22, v23, s[4:5]
	v_fma_f32 v22, -v24, v22, v10
	v_cmp_lt_f32_e64 s[4:5], 0, v22
	s_nop 1
	v_cndmask_b32_e64 v22, v23, v24, s[4:5]
	v_mul_f32_e32 v23, 0x37800000, v22
	v_cndmask_b32_e32 v22, v22, v23, vcc
	v_cmp_class_f32_e32 vcc, v10, v47
	s_nop 1
	v_cndmask_b32_e32 v10, v22, v10, vcc
	v_mul_f32_e32 v10, v17, v10
.LBB258_25:                             ;   in Loop: Header=BB258_5 Depth=1
	s_or_b64 exec, exec, s[24:25]
	v_cmp_gt_f32_e32 vcc, 0, v12
                                        ; implicit-def: $vgpr17
	s_nop 1
	v_cndmask_b32_e64 v22, v12, -v12, vcc
	v_cmp_gt_f32_e32 vcc, 0, v13
	s_nop 1
	v_cndmask_b32_e64 v23, v13, -v13, vcc
	v_cmp_ngt_f32_e32 vcc, v22, v23
	s_and_saveexec_b64 s[4:5], vcc
	s_xor_b64 s[24:25], exec, s[4:5]
	s_cbranch_execz .LBB258_29
; %bb.26:                               ;   in Loop: Header=BB258_5 Depth=1
	v_mov_b32_e32 v17, 0
	v_cmp_neq_f32_e32 vcc, 0, v13
	s_and_saveexec_b64 s[26:27], vcc
	s_cbranch_execz .LBB258_28
; %bb.27:                               ;   in Loop: Header=BB258_5 Depth=1
	v_div_scale_f32 v17, s[4:5], v23, v23, v22
	v_rcp_f32_e32 v24, v17
	v_div_scale_f32 v25, vcc, v22, v23, v22
	v_fma_f32 v26, -v17, v24, 1.0
	v_fmac_f32_e32 v24, v26, v24
	v_mul_f32_e32 v26, v25, v24
	v_fma_f32 v27, -v17, v26, v25
	v_fmac_f32_e32 v26, v27, v24
	v_fma_f32 v17, -v17, v26, v25
	v_div_fmas_f32 v17, v17, v24, v26
	v_div_fixup_f32 v17, v17, v23, v22
	v_fma_f32 v17, v17, v17, 1.0
	v_mul_f32_e32 v22, 0x4f800000, v17
	v_cmp_gt_f32_e32 vcc, s34, v17
	s_nop 1
	v_cndmask_b32_e32 v17, v17, v22, vcc
	v_sqrt_f32_e32 v22, v17
	s_nop 0
	v_add_u32_e32 v24, -1, v22
	v_fma_f32 v25, -v24, v22, v17
	v_cmp_ge_f32_e64 s[4:5], 0, v25
	v_add_u32_e32 v25, 1, v22
	s_nop 0
	v_cndmask_b32_e64 v24, v22, v24, s[4:5]
	v_fma_f32 v22, -v25, v22, v17
	v_cmp_lt_f32_e64 s[4:5], 0, v22
	s_nop 1
	v_cndmask_b32_e64 v22, v24, v25, s[4:5]
	v_mul_f32_e32 v24, 0x37800000, v22
	v_cndmask_b32_e32 v22, v22, v24, vcc
	v_cmp_class_f32_e32 vcc, v17, v47
	s_nop 1
	v_cndmask_b32_e32 v17, v22, v17, vcc
	v_mul_f32_e32 v17, v23, v17
.LBB258_28:                             ;   in Loop: Header=BB258_5 Depth=1
	s_or_b64 exec, exec, s[26:27]
                                        ; implicit-def: $vgpr22
                                        ; implicit-def: $vgpr23
.LBB258_29:                             ;   in Loop: Header=BB258_5 Depth=1
	s_andn2_saveexec_b64 s[24:25], s[24:25]
	s_cbranch_execz .LBB258_31
; %bb.30:                               ;   in Loop: Header=BB258_5 Depth=1
	v_div_scale_f32 v17, s[4:5], v22, v22, v23
	v_rcp_f32_e32 v24, v17
	v_div_scale_f32 v25, vcc, v23, v22, v23
	v_fma_f32 v26, -v17, v24, 1.0
	v_fmac_f32_e32 v24, v26, v24
	v_mul_f32_e32 v26, v25, v24
	v_fma_f32 v27, -v17, v26, v25
	v_fmac_f32_e32 v26, v27, v24
	v_fma_f32 v17, -v17, v26, v25
	v_div_fmas_f32 v17, v17, v24, v26
	v_div_fixup_f32 v17, v17, v22, v23
	v_fma_f32 v17, v17, v17, 1.0
	v_mul_f32_e32 v23, 0x4f800000, v17
	v_cmp_gt_f32_e32 vcc, s34, v17
	s_nop 1
	v_cndmask_b32_e32 v17, v17, v23, vcc
	v_sqrt_f32_e32 v23, v17
	s_nop 0
	v_add_u32_e32 v24, -1, v23
	v_fma_f32 v25, -v24, v23, v17
	v_cmp_ge_f32_e64 s[4:5], 0, v25
	v_add_u32_e32 v25, 1, v23
	s_nop 0
	v_cndmask_b32_e64 v24, v23, v24, s[4:5]
	v_fma_f32 v23, -v25, v23, v17
	v_cmp_lt_f32_e64 s[4:5], 0, v23
	s_nop 1
	v_cndmask_b32_e64 v23, v24, v25, s[4:5]
	v_mul_f32_e32 v24, 0x37800000, v23
	v_cndmask_b32_e32 v23, v23, v24, vcc
	v_cmp_class_f32_e32 vcc, v17, v47
	s_nop 1
	v_cndmask_b32_e32 v17, v23, v17, vcc
	v_mul_f32_e32 v17, v22, v17
.LBB258_31:                             ;   in Loop: Header=BB258_5 Depth=1
	s_or_b64 exec, exec, s[24:25]
	v_cmp_gt_f32_e32 vcc, 0, v14
                                        ; implicit-def: $vgpr28
	s_nop 1
	v_cndmask_b32_e64 v22, v14, -v14, vcc
	v_cmp_gt_f32_e32 vcc, 0, v15
	s_nop 1
	v_cndmask_b32_e64 v23, v15, -v15, vcc
	v_cmp_ngt_f32_e32 vcc, v22, v23
	s_and_saveexec_b64 s[4:5], vcc
	s_xor_b64 s[24:25], exec, s[4:5]
	s_cbranch_execz .LBB258_35
; %bb.32:                               ;   in Loop: Header=BB258_5 Depth=1
	v_mov_b32_e32 v28, 0
	v_cmp_neq_f32_e32 vcc, 0, v15
	s_and_saveexec_b64 s[26:27], vcc
	s_cbranch_execz .LBB258_34
; %bb.33:                               ;   in Loop: Header=BB258_5 Depth=1
	v_div_scale_f32 v24, s[4:5], v23, v23, v22
	v_rcp_f32_e32 v25, v24
	v_div_scale_f32 v26, vcc, v22, v23, v22
	v_fma_f32 v27, -v24, v25, 1.0
	v_fmac_f32_e32 v25, v27, v25
	v_mul_f32_e32 v27, v26, v25
	v_fma_f32 v28, -v24, v27, v26
	v_fmac_f32_e32 v27, v28, v25
	v_fma_f32 v24, -v24, v27, v26
	v_div_fmas_f32 v24, v24, v25, v27
	v_div_fixup_f32 v22, v24, v23, v22
	v_fma_f32 v22, v22, v22, 1.0
	v_mul_f32_e32 v24, 0x4f800000, v22
	v_cmp_gt_f32_e32 vcc, s34, v22
	s_nop 1
	v_cndmask_b32_e32 v22, v22, v24, vcc
	v_sqrt_f32_e32 v24, v22
	s_nop 0
	v_add_u32_e32 v25, -1, v24
	v_fma_f32 v26, -v25, v24, v22
	v_cmp_ge_f32_e64 s[4:5], 0, v26
	v_add_u32_e32 v26, 1, v24
	s_nop 0
	v_cndmask_b32_e64 v25, v24, v25, s[4:5]
	v_fma_f32 v24, -v26, v24, v22
	v_cmp_lt_f32_e64 s[4:5], 0, v24
	s_nop 1
	v_cndmask_b32_e64 v24, v25, v26, s[4:5]
	v_mul_f32_e32 v25, 0x37800000, v24
	v_cndmask_b32_e32 v24, v24, v25, vcc
	v_cmp_class_f32_e32 vcc, v22, v47
	s_nop 1
	v_cndmask_b32_e32 v22, v24, v22, vcc
	v_mul_f32_e32 v28, v23, v22
.LBB258_34:                             ;   in Loop: Header=BB258_5 Depth=1
	s_or_b64 exec, exec, s[26:27]
                                        ; implicit-def: $vgpr22
                                        ; implicit-def: $vgpr23
.LBB258_35:                             ;   in Loop: Header=BB258_5 Depth=1
	s_andn2_saveexec_b64 s[24:25], s[24:25]
	s_cbranch_execz .LBB258_37
; %bb.36:                               ;   in Loop: Header=BB258_5 Depth=1
	v_div_scale_f32 v24, s[4:5], v22, v22, v23
	v_rcp_f32_e32 v25, v24
	v_div_scale_f32 v26, vcc, v23, v22, v23
	v_fma_f32 v27, -v24, v25, 1.0
	v_fmac_f32_e32 v25, v27, v25
	v_mul_f32_e32 v27, v26, v25
	v_fma_f32 v28, -v24, v27, v26
	v_fmac_f32_e32 v27, v28, v25
	v_fma_f32 v24, -v24, v27, v26
	v_div_fmas_f32 v24, v24, v25, v27
	v_div_fixup_f32 v23, v24, v22, v23
	v_fma_f32 v23, v23, v23, 1.0
	v_mul_f32_e32 v24, 0x4f800000, v23
	v_cmp_gt_f32_e32 vcc, s34, v23
	s_nop 1
	v_cndmask_b32_e32 v23, v23, v24, vcc
	v_sqrt_f32_e32 v24, v23
	s_nop 0
	v_add_u32_e32 v25, -1, v24
	v_fma_f32 v26, -v25, v24, v23
	v_cmp_ge_f32_e64 s[4:5], 0, v26
	v_add_u32_e32 v26, 1, v24
	s_nop 0
	v_cndmask_b32_e64 v25, v24, v25, s[4:5]
	v_fma_f32 v24, -v26, v24, v23
	v_cmp_lt_f32_e64 s[4:5], 0, v24
	s_nop 1
	v_cndmask_b32_e64 v24, v25, v26, s[4:5]
	v_mul_f32_e32 v25, 0x37800000, v24
	v_cndmask_b32_e32 v24, v24, v25, vcc
	v_cmp_class_f32_e32 vcc, v23, v47
	s_nop 1
	v_cndmask_b32_e32 v23, v24, v23, vcc
	v_mul_f32_e32 v28, v22, v23
.LBB258_37:                             ;   in Loop: Header=BB258_5 Depth=1
	s_or_b64 exec, exec, s[24:25]
	v_cmp_gt_f32_e32 vcc, 0, v11
                                        ; implicit-def: $vgpr29
	s_nop 1
	v_cndmask_b32_e64 v22, v11, -v11, vcc
	v_cmp_gt_f32_e32 vcc, 0, v16
	s_nop 1
	v_cndmask_b32_e64 v23, v16, -v16, vcc
	v_cmp_ngt_f32_e32 vcc, v22, v23
	s_and_saveexec_b64 s[4:5], vcc
	s_xor_b64 s[24:25], exec, s[4:5]
	s_cbranch_execz .LBB258_41
; %bb.38:                               ;   in Loop: Header=BB258_5 Depth=1
	v_mov_b32_e32 v29, 0
	v_cmp_neq_f32_e32 vcc, 0, v16
	s_and_saveexec_b64 s[26:27], vcc
	s_cbranch_execz .LBB258_40
; %bb.39:                               ;   in Loop: Header=BB258_5 Depth=1
	v_div_scale_f32 v24, s[4:5], v23, v23, v22
	v_rcp_f32_e32 v25, v24
	v_div_scale_f32 v26, vcc, v22, v23, v22
	v_fma_f32 v27, -v24, v25, 1.0
	v_fmac_f32_e32 v25, v27, v25
	v_mul_f32_e32 v27, v26, v25
	v_fma_f32 v29, -v24, v27, v26
	v_fmac_f32_e32 v27, v29, v25
	v_fma_f32 v24, -v24, v27, v26
	v_div_fmas_f32 v24, v24, v25, v27
	v_div_fixup_f32 v22, v24, v23, v22
	v_fma_f32 v22, v22, v22, 1.0
	v_mul_f32_e32 v24, 0x4f800000, v22
	v_cmp_gt_f32_e32 vcc, s34, v22
	s_nop 1
	v_cndmask_b32_e32 v22, v22, v24, vcc
	v_sqrt_f32_e32 v24, v22
	s_nop 0
	v_add_u32_e32 v25, -1, v24
	v_fma_f32 v26, -v25, v24, v22
	v_cmp_ge_f32_e64 s[4:5], 0, v26
	v_add_u32_e32 v26, 1, v24
	s_nop 0
	v_cndmask_b32_e64 v25, v24, v25, s[4:5]
	v_fma_f32 v24, -v26, v24, v22
	v_cmp_lt_f32_e64 s[4:5], 0, v24
	s_nop 1
	v_cndmask_b32_e64 v24, v25, v26, s[4:5]
	v_mul_f32_e32 v25, 0x37800000, v24
	v_cndmask_b32_e32 v24, v24, v25, vcc
	v_cmp_class_f32_e32 vcc, v22, v47
	s_nop 1
	v_cndmask_b32_e32 v22, v24, v22, vcc
	v_mul_f32_e32 v29, v23, v22
.LBB258_40:                             ;   in Loop: Header=BB258_5 Depth=1
	s_or_b64 exec, exec, s[26:27]
                                        ; implicit-def: $vgpr22
                                        ; implicit-def: $vgpr23
.LBB258_41:                             ;   in Loop: Header=BB258_5 Depth=1
	s_andn2_saveexec_b64 s[24:25], s[24:25]
	s_cbranch_execz .LBB258_43
; %bb.42:                               ;   in Loop: Header=BB258_5 Depth=1
	v_div_scale_f32 v24, s[4:5], v22, v22, v23
	v_rcp_f32_e32 v25, v24
	v_div_scale_f32 v26, vcc, v23, v22, v23
	v_fma_f32 v27, -v24, v25, 1.0
	v_fmac_f32_e32 v25, v27, v25
	v_mul_f32_e32 v27, v26, v25
	v_fma_f32 v29, -v24, v27, v26
	v_fmac_f32_e32 v27, v29, v25
	v_fma_f32 v24, -v24, v27, v26
	v_div_fmas_f32 v24, v24, v25, v27
	v_div_fixup_f32 v23, v24, v22, v23
	v_fma_f32 v23, v23, v23, 1.0
	v_mul_f32_e32 v24, 0x4f800000, v23
	v_cmp_gt_f32_e32 vcc, s34, v23
	s_nop 1
	v_cndmask_b32_e32 v23, v23, v24, vcc
	v_sqrt_f32_e32 v24, v23
	s_nop 0
	v_add_u32_e32 v25, -1, v24
	v_fma_f32 v26, -v25, v24, v23
	v_cmp_ge_f32_e64 s[4:5], 0, v26
	v_add_u32_e32 v26, 1, v24
	s_nop 0
	v_cndmask_b32_e64 v25, v24, v25, s[4:5]
	v_fma_f32 v24, -v26, v24, v23
	v_cmp_lt_f32_e64 s[4:5], 0, v24
	s_nop 1
	v_cndmask_b32_e64 v24, v25, v26, s[4:5]
	v_mul_f32_e32 v25, 0x37800000, v24
	v_cndmask_b32_e32 v24, v24, v25, vcc
	v_cmp_class_f32_e32 vcc, v23, v47
	s_nop 1
	v_cndmask_b32_e32 v23, v24, v23, vcc
	v_mul_f32_e32 v29, v22, v23
.LBB258_43:                             ;   in Loop: Header=BB258_5 Depth=1
	s_or_b64 exec, exec, s[24:25]
	v_cmp_gt_f32_e32 vcc, 0, v6
                                        ; implicit-def: $vgpr30
	s_nop 1
	v_cndmask_b32_e64 v22, v6, -v6, vcc
	v_cmp_gt_f32_e32 vcc, 0, v7
	s_nop 1
	v_cndmask_b32_e64 v23, v7, -v7, vcc
	v_cmp_ngt_f32_e32 vcc, v22, v23
	s_and_saveexec_b64 s[4:5], vcc
	s_xor_b64 s[24:25], exec, s[4:5]
	s_cbranch_execz .LBB258_47
; %bb.44:                               ;   in Loop: Header=BB258_5 Depth=1
	v_mov_b32_e32 v30, 0
	v_cmp_neq_f32_e32 vcc, 0, v7
	s_and_saveexec_b64 s[26:27], vcc
	s_cbranch_execz .LBB258_46
; %bb.45:                               ;   in Loop: Header=BB258_5 Depth=1
	v_div_scale_f32 v24, s[4:5], v23, v23, v22
	v_rcp_f32_e32 v25, v24
	v_div_scale_f32 v26, vcc, v22, v23, v22
	v_fma_f32 v27, -v24, v25, 1.0
	v_fmac_f32_e32 v25, v27, v25
	v_mul_f32_e32 v27, v26, v25
	v_fma_f32 v30, -v24, v27, v26
	v_fmac_f32_e32 v27, v30, v25
	v_fma_f32 v24, -v24, v27, v26
	v_div_fmas_f32 v24, v24, v25, v27
	v_div_fixup_f32 v22, v24, v23, v22
	v_fma_f32 v22, v22, v22, 1.0
	v_mul_f32_e32 v24, 0x4f800000, v22
	v_cmp_gt_f32_e32 vcc, s34, v22
	s_nop 1
	v_cndmask_b32_e32 v22, v22, v24, vcc
	v_sqrt_f32_e32 v24, v22
	s_nop 0
	v_add_u32_e32 v25, -1, v24
	v_fma_f32 v26, -v25, v24, v22
	v_cmp_ge_f32_e64 s[4:5], 0, v26
	v_add_u32_e32 v26, 1, v24
	s_nop 0
	v_cndmask_b32_e64 v25, v24, v25, s[4:5]
	v_fma_f32 v24, -v26, v24, v22
	v_cmp_lt_f32_e64 s[4:5], 0, v24
	s_nop 1
	v_cndmask_b32_e64 v24, v25, v26, s[4:5]
	v_mul_f32_e32 v25, 0x37800000, v24
	v_cndmask_b32_e32 v24, v24, v25, vcc
	v_cmp_class_f32_e32 vcc, v22, v47
	s_nop 1
	v_cndmask_b32_e32 v22, v24, v22, vcc
	v_mul_f32_e32 v30, v23, v22
.LBB258_46:                             ;   in Loop: Header=BB258_5 Depth=1
	s_or_b64 exec, exec, s[26:27]
                                        ; implicit-def: $vgpr22
                                        ; implicit-def: $vgpr23
.LBB258_47:                             ;   in Loop: Header=BB258_5 Depth=1
	s_andn2_saveexec_b64 s[24:25], s[24:25]
	s_cbranch_execz .LBB258_49
; %bb.48:                               ;   in Loop: Header=BB258_5 Depth=1
	v_div_scale_f32 v24, s[4:5], v22, v22, v23
	v_rcp_f32_e32 v25, v24
	v_div_scale_f32 v26, vcc, v23, v22, v23
	v_fma_f32 v27, -v24, v25, 1.0
	v_fmac_f32_e32 v25, v27, v25
	v_mul_f32_e32 v27, v26, v25
	v_fma_f32 v30, -v24, v27, v26
	v_fmac_f32_e32 v27, v30, v25
	v_fma_f32 v24, -v24, v27, v26
	v_div_fmas_f32 v24, v24, v25, v27
	v_div_fixup_f32 v23, v24, v22, v23
	v_fma_f32 v23, v23, v23, 1.0
	v_mul_f32_e32 v24, 0x4f800000, v23
	v_cmp_gt_f32_e32 vcc, s34, v23
	s_nop 1
	v_cndmask_b32_e32 v23, v23, v24, vcc
	v_sqrt_f32_e32 v24, v23
	s_nop 0
	v_add_u32_e32 v25, -1, v24
	v_fma_f32 v26, -v25, v24, v23
	v_cmp_ge_f32_e64 s[4:5], 0, v26
	v_add_u32_e32 v26, 1, v24
	s_nop 0
	v_cndmask_b32_e64 v25, v24, v25, s[4:5]
	v_fma_f32 v24, -v26, v24, v23
	v_cmp_lt_f32_e64 s[4:5], 0, v24
	s_nop 1
	v_cndmask_b32_e64 v24, v25, v26, s[4:5]
	v_mul_f32_e32 v25, 0x37800000, v24
	v_cndmask_b32_e32 v24, v24, v25, vcc
	v_cmp_class_f32_e32 vcc, v23, v47
	s_nop 1
	v_cndmask_b32_e32 v23, v24, v23, vcc
	v_mul_f32_e32 v30, v22, v23
.LBB258_49:                             ;   in Loop: Header=BB258_5 Depth=1
	s_or_b64 exec, exec, s[24:25]
	v_pk_add_f32 v[22:23], v[8:9], 0 neg_lo:[1,1] neg_hi:[1,1]
                                        ; implicit-def: $vgpr33
	s_nop 0
	v_pk_mov_b32 v[26:27], v[22:23], v[8:9] op_sel:[1,0]
	s_nop 0
	v_pk_mul_f32 v[24:25], v[14:15], v[26:27] op_sel:[1,0]
	s_nop 0
	v_pk_fma_f32 v[24:25], v[8:9], v[14:15], v[24:25] op_sel_hi:[1,0,1]
	s_nop 0
	v_cmp_gt_f32_e32 vcc, 0, v24
	s_nop 1
	v_cndmask_b32_e64 v31, v24, -v24, vcc
	v_cmp_gt_f32_e32 vcc, 0, v25
	s_nop 1
	v_cndmask_b32_e64 v32, v25, -v25, vcc
	v_cmp_ngt_f32_e32 vcc, v31, v32
	s_and_saveexec_b64 s[4:5], vcc
	s_xor_b64 s[24:25], exec, s[4:5]
	s_cbranch_execz .LBB258_53
; %bb.50:                               ;   in Loop: Header=BB258_5 Depth=1
	v_mov_b32_e32 v33, 0
	v_cmp_neq_f32_e32 vcc, 0, v25
	s_and_saveexec_b64 s[26:27], vcc
	s_cbranch_execz .LBB258_52
; %bb.51:                               ;   in Loop: Header=BB258_5 Depth=1
	v_div_scale_f32 v33, s[4:5], v32, v32, v31
	v_rcp_f32_e32 v34, v33
	v_div_scale_f32 v35, vcc, v31, v32, v31
	v_fma_f32 v36, -v33, v34, 1.0
	v_fmac_f32_e32 v34, v36, v34
	v_mul_f32_e32 v36, v35, v34
	v_fma_f32 v37, -v33, v36, v35
	v_fmac_f32_e32 v36, v37, v34
	v_fma_f32 v33, -v33, v36, v35
	v_div_fmas_f32 v33, v33, v34, v36
	v_div_fixup_f32 v31, v33, v32, v31
	v_fma_f32 v31, v31, v31, 1.0
	v_mul_f32_e32 v33, 0x4f800000, v31
	v_cmp_gt_f32_e32 vcc, s34, v31
	s_nop 1
	v_cndmask_b32_e32 v31, v31, v33, vcc
	v_sqrt_f32_e32 v33, v31
	s_nop 0
	v_add_u32_e32 v34, -1, v33
	v_fma_f32 v35, -v34, v33, v31
	v_cmp_ge_f32_e64 s[4:5], 0, v35
	v_add_u32_e32 v35, 1, v33
	s_nop 0
	v_cndmask_b32_e64 v34, v33, v34, s[4:5]
	v_fma_f32 v33, -v35, v33, v31
	v_cmp_lt_f32_e64 s[4:5], 0, v33
	s_nop 1
	v_cndmask_b32_e64 v33, v34, v35, s[4:5]
	v_mul_f32_e32 v34, 0x37800000, v33
	v_cndmask_b32_e32 v33, v33, v34, vcc
	v_cmp_class_f32_e32 vcc, v31, v47
	s_nop 1
	v_cndmask_b32_e32 v31, v33, v31, vcc
	v_mul_f32_e32 v33, v32, v31
.LBB258_52:                             ;   in Loop: Header=BB258_5 Depth=1
	s_or_b64 exec, exec, s[26:27]
                                        ; implicit-def: $vgpr31
                                        ; implicit-def: $vgpr32
.LBB258_53:                             ;   in Loop: Header=BB258_5 Depth=1
	s_andn2_saveexec_b64 s[24:25], s[24:25]
	s_cbranch_execz .LBB258_55
; %bb.54:                               ;   in Loop: Header=BB258_5 Depth=1
	v_div_scale_f32 v33, s[4:5], v31, v31, v32
	v_rcp_f32_e32 v34, v33
	v_div_scale_f32 v35, vcc, v32, v31, v32
	v_fma_f32 v36, -v33, v34, 1.0
	v_fmac_f32_e32 v34, v36, v34
	v_mul_f32_e32 v36, v35, v34
	v_fma_f32 v37, -v33, v36, v35
	v_fmac_f32_e32 v36, v37, v34
	v_fma_f32 v33, -v33, v36, v35
	v_div_fmas_f32 v33, v33, v34, v36
	v_div_fixup_f32 v32, v33, v31, v32
	v_fma_f32 v32, v32, v32, 1.0
	v_mul_f32_e32 v33, 0x4f800000, v32
	v_cmp_gt_f32_e32 vcc, s34, v32
	s_nop 1
	v_cndmask_b32_e32 v32, v32, v33, vcc
	v_sqrt_f32_e32 v33, v32
	s_nop 0
	v_add_u32_e32 v34, -1, v33
	v_fma_f32 v35, -v34, v33, v32
	v_cmp_ge_f32_e64 s[4:5], 0, v35
	v_add_u32_e32 v35, 1, v33
	s_nop 0
	v_cndmask_b32_e64 v34, v33, v34, s[4:5]
	v_fma_f32 v33, -v35, v33, v32
	v_cmp_lt_f32_e64 s[4:5], 0, v33
	s_nop 1
	v_cndmask_b32_e64 v33, v34, v35, s[4:5]
	v_mul_f32_e32 v34, 0x37800000, v33
	v_cndmask_b32_e32 v33, v33, v34, vcc
	v_cmp_class_f32_e32 vcc, v32, v47
	s_nop 1
	v_cndmask_b32_e32 v32, v33, v32, vcc
	v_mul_f32_e32 v33, v31, v32
.LBB258_55:                             ;   in Loop: Header=BB258_5 Depth=1
	s_or_b64 exec, exec, s[24:25]
	v_cmp_lt_f32_e32 vcc, v5, v10
	v_cvt_f64_f32_e32 v[30:31], v30
	v_cmp_ne_u32_e64 s[4:5], s30, v4
	v_cndmask_b32_e32 v5, v5, v10, vcc
	v_cmp_lt_f32_e32 vcc, v17, v5
	s_nop 1
	v_cndmask_b32_e32 v5, v17, v5, vcc
	v_cmp_lt_f32_e32 vcc, v28, v5
	s_nop 1
	;; [unrolled: 3-line block ×3, first 2 shown]
	v_cndmask_b32_e32 v5, v29, v5, vcc
	v_cvt_f64_f32_e32 v[28:29], v5
	v_mul_f64 v[28:29], v[28:29], v[30:31]
	v_cvt_f64_f32_e32 v[30:31], v33
	v_mul_f64 v[30:31], v[30:31], s[22:23]
	v_cmp_nge_f64_e32 vcc, v[28:29], v[30:31]
	s_and_b64 s[4:5], s[4:5], vcc
	s_and_saveexec_b64 s[24:25], s[4:5]
	s_xor_b64 s[4:5], exec, s[24:25]
	s_cbranch_execz .LBB258_61
; %bb.56:                               ;   in Loop: Header=BB258_5 Depth=1
	v_add_u32_e32 v30, v46, v4
	v_ashrrev_i32_e32 v31, 31, v30
	v_ashrrev_i32_e32 v5, 31, v4
	v_lshlrev_b64 v[34:35], 3, v[20:21]
	v_lshlrev_b64 v[26:27], 3, v[30:31]
	v_lshl_add_u64 v[52:53], v[4:5], 3, v[2:3]
	v_lshl_add_u64 v[54:55], s[12:13], 0, v[34:35]
	;; [unrolled: 1-line block ×3, first 2 shown]
	global_load_dwordx2 v[44:45], v[52:53], off
	global_load_dwordx2 v[56:57], v[42:43], off
	;; [unrolled: 1-line block ×3, first 2 shown]
	v_lshl_add_u64 v[32:33], s[12:13], 0, v[26:27]
	global_load_dwordx2 v[40:41], v[32:33], off
	v_xor_b32_e32 v28, 0x80000000, v7
	v_mov_b32_e32 v29, v6
	v_lshl_add_u64 v[62:63], v[20:21], 2, s[6:7]
	v_pk_mul_f32 v[20:21], v[12:13], v[28:29] op_sel:[1,0]
	v_pk_add_f32 v[60:61], v[14:15], 0 neg_lo:[1,1] neg_hi:[1,1]
	v_pk_fma_f32 v[20:21], v[6:7], v[12:13], v[20:21] op_sel_hi:[1,0,1]
	v_mov_b32_e32 v36, v11
	v_pk_add_f32 v[20:21], v[20:21], v[24:25] neg_lo:[0,1] neg_hi:[0,1]
	v_mov_b32_e32 v37, v16
	v_mul_f32_e32 v5, v21, v21
	v_fmac_f32_e32 v5, v20, v20
	v_fma_f32 v24, 0, v21, v20
	v_fma_f32 v21, v20, 0, -v21
	v_div_scale_f32 v20, s[24:25], v5, v5, 1.0
	v_rcp_f32_e32 v25, v20
	v_div_scale_f32 v51, vcc, 1.0, v5, 1.0
	v_pk_mov_b32 v[64:65], v[60:61], v[14:15] op_sel:[1,0]
	v_fma_f32 v66, -v20, v25, 1.0
	v_fmac_f32_e32 v25, v66, v25
	v_mul_f32_e32 v66, v51, v25
	v_fma_f32 v67, -v20, v66, v51
	v_fmac_f32_e32 v66, v67, v25
	v_fma_f32 v20, -v20, v66, v51
	v_pk_mov_b32 v[60:61], v[14:15], v[60:61] op_sel:[1,0]
	v_div_fmas_f32 v20, v20, v25, v66
	v_pk_mul_f32 v[60:61], v[36:37], v[60:61] op_sel:[1,0]
	v_div_fixup_f32 v5, v20, v5, 1.0
	v_pk_fma_f32 v[36:37], v[14:15], v[36:37], v[60:61] op_sel_hi:[1,0,1] neg_lo:[1,0,0] neg_hi:[1,0,0]
	v_mul_f32_e32 v20, v24, v5
	v_mul_f32_e32 v24, v21, v5
	v_xor_b32_e32 v60, 0x80000000, v37
	v_mov_b32_e32 v61, v36
	v_mov_b32_e32 v25, v24
	v_xor_b32_e32 v58, 0x80000000, v13
	v_mov_b32_e32 v59, v12
	v_mov_b32_e32 v21, v20
	v_pk_mul_f32 v[60:61], v[24:25], v[60:61] op_sel_hi:[0,1]
	v_lshl_add_u64 v[34:35], s[14:15], 0, v[34:35]
	v_pk_fma_f32 v[36:37], v[36:37], v[20:21], v[60:61] op_sel_hi:[1,0,1]
	global_store_dwordx2 v[34:35], v[36:37], off
	v_mov_b32_e32 v26, v6
	v_mov_b32_e32 v27, v6
	;; [unrolled: 1-line block ×4, first 2 shown]
	s_waitcnt vmcnt(4)
	v_pk_mul_f32 v[60:61], v[44:45], v[58:59] op_sel:[1,0]
	s_waitcnt vmcnt(3)
	v_pk_mul_f32 v[66:67], v[56:57], v[64:65] op_sel:[1,0]
	;; [unrolled: 2-line block ×3, first 2 shown]
	v_mov_b32_e32 v36, v45
	v_mov_b32_e32 v37, v45
	;; [unrolled: 1-line block ×4, first 2 shown]
	v_pk_fma_f32 v[60:61], v[12:13], v[44:45], v[60:61] op_sel_hi:[1,0,1]
	v_pk_fma_f32 v[58:59], v[12:13], v[38:39], v[58:59] op_sel_hi:[1,0,1]
	v_mov_b32_e32 v44, v57
	v_mov_b32_e32 v45, v57
	;; [unrolled: 1-line block ×4, first 2 shown]
	s_waitcnt vmcnt(1)
	v_pk_mul_f32 v[64:65], v[40:41], v[64:65] op_sel:[1,0]
	v_pk_fma_f32 v[56:57], v[14:15], v[56:57], v[66:67] op_sel_hi:[1,0,1]
	v_pk_fma_f32 v[14:15], v[14:15], v[40:41], v[64:65] op_sel_hi:[1,0,1]
	v_pk_add_f32 v[56:57], v[60:61], v[56:57] neg_lo:[0,1] neg_hi:[0,1]
	v_pk_add_f32 v[14:15], v[58:59], v[14:15] neg_lo:[0,1] neg_hi:[0,1]
	v_xor_b32_e32 v58, 0x80000000, v57
	v_mov_b32_e32 v59, v56
	v_xor_b32_e32 v60, 0x80000000, v15
	v_mov_b32_e32 v61, v14
	v_pk_mul_f32 v[58:59], v[24:25], v[58:59] op_sel_hi:[0,1]
	v_pk_mul_f32 v[60:61], v[24:25], v[60:61] op_sel_hi:[0,1]
	v_pk_fma_f32 v[56:57], v[56:57], v[20:21], v[58:59] op_sel_hi:[1,0,1]
	v_pk_fma_f32 v[14:15], v[14:15], v[20:21], v[60:61] op_sel_hi:[1,0,1]
	global_store_dwordx2 v[52:53], v[56:57], off
	global_store_dwordx2 v[54:55], v[14:15], off
	global_store_dword v[62:63], v48, off
	s_and_saveexec_b64 s[24:25], s[0:1]
	s_cbranch_execz .LBB258_58
; %bb.57:                               ;   in Loop: Header=BB258_5 Depth=1
	v_mov_b32_e32 v14, v39
	v_mov_b32_e32 v15, v39
	v_pk_mov_b32 v[54:55], v[8:9], v[22:23] op_sel:[1,0]
	v_mov_b32_e32 v39, v38
	v_mov_b32_e32 v52, v41
	;; [unrolled: 1-line block ×3, first 2 shown]
	v_pk_mul_f32 v[14:15], v[54:55], v[14:15]
	v_mov_b32_e32 v41, v40
	v_pk_fma_f32 v[14:15], v[8:9], v[38:39], v[14:15] neg_lo:[1,0,0] neg_hi:[1,0,0]
	v_pk_mul_f32 v[38:39], v[52:53], v[28:29]
	v_pk_mul_f32 v[56:57], v[54:55], v[36:37]
	v_pk_fma_f32 v[38:39], v[6:7], v[40:41], v[38:39]
	v_pk_mul_f32 v[58:59], v[44:45], v[28:29]
	v_pk_add_f32 v[14:15], v[14:15], v[38:39]
	v_pk_fma_f32 v[56:57], v[8:9], v[34:35], v[56:57] neg_lo:[1,0,0] neg_hi:[1,0,0]
	v_xor_b32_e32 v38, 0x80000000, v15
	v_mov_b32_e32 v39, v14
	v_pk_mul_f32 v[38:39], v[24:25], v[38:39]
	v_pk_fma_f32 v[58:59], v[6:7], v[12:13], v[58:59]
	v_pk_fma_f32 v[14:15], v[14:15], v[20:21], v[38:39]
	global_store_dwordx2 v[32:33], v[14:15], off
	v_pk_mul_f32 v[32:33], v[16:17], v[28:29]
	v_pk_add_f32 v[56:57], v[56:57], v[58:59]
	v_pk_fma_f32 v[32:33], v[6:7], v[10:11], v[32:33]
	v_xor_b32_e32 v58, 0x80000000, v57
	v_xor_b32_e32 v38, 0x80000000, v33
	v_mov_b32_e32 v39, v32
	v_mov_b32_e32 v59, v56
	v_pk_mul_f32 v[38:39], v[24:25], v[38:39]
	v_pk_mul_f32 v[58:59], v[24:25], v[58:59]
	v_lshl_add_u64 v[14:15], v[30:31], 3, s[14:15]
	v_pk_fma_f32 v[32:33], v[32:33], v[20:21], v[38:39]
	v_pk_fma_f32 v[56:57], v[56:57], v[20:21], v[58:59]
	global_store_dwordx2 v[14:15], v[32:33], off
	v_lshl_add_u64 v[14:15], v[30:31], 2, s[6:7]
	global_store_dwordx2 v[42:43], v[56:57], off
	global_store_dword v[14:15], v48, off
.LBB258_58:                             ;   in Loop: Header=BB258_5 Depth=1
	s_or_b64 exec, exec, s[24:25]
	v_mov_b32_e32 v51, v50
	v_mov_b64_e32 v[14:15], v[50:51]
	s_and_saveexec_b64 s[24:25], s[2:3]
	s_cbranch_execz .LBB258_60
; %bb.59:                               ;   in Loop: Header=BB258_5 Depth=1
	v_add_u32_e32 v14, v1, v4
	v_ashrrev_i32_e32 v15, 31, v14
	v_lshlrev_b64 v[14:15], 3, v[14:15]
	v_lshl_add_u64 v[30:31], s[10:11], 0, v[14:15]
	v_lshl_add_u64 v[14:15], s[18:19], 0, v[14:15]
	global_load_dwordx2 v[32:33], v[30:31], off
	v_mov_b32_e32 v38, v19
	global_load_dwordx2 v[14:15], v[14:15], off
	v_pk_mov_b32 v[22:23], v[8:9], v[22:23] op_sel:[1,0]
	v_xor_b32_e32 v40, 0x80000000, v19
	v_mov_b32_e32 v41, v18
	v_pk_mul_f32 v[22:23], v[38:39], v[22:23] op_sel_hi:[0,1]
	v_pk_mul_f32 v[28:29], v[38:39], v[28:29] op_sel_hi:[0,1]
	v_pk_mul_f32 v[38:39], v[6:7], v[40:41] op_sel:[1,0]
	v_pk_fma_f32 v[8:9], v[8:9], v[18:19], v[22:23] op_sel_hi:[1,0,1] neg_lo:[1,0,0] neg_hi:[1,0,0]
	v_pk_fma_f32 v[6:7], v[6:7], v[18:19], v[28:29] op_sel_hi:[1,0,1]
	v_pk_fma_f32 v[18:19], v[18:19], v[26:27], v[38:39]
	v_xor_b32_e32 v22, 0x80000000, v9
	v_mov_b32_e32 v23, v8
	v_xor_b32_e32 v26, 0x80000000, v7
	v_mov_b32_e32 v27, v6
	;; [unrolled: 2-line block ×3, first 2 shown]
	v_pk_mul_f32 v[22:23], v[24:25], v[22:23]
	v_pk_mul_f32 v[26:27], v[24:25], v[26:27]
	v_pk_mul_f32 v[16:17], v[16:17], v[28:29]
	v_pk_fma_f32 v[8:9], v[8:9], v[20:21], v[22:23]
	v_pk_fma_f32 v[6:7], v[6:7], v[20:21], v[26:27]
	;; [unrolled: 1-line block ×3, first 2 shown]
	v_pk_add_f32 v[16:17], v[8:9], 0 neg_lo:[1,1] neg_hi:[1,1]
	v_xor_b32_e32 v18, 0x80000000, v7
	v_mov_b32_e32 v19, v6
	v_pk_mov_b32 v[16:17], v[8:9], v[16:17] op_sel:[1,0]
	v_xor_b32_e32 v22, 0x80000000, v11
	v_mov_b32_e32 v23, v10
	v_pk_mul_f32 v[18:19], v[44:45], v[18:19]
	v_pk_mul_f32 v[16:17], v[16:17], v[36:37]
	;; [unrolled: 1-line block ×3, first 2 shown]
	v_pk_fma_f32 v[6:7], v[6:7], v[12:13], v[18:19]
	v_pk_fma_f32 v[8:9], v[8:9], v[34:35], v[16:17] neg_lo:[1,0,0] neg_hi:[1,0,0]
	v_pk_fma_f32 v[10:11], v[10:11], v[20:21], v[22:23]
	v_pk_add_f32 v[6:7], v[8:9], v[6:7] neg_lo:[0,1] neg_hi:[0,1]
	s_waitcnt vmcnt(0)
	v_pk_add_f32 v[14:15], v[14:15], v[10:11] neg_lo:[0,1] neg_hi:[0,1]
	v_pk_add_f32 v[6:7], v[6:7], v[32:33]
	global_store_dwordx2 v[30:31], v[6:7], off
.LBB258_60:                             ;   in Loop: Header=BB258_5 Depth=1
	s_or_b64 exec, exec, s[24:25]
	v_mov_b64_e32 v[6:7], v[14:15]
                                        ; implicit-def: $vgpr24_vgpr25
                                        ; implicit-def: $vgpr12_vgpr13
                                        ; implicit-def: $vgpr20_vgpr21
                                        ; implicit-def: $vgpr14_vgpr15
                                        ; implicit-def: $vgpr26_vgpr27
                                        ; implicit-def: $vgpr8_vgpr9
.LBB258_61:                             ;   in Loop: Header=BB258_5 Depth=1
	s_or_saveexec_b64 s[2:3], s[4:5]
	v_mov_b32_e32 v5, s33
	s_xor_b64 exec, exec, s[2:3]
	s_cbranch_execz .LBB258_4
; %bb.62:                               ;   in Loop: Header=BB258_5 Depth=1
	v_ashrrev_i32_e32 v5, 31, v4
	v_lshlrev_b64 v[16:17], 3, v[20:21]
	v_lshl_add_u64 v[18:19], v[4:5], 3, v[2:3]
	v_lshl_add_u64 v[22:23], s[12:13], 0, v[16:17]
	global_load_dwordx2 v[10:11], v[18:19], off
	global_load_dwordx2 v[28:29], v[22:23], off
	v_mul_f32_e32 v5, v7, v7
	v_fmac_f32_e32 v5, v6, v6
	v_fma_f32 v34, 0, v7, v6
	v_fma_f32 v7, v6, 0, -v7
	v_div_scale_f32 v6, s[4:5], v5, v5, 1.0
	v_lshl_add_u64 v[32:33], s[14:15], 0, v[16:17]
	v_rcp_f32_e32 v16, v6
	v_div_scale_f32 v17, vcc, 1.0, v5, 1.0
	v_pk_add_f32 v[30:31], v[14:15], 0 neg_lo:[1,1] neg_hi:[1,1]
	v_fma_f32 v35, -v6, v16, 1.0
	v_fmac_f32_e32 v16, v35, v16
	v_mul_f32_e32 v35, v17, v16
	v_fma_f32 v36, -v6, v35, v17
	v_fmac_f32_e32 v35, v36, v16
	v_fma_f32 v6, -v6, v35, v17
	v_div_fmas_f32 v6, v6, v16, v35
	v_div_fixup_f32 v5, v6, v5, 1.0
	v_pk_mov_b32 v[30:31], v[30:31], v[14:15] op_sel:[1,0]
	v_mul_f32_e32 v16, v7, v5
	v_mul_f32_e32 v6, v34, v5
	v_pk_mul_f32 v[30:31], v[16:17], v[30:31] op_sel_hi:[0,1]
	v_pk_fma_f32 v[14:15], v[14:15], v[6:7], v[30:31] op_sel_hi:[1,0,1]
	global_store_dwordx2 v[32:33], v[14:15], off
	v_lshl_add_u64 v[20:21], v[20:21], 2, s[6:7]
	s_waitcnt vmcnt(2)
	v_xor_b32_e32 v30, 0x80000000, v11
	v_mov_b32_e32 v31, v10
	s_waitcnt vmcnt(1)
	v_pk_mul_f32 v[32:33], v[16:17], v[28:29] op_sel:[0,1] op_sel_hi:[0,0] neg_lo:[0,1]
	v_mov_b32_e32 v14, v10
	v_mov_b32_e32 v15, v10
	v_pk_mul_f32 v[30:31], v[16:17], v[30:31] op_sel_hi:[0,1]
	v_pk_fma_f32 v[28:29], v[28:29], v[6:7], v[32:33] op_sel_hi:[1,0,1]
	v_pk_fma_f32 v[30:31], v[10:11], v[6:7], v[30:31] op_sel_hi:[1,0,1]
	global_store_dwordx2 v[22:23], v[28:29], off
	global_store_dwordx2 v[18:19], v[30:31], off
	global_store_dword v[20:21], v49, off
	s_and_saveexec_b64 s[4:5], s[0:1]
	s_cbranch_execz .LBB258_3
; %bb.63:                               ;   in Loop: Header=BB258_5 Depth=1
	v_add_u32_e32 v18, v46, v4
	v_ashrrev_i32_e32 v19, 31, v18
	v_lshl_add_u64 v[18:19], v[18:19], 3, s[10:11]
	global_load_dwordx2 v[20:21], v[18:19], off
	v_mov_b32_e32 v17, v16
	v_mov_b32_e32 v7, v6
	v_pk_mul_f32 v[22:23], v[16:17], v[26:27]
	s_nop 0
	v_pk_fma_f32 v[8:9], v[8:9], v[6:7], v[22:23]
	s_nop 0
	v_pk_add_f32 v[22:23], v[8:9], 0 neg_lo:[1,1] neg_hi:[1,1]
	s_nop 0
	v_pk_mov_b32 v[22:23], v[8:9], v[22:23] op_sel:[1,0]
	s_nop 0
	v_pk_mul_f32 v[10:11], v[22:23], v[10:11] op_sel:[0,1]
	s_nop 0
	v_pk_fma_f32 v[8:9], v[8:9], v[14:15], v[10:11] neg_lo:[1,0,0] neg_hi:[1,0,0]
	s_waitcnt vmcnt(0)
	v_pk_add_f32 v[8:9], v[8:9], v[20:21]
	global_store_dwordx2 v[18:19], v[8:9], off
	s_branch .LBB258_3
.LBB258_64:
	s_or_b64 exec, exec, s[20:21]
.LBB258_65:
	v_subrev_u32_e32 v1, s28, v4
	v_add_u32_e32 v4, v1, v0
	v_ashrrev_i32_e32 v5, 31, v4
	s_waitcnt lgkmcnt(0)
	v_lshl_add_u64 v[4:5], v[4:5], 2, s[6:7]
	buffer_wbl2 sc1
	s_waitcnt vmcnt(0)
	buffer_inv sc1
	global_load_dword v4, v[4:5], off
	s_waitcnt vmcnt(0)
	v_mul_lo_u32 v4, v4, s28
	v_sub_u32_e32 v4, v1, v4
	v_cmp_lt_i32_e32 vcc, -1, v4
	s_and_b64 exec, exec, vcc
	s_cbranch_execz .LBB258_72
; %bb.66:
	v_subrev_u32_e32 v1, s28, v0
	s_lshl_b32 s4, s28, 1
	s_mov_b64 s[0:1], 0
	s_branch .LBB258_68
.LBB258_67:                             ;   in Loop: Header=BB258_68 Depth=1
	s_or_b64 exec, exec, s[2:3]
	v_lshl_add_u64 v[6:7], v[6:7], 3, s[12:13]
	global_load_dwordx2 v[8:9], v[6:7], off
	v_sub_u32_e32 v4, v4, v5
	v_cmp_gt_i32_e32 vcc, 0, v4
	s_or_b64 s[0:1], vcc, s[0:1]
	s_waitcnt vmcnt(0)
	v_pk_add_f32 v[8:9], v[8:9], v[10:11]
	global_store_dwordx2 v[6:7], v[8:9], off
	s_andn2_b64 exec, exec, s[0:1]
	s_cbranch_execz .LBB258_72
.LBB258_68:                             ; =>This Inner Loop Header: Depth=1
	v_add_u32_e32 v6, v4, v0
	v_ashrrev_i32_e32 v7, 31, v6
	v_lshl_add_u64 v[8:9], v[6:7], 2, s[6:7]
	global_load_dword v5, v[8:9], off
	v_lshl_add_u64 v[8:9], v[6:7], 3, s[14:15]
	global_load_dwordx2 v[8:9], v[8:9], off
                                        ; implicit-def: $vgpr10_vgpr11
	s_waitcnt vmcnt(1)
	v_cmp_ne_u32_e32 vcc, 1, v5
	s_and_saveexec_b64 s[2:3], vcc
	s_xor_b64 s[2:3], exec, s[2:3]
	s_cbranch_execz .LBB258_70
; %bb.69:                               ;   in Loop: Header=BB258_68 Depth=1
	v_add_u32_e32 v10, v46, v4
	v_ashrrev_i32_e32 v11, 31, v10
	v_lshlrev_b64 v[10:11], 3, v[10:11]
	v_lshl_add_u64 v[12:13], s[10:11], 0, v[10:11]
	global_load_dwordx2 v[14:15], v[12:13], off
	v_ashrrev_i32_e32 v5, 31, v4
	v_lshl_add_u64 v[10:11], s[12:13], 0, v[10:11]
	global_load_dwordx2 v[16:17], v[10:11], off
	v_lshl_add_u64 v[18:19], v[4:5], 3, v[2:3]
	global_load_dwordx2 v[20:21], v[18:19], off
	;; [unrolled: 2-line block ×3, first 2 shown]
	v_add_u32_e32 v24, v1, v4
	s_waitcnt vmcnt(4)
	v_pk_add_f32 v[26:27], v[8:9], 0 neg_lo:[1,1] neg_hi:[1,1]
	v_ashrrev_i32_e32 v25, 31, v24
	v_pk_mov_b32 v[26:27], v[8:9], v[26:27] op_sel:[1,0]
	v_lshlrev_b64 v[28:29], 3, v[24:25]
	v_lshl_add_u64 v[30:31], s[14:15], 0, v[28:29]
	global_load_dwordx2 v[30:31], v[30:31], off
	s_waitcnt vmcnt(4)
	v_pk_mul_f32 v[32:33], v[26:27], v[14:15] op_sel:[0,1]
	s_nop 0
	v_pk_fma_f32 v[14:15], v[8:9], v[14:15], v[32:33] op_sel_hi:[1,0,1] neg_lo:[1,0,0] neg_hi:[1,0,0]
	s_waitcnt vmcnt(3)
	v_pk_mul_f32 v[26:27], v[26:27], v[16:17] op_sel:[0,1]
	s_nop 0
	v_pk_fma_f32 v[8:9], v[8:9], v[16:17], v[26:27] op_sel_hi:[1,0,1] neg_lo:[1,0,0] neg_hi:[1,0,0]
	s_waitcnt vmcnt(2)
	v_pk_add_f32 v[14:15], v[20:21], v[14:15]
	s_waitcnt vmcnt(1)
	v_pk_add_f32 v[8:9], v[22:23], v[8:9]
	global_store_dwordx2 v[18:19], v[14:15], off
	global_store_dwordx2 v[6:7], v[8:9], off
	global_load_dwordx2 v[6:7], v[12:13], off
	s_nop 0
	global_load_dwordx2 v[8:9], v[10:11], off
	v_lshl_add_u64 v[12:13], s[10:11], 0, v[28:29]
	global_load_dwordx2 v[14:15], v[12:13], off
	s_waitcnt vmcnt(5)
	v_pk_add_f32 v[10:11], v[30:31], 0 neg_lo:[1,1] neg_hi:[1,1]
	s_nop 0
	v_pk_mov_b32 v[10:11], v[30:31], v[10:11] op_sel:[1,0]
	s_waitcnt vmcnt(2)
	v_pk_mul_f32 v[16:17], v[10:11], v[6:7] op_sel:[0,1]
	s_nop 0
	v_pk_fma_f32 v[6:7], v[30:31], v[6:7], v[16:17] op_sel_hi:[1,0,1] neg_lo:[1,0,0] neg_hi:[1,0,0]
	s_waitcnt vmcnt(1)
	v_pk_mul_f32 v[10:11], v[8:9], v[10:11] op_sel:[1,0]
	s_waitcnt vmcnt(0)
	v_pk_add_f32 v[6:7], v[14:15], v[6:7]
	v_pk_fma_f32 v[10:11], v[30:31], v[8:9], v[10:11] op_sel_hi:[1,0,1] neg_lo:[1,0,0] neg_hi:[1,0,0]
	global_store_dwordx2 v[12:13], v[6:7], off
	v_mov_b64_e32 v[6:7], v[24:25]
                                        ; implicit-def: $vgpr8_vgpr9
.LBB258_70:                             ;   in Loop: Header=BB258_68 Depth=1
	s_or_saveexec_b64 s[2:3], s[2:3]
	v_mov_b32_e32 v5, s4
	s_xor_b64 exec, exec, s[2:3]
	s_cbranch_execz .LBB258_67
; %bb.71:                               ;   in Loop: Header=BB258_68 Depth=1
	v_add_u32_e32 v10, v46, v4
	v_ashrrev_i32_e32 v11, 31, v10
	v_lshlrev_b64 v[10:11], 3, v[10:11]
	v_lshl_add_u64 v[12:13], s[10:11], 0, v[10:11]
	global_load_dwordx2 v[12:13], v[12:13], off
	v_lshl_add_u64 v[10:11], s[12:13], 0, v[10:11]
	v_ashrrev_i32_e32 v5, 31, v4
	global_load_dwordx2 v[10:11], v[10:11], off
	v_lshl_add_u64 v[14:15], v[4:5], 3, v[2:3]
	global_load_dwordx2 v[16:17], v[14:15], off
	s_waitcnt vmcnt(3)
	v_pk_add_f32 v[18:19], v[8:9], 0 neg_lo:[1,1] neg_hi:[1,1]
	v_mov_b32_e32 v5, s28
	v_pk_mov_b32 v[18:19], v[8:9], v[18:19] op_sel:[1,0]
	s_waitcnt vmcnt(2)
	v_pk_mul_f32 v[20:21], v[18:19], v[12:13] op_sel:[0,1]
	s_nop 0
	v_pk_fma_f32 v[12:13], v[8:9], v[12:13], v[20:21] op_sel_hi:[1,0,1] neg_lo:[1,0,0] neg_hi:[1,0,0]
	s_waitcnt vmcnt(1)
	v_pk_mul_f32 v[18:19], v[18:19], v[10:11] op_sel:[0,1]
	s_nop 0
	v_pk_fma_f32 v[10:11], v[8:9], v[10:11], v[18:19] op_sel_hi:[1,0,1] neg_lo:[1,0,0] neg_hi:[1,0,0]
	s_waitcnt vmcnt(0)
	v_pk_add_f32 v[8:9], v[16:17], v[12:13]
	global_store_dwordx2 v[14:15], v[8:9], off
	s_branch .LBB258_67
.LBB258_72:
	s_endpgm
	.section	.rodata,"a",@progbits
	.p2align	6, 0x0
	.amdhsa_kernel _ZN9rocsparseL18gtsv_LBM_wv_kernelILj256ELj256E21rocsparse_complex_numIfEEEviiiPKT1_S5_S5_PS3_S6_S6_Pi
		.amdhsa_group_segment_fixed_size 0
		.amdhsa_private_segment_fixed_size 0
		.amdhsa_kernarg_size 72
		.amdhsa_user_sgpr_count 2
		.amdhsa_user_sgpr_dispatch_ptr 0
		.amdhsa_user_sgpr_queue_ptr 0
		.amdhsa_user_sgpr_kernarg_segment_ptr 1
		.amdhsa_user_sgpr_dispatch_id 0
		.amdhsa_user_sgpr_kernarg_preload_length 0
		.amdhsa_user_sgpr_kernarg_preload_offset 0
		.amdhsa_user_sgpr_private_segment_size 0
		.amdhsa_uses_dynamic_stack 0
		.amdhsa_enable_private_segment 0
		.amdhsa_system_sgpr_workgroup_id_x 1
		.amdhsa_system_sgpr_workgroup_id_y 0
		.amdhsa_system_sgpr_workgroup_id_z 0
		.amdhsa_system_sgpr_workgroup_info 0
		.amdhsa_system_vgpr_workitem_id 0
		.amdhsa_next_free_vgpr 68
		.amdhsa_next_free_sgpr 35
		.amdhsa_accum_offset 68
		.amdhsa_reserve_vcc 1
		.amdhsa_float_round_mode_32 0
		.amdhsa_float_round_mode_16_64 0
		.amdhsa_float_denorm_mode_32 3
		.amdhsa_float_denorm_mode_16_64 3
		.amdhsa_dx10_clamp 1
		.amdhsa_ieee_mode 1
		.amdhsa_fp16_overflow 0
		.amdhsa_tg_split 0
		.amdhsa_exception_fp_ieee_invalid_op 0
		.amdhsa_exception_fp_denorm_src 0
		.amdhsa_exception_fp_ieee_div_zero 0
		.amdhsa_exception_fp_ieee_overflow 0
		.amdhsa_exception_fp_ieee_underflow 0
		.amdhsa_exception_fp_ieee_inexact 0
		.amdhsa_exception_int_div_zero 0
	.end_amdhsa_kernel
	.section	.text._ZN9rocsparseL18gtsv_LBM_wv_kernelILj256ELj256E21rocsparse_complex_numIfEEEviiiPKT1_S5_S5_PS3_S6_S6_Pi,"axG",@progbits,_ZN9rocsparseL18gtsv_LBM_wv_kernelILj256ELj256E21rocsparse_complex_numIfEEEviiiPKT1_S5_S5_PS3_S6_S6_Pi,comdat
.Lfunc_end258:
	.size	_ZN9rocsparseL18gtsv_LBM_wv_kernelILj256ELj256E21rocsparse_complex_numIfEEEviiiPKT1_S5_S5_PS3_S6_S6_Pi, .Lfunc_end258-_ZN9rocsparseL18gtsv_LBM_wv_kernelILj256ELj256E21rocsparse_complex_numIfEEEviiiPKT1_S5_S5_PS3_S6_S6_Pi
                                        ; -- End function
	.set _ZN9rocsparseL18gtsv_LBM_wv_kernelILj256ELj256E21rocsparse_complex_numIfEEEviiiPKT1_S5_S5_PS3_S6_S6_Pi.num_vgpr, 68
	.set _ZN9rocsparseL18gtsv_LBM_wv_kernelILj256ELj256E21rocsparse_complex_numIfEEEviiiPKT1_S5_S5_PS3_S6_S6_Pi.num_agpr, 0
	.set _ZN9rocsparseL18gtsv_LBM_wv_kernelILj256ELj256E21rocsparse_complex_numIfEEEviiiPKT1_S5_S5_PS3_S6_S6_Pi.numbered_sgpr, 35
	.set _ZN9rocsparseL18gtsv_LBM_wv_kernelILj256ELj256E21rocsparse_complex_numIfEEEviiiPKT1_S5_S5_PS3_S6_S6_Pi.num_named_barrier, 0
	.set _ZN9rocsparseL18gtsv_LBM_wv_kernelILj256ELj256E21rocsparse_complex_numIfEEEviiiPKT1_S5_S5_PS3_S6_S6_Pi.private_seg_size, 0
	.set _ZN9rocsparseL18gtsv_LBM_wv_kernelILj256ELj256E21rocsparse_complex_numIfEEEviiiPKT1_S5_S5_PS3_S6_S6_Pi.uses_vcc, 1
	.set _ZN9rocsparseL18gtsv_LBM_wv_kernelILj256ELj256E21rocsparse_complex_numIfEEEviiiPKT1_S5_S5_PS3_S6_S6_Pi.uses_flat_scratch, 0
	.set _ZN9rocsparseL18gtsv_LBM_wv_kernelILj256ELj256E21rocsparse_complex_numIfEEEviiiPKT1_S5_S5_PS3_S6_S6_Pi.has_dyn_sized_stack, 0
	.set _ZN9rocsparseL18gtsv_LBM_wv_kernelILj256ELj256E21rocsparse_complex_numIfEEEviiiPKT1_S5_S5_PS3_S6_S6_Pi.has_recursion, 0
	.set _ZN9rocsparseL18gtsv_LBM_wv_kernelILj256ELj256E21rocsparse_complex_numIfEEEviiiPKT1_S5_S5_PS3_S6_S6_Pi.has_indirect_call, 0
	.section	.AMDGPU.csdata,"",@progbits
; Kernel info:
; codeLenInByte = 6488
; TotalNumSgprs: 41
; NumVgprs: 68
; NumAgprs: 0
; TotalNumVgprs: 68
; ScratchSize: 0
; MemoryBound: 0
; FloatMode: 240
; IeeeMode: 1
; LDSByteSize: 0 bytes/workgroup (compile time only)
; SGPRBlocks: 5
; VGPRBlocks: 8
; NumSGPRsForWavesPerEU: 41
; NumVGPRsForWavesPerEU: 68
; AccumOffset: 68
; Occupancy: 7
; WaveLimiterHint : 0
; COMPUTE_PGM_RSRC2:SCRATCH_EN: 0
; COMPUTE_PGM_RSRC2:USER_SGPR: 2
; COMPUTE_PGM_RSRC2:TRAP_HANDLER: 0
; COMPUTE_PGM_RSRC2:TGID_X_EN: 1
; COMPUTE_PGM_RSRC2:TGID_Y_EN: 0
; COMPUTE_PGM_RSRC2:TGID_Z_EN: 0
; COMPUTE_PGM_RSRC2:TIDIG_COMP_CNT: 0
; COMPUTE_PGM_RSRC3_GFX90A:ACCUM_OFFSET: 16
; COMPUTE_PGM_RSRC3_GFX90A:TG_SPLIT: 0
	.section	.text._ZN9rocsparseL19gtsv_LBM_rhs_kernelILj256ELj256ELj8E21rocsparse_complex_numIfEEEviiiPKT2_S5_S5_PS3_S5_PKi,"axG",@progbits,_ZN9rocsparseL19gtsv_LBM_rhs_kernelILj256ELj256ELj8E21rocsparse_complex_numIfEEEviiiPKT2_S5_S5_PS3_S5_PKi,comdat
	.globl	_ZN9rocsparseL19gtsv_LBM_rhs_kernelILj256ELj256ELj8E21rocsparse_complex_numIfEEEviiiPKT2_S5_S5_PS3_S5_PKi ; -- Begin function _ZN9rocsparseL19gtsv_LBM_rhs_kernelILj256ELj256ELj8E21rocsparse_complex_numIfEEEviiiPKT2_S5_S5_PS3_S5_PKi
	.p2align	8
	.type	_ZN9rocsparseL19gtsv_LBM_rhs_kernelILj256ELj256ELj8E21rocsparse_complex_numIfEEEviiiPKT2_S5_S5_PS3_S5_PKi,@function
_ZN9rocsparseL19gtsv_LBM_rhs_kernelILj256ELj256ELj8E21rocsparse_complex_numIfEEEviiiPKT2_S5_S5_PS3_S5_PKi: ; @_ZN9rocsparseL19gtsv_LBM_rhs_kernelILj256ELj256ELj8E21rocsparse_complex_numIfEEEviiiPKT2_S5_S5_PS3_S5_PKi
; %bb.0:
	s_load_dword s23, s[0:1], 0x0
	v_lshl_or_b32 v0, s2, 8, v0
	s_waitcnt lgkmcnt(0)
	s_lshr_b32 s22, s23, 8
	v_cmp_gt_i32_e32 vcc, s22, v0
	s_and_saveexec_b64 s[4:5], vcc
	s_cbranch_execz .LBB259_29
; %bb.1:
	s_load_dwordx4 s[8:11], s[0:1], 0x28
	s_load_dwordx2 s[6:7], s[0:1], 0x38
	s_cmp_lt_i32 s23, 1
	v_add_u32_e32 v92, s22, v0
	s_mul_i32 s24, s3, s23
	s_cbranch_scc1 .LBB259_21
; %bb.2:
	s_load_dwordx4 s[12:15], s[0:1], 0x10
	s_load_dwordx2 s[16:17], s[0:1], 0x20
	v_ashrrev_i32_e32 v1, 31, v0
	s_lshl_b32 s28, s24, 3
	s_add_i32 s29, s28, s23
	s_waitcnt lgkmcnt(0)
	v_lshl_add_u64 v[2:3], v[0:1], 3, s[14:15]
	global_load_dwordx2 v[4:5], v[2:3], off
	s_add_i32 s30, s29, s23
	s_add_i32 s31, s30, s23
	;; [unrolled: 1-line block ×5, first 2 shown]
	s_mul_i32 s25, s22, 0xff
	s_mul_i32 s26, s22, 0xfe
	s_lshl_b32 s27, s22, 1
	v_add_u32_e32 v1, s22, v92
	s_add_i32 s36, s35, s23
	v_mov_b32_e32 v3, 0
	s_mov_b64 s[18:19], 0
	v_mov_b32_e32 v93, 0
	s_branch .LBB259_5
.LBB259_3:                              ;   in Loop: Header=BB259_5 Depth=1
	s_or_b64 exec, exec, s[4:5]
	v_mov_b32_e32 v19, v6
	v_pk_mul_f32 v[10:11], v[12:13], v[18:19] op_sel:[1,0]
	s_nop 0
	v_pk_fma_f32 v[6:7], v[6:7], v[12:13], v[10:11] op_sel_hi:[1,0,1]
	s_nop 0
	v_xor_b32_e32 v10, 0x80000000, v7
	v_mov_b32_e32 v11, v6
	v_pk_mul_f32 v[8:9], v[8:9], v[10:11] op_sel_hi:[0,1]
	v_pk_fma_f32 v[4:5], v[6:7], v[4:5], v[8:9] op_sel_hi:[1,0,1]
	v_mov_b32_e32 v8, s22
	v_pk_add_f32 v[4:5], v[14:15], v[4:5] neg_lo:[0,1] neg_hi:[0,1]
.LBB259_4:                              ;   in Loop: Header=BB259_5 Depth=1
	s_or_b64 exec, exec, s[2:3]
	v_add_u32_e32 v93, v8, v93
	v_cmp_le_i32_e32 vcc, s23, v93
	s_or_b64 s[18:19], vcc, s[18:19]
	s_andn2_b64 exec, exec, s[18:19]
	s_cbranch_execz .LBB259_20
.LBB259_5:                              ; =>This Inner Loop Header: Depth=1
	v_add_u32_e32 v16, v93, v0
	v_ashrrev_i32_e32 v17, 31, v16
	v_lshl_add_u64 v[6:7], v[16:17], 3, s[16:17]
	global_load_dwordx2 v[12:13], v[6:7], off
	v_cmp_gt_u32_e64 s[0:1], s25, v93
	v_mov_b32_e32 v6, 0
	v_mov_b32_e32 v7, 0
	s_and_saveexec_b64 s[2:3], s[0:1]
	s_cbranch_execz .LBB259_7
; %bb.6:                                ;   in Loop: Header=BB259_5 Depth=1
	v_add_u32_e32 v6, v92, v93
	v_ashrrev_i32_e32 v7, 31, v6
	v_lshl_add_u64 v[6:7], v[6:7], 3, s[12:13]
	global_load_dwordx2 v[6:7], v[6:7], off
.LBB259_7:                              ;   in Loop: Header=BB259_5 Depth=1
	s_or_b64 exec, exec, s[2:3]
	v_mov_b32_e32 v8, 0
	v_mov_b32_e32 v14, 0
	;; [unrolled: 1-line block ×3, first 2 shown]
	s_and_saveexec_b64 s[2:3], s[0:1]
	s_cbranch_execz .LBB259_9
; %bb.8:                                ;   in Loop: Header=BB259_5 Depth=1
	v_add_u32_e32 v10, v92, v93
	v_ashrrev_i32_e32 v11, 31, v10
	v_lshl_add_u64 v[10:11], v[10:11], 3, s[14:15]
	global_load_dwordx2 v[14:15], v[10:11], off
.LBB259_9:                              ;   in Loop: Header=BB259_5 Depth=1
	s_or_b64 exec, exec, s[2:3]
	v_mov_b32_e32 v9, 0
	s_and_saveexec_b64 s[2:3], s[0:1]
	s_cbranch_execz .LBB259_11
; %bb.10:                               ;   in Loop: Header=BB259_5 Depth=1
	v_add_u32_e32 v8, v92, v93
	v_ashrrev_i32_e32 v9, 31, v8
	v_lshl_add_u64 v[8:9], v[8:9], 3, s[16:17]
	global_load_dwordx2 v[8:9], v[8:9], off
.LBB259_11:                             ;   in Loop: Header=BB259_5 Depth=1
	s_or_b64 exec, exec, s[2:3]
	v_cmp_gt_u32_e64 s[2:3], s26, v93
	v_mov_b32_e32 v10, 0
	v_mov_b32_e32 v11, 0
	s_and_saveexec_b64 s[4:5], s[2:3]
	s_cbranch_execz .LBB259_13
; %bb.12:                               ;   in Loop: Header=BB259_5 Depth=1
	v_add_u32_e32 v10, v1, v93
	v_ashrrev_i32_e32 v11, 31, v10
	v_lshl_add_u64 v[10:11], v[10:11], 3, s[12:13]
	global_load_dwordx2 v[10:11], v[10:11], off
.LBB259_13:                             ;   in Loop: Header=BB259_5 Depth=1
	s_or_b64 exec, exec, s[4:5]
	v_lshl_add_u64 v[18:19], v[16:17], 2, s[6:7]
	global_load_dword v17, v[18:19], off
	v_cmp_ne_u32_e32 vcc, s25, v93
	v_add_u32_e32 v2, s28, v16
	v_add_u32_e32 v38, s29, v16
	;; [unrolled: 1-line block ×8, first 2 shown]
	s_waitcnt vmcnt(1)
	v_xor_b32_e32 v18, 0x80000000, v7
	s_waitcnt vmcnt(0)
	v_cmp_ne_u32_e64 s[4:5], 1, v17
	s_and_b64 s[4:5], vcc, s[4:5]
	s_and_saveexec_b64 s[20:21], s[4:5]
	s_xor_b64 s[4:5], exec, s[20:21]
	s_cbranch_execz .LBB259_17
; %bb.14:                               ;   in Loop: Header=BB259_5 Depth=1
	v_add_u32_e32 v46, v92, v93
	v_lshl_add_u64 v[30:31], v[2:3], 3, s[8:9]
	v_add_u32_e32 v2, s28, v46
	v_mov_b32_e32 v39, v3
	v_mov_b32_e32 v35, v3
	v_lshl_add_u64 v[22:23], v[2:3], 3, s[8:9]
	v_lshl_add_u64 v[38:39], v[38:39], 3, s[8:9]
	;; [unrolled: 1-line block ×3, first 2 shown]
	global_load_dwordx2 v[36:37], v[30:31], off
	global_load_dwordx2 v[42:43], v[38:39], off
	;; [unrolled: 1-line block ×4, first 2 shown]
	v_add_u32_e32 v2, s29, v46
	v_lshl_add_u64 v[90:91], v[2:3], 3, s[8:9]
	v_xor_b32_e32 v16, 0x80000000, v5
	v_mov_b32_e32 v33, v3
	v_mov_b32_e32 v17, v4
	;; [unrolled: 1-line block ×3, first 2 shown]
	global_load_dwordx2 v[44:45], v[90:91], off
	v_mov_b32_e32 v21, v3
	v_lshl_add_u64 v[48:49], v[32:33], 3, s[8:9]
	v_pk_mul_f32 v[32:33], v[14:15], v[16:17] op_sel:[1,0]
	v_pk_mul_f32 v[18:19], v[12:13], v[18:19] op_sel:[1,0]
	v_add_u32_e32 v2, s30, v46
	v_lshl_add_u64 v[96:97], v[2:3], 3, s[8:9]
	v_lshl_add_u64 v[98:99], v[20:21], 3, s[8:9]
	v_pk_fma_f32 v[20:21], v[4:5], v[14:15], v[32:33] op_sel_hi:[1,0,1]
	v_pk_fma_f32 v[18:19], v[6:7], v[12:13], v[18:19] op_sel_hi:[1,0,1]
	global_load_dwordx2 v[54:55], v[96:97], off
	v_pk_add_f32 v[18:19], v[20:21], v[18:19] neg_lo:[0,1] neg_hi:[0,1]
	v_add_u32_e32 v2, s31, v46
	v_mul_f32_e32 v20, v19, v19
	v_mov_b32_e32 v29, v3
	v_mov_b32_e32 v27, v3
	;; [unrolled: 1-line block ×3, first 2 shown]
	v_lshl_add_u64 v[102:103], v[2:3], 3, s[8:9]
	v_fmac_f32_e32 v20, v18, v18
	v_lshl_add_u64 v[28:29], v[28:29], 3, s[8:9]
	v_lshl_add_u64 v[26:27], v[26:27], 3, s[8:9]
	;; [unrolled: 1-line block ×3, first 2 shown]
	global_load_dwordx2 v[56:57], v[48:49], off
	global_load_dwordx2 v[58:59], v[28:29], off
	global_load_dwordx2 v[62:63], v[26:27], off
	global_load_dwordx2 v[100:101], v[24:25], off
	global_load_dwordx2 v[66:67], v[102:103], off
	v_fma_f32 v21, 0, v19, v18
	v_fma_f32 v19, v18, 0, -v19
	v_add_u32_e32 v2, s33, v46
	v_div_scale_f32 v18, s[20:21], v20, v20, 1.0
	v_lshl_add_u64 v[104:105], v[2:3], 3, s[8:9]
	v_rcp_f32_e32 v33, v18
	global_load_dwordx2 v[80:81], v[104:105], off
	v_add_u32_e32 v2, s34, v46
	v_lshl_add_u64 v[106:107], v[2:3], 3, s[8:9]
	v_add_u32_e32 v2, s35, v46
	v_lshl_add_u64 v[108:109], v[2:3], 3, s[8:9]
	v_fma_f32 v2, -v18, v33, 1.0
	v_div_scale_f32 v32, vcc, 1.0, v20, 1.0
	global_load_dwordx2 v[110:111], v[106:107], off
	global_load_dwordx2 v[114:115], v[98:99], off
	v_fmac_f32_e32 v33, v2, v33
	v_mul_f32_e32 v2, v32, v33
	v_fma_f32 v47, -v18, v2, v32
	v_fmac_f32_e32 v2, v47, v33
	global_load_dwordx2 v[112:113], v[108:109], off
	v_fma_f32 v18, -v18, v2, v32
	v_div_fmas_f32 v2, v18, v33, v2
	v_div_fixup_f32 v2, v2, v20, 1.0
	v_mul_f32_e32 v18, v21, v2
	v_mul_f32_e32 v20, v19, v2
	v_add_u32_e32 v2, s36, v46
	v_lshl_add_u64 v[116:117], v[2:3], 3, s[8:9]
	global_load_dwordx2 v[118:119], v[116:117], off
	v_xor_b32_e32 v88, 0x80000000, v15
	v_mov_b32_e32 v89, v14
	v_xor_b32_e32 v94, 0x80000000, v13
	v_mov_b32_e32 v95, v12
	v_mov_b32_e32 v2, v3
	s_waitcnt vmcnt(15)
	v_mul_f32_e32 v78, v20, v36
	v_mul_f32_e64 v72, v20, -v37
	v_fmac_f32_e32 v78, v37, v18
	s_waitcnt vmcnt(12)
	v_mul_f32_e32 v86, v20, v40
	v_mul_f32_e64 v82, v20, -v41
	v_fmac_f32_e32 v86, v41, v18
	v_fmac_f32_e32 v72, v36, v18
	v_pk_mul_f32 v[32:33], v[78:79], v[88:89] op_sel_hi:[0,1]
	v_fmac_f32_e32 v82, v40, v18
	v_pk_mul_f32 v[36:37], v[86:87], v[94:95] op_sel_hi:[0,1]
	v_pk_fma_f32 v[32:33], v[14:15], v[72:73], v[32:33] op_sel_hi:[1,0,1]
	v_pk_fma_f32 v[36:37], v[12:13], v[82:83], v[36:37] op_sel_hi:[1,0,1]
	v_mul_f32_e32 v46, v20, v42
	s_waitcnt vmcnt(11)
	v_mul_f32_e32 v60, v20, v44
	v_pk_add_f32 v[32:33], v[32:33], v[36:37] neg_lo:[0,1] neg_hi:[0,1]
	v_mul_f32_e64 v36, v20, -v43
	v_fmac_f32_e32 v46, v43, v18
	v_mul_f32_e64 v50, v20, -v45
	v_fmac_f32_e32 v60, v45, v18
	global_store_dwordx2 v[30:31], v[32:33], off
	v_fmac_f32_e32 v36, v42, v18
	v_fmac_f32_e32 v50, v44, v18
	v_pk_mul_f32 v[30:31], v[46:47], v[88:89] op_sel_hi:[0,1]
	v_pk_mul_f32 v[32:33], v[60:61], v[94:95] op_sel_hi:[0,1]
	v_pk_fma_f32 v[30:31], v[14:15], v[36:37], v[30:31] op_sel_hi:[1,0,1]
	v_pk_fma_f32 v[32:33], v[12:13], v[50:51], v[32:33] op_sel_hi:[1,0,1]
	v_mul_f32_e32 v74, v20, v52
	s_waitcnt vmcnt(11)
	v_mul_f32_e32 v84, v20, v54
	v_pk_add_f32 v[30:31], v[30:31], v[32:33] neg_lo:[0,1] neg_hi:[0,1]
	v_mul_f32_e64 v64, v20, -v53
	v_fmac_f32_e32 v74, v53, v18
	v_mul_f32_e64 v76, v20, -v55
	v_fmac_f32_e32 v84, v55, v18
	global_store_dwordx2 v[38:39], v[30:31], off
	v_fmac_f32_e32 v64, v52, v18
	v_fmac_f32_e32 v76, v54, v18
	v_pk_mul_f32 v[30:31], v[74:75], v[88:89] op_sel_hi:[0,1]
	v_pk_mul_f32 v[32:33], v[84:85], v[94:95] op_sel_hi:[0,1]
	v_pk_fma_f32 v[30:31], v[14:15], v[64:65], v[30:31] op_sel_hi:[1,0,1]
	v_pk_fma_f32 v[32:33], v[12:13], v[76:77], v[32:33] op_sel_hi:[1,0,1]
	s_waitcnt vmcnt(11)
	v_mul_f32_e32 v42, v20, v56
	s_waitcnt vmcnt(7)
	v_mul_f32_e32 v52, v20, v66
	v_pk_add_f32 v[30:31], v[30:31], v[32:33] neg_lo:[0,1] neg_hi:[0,1]
	v_mul_f32_e64 v32, v20, -v57
	v_fmac_f32_e32 v42, v57, v18
	v_mul_f32_e64 v44, v20, -v67
	v_fmac_f32_e32 v52, v67, v18
	global_store_dwordx2 v[34:35], v[30:31], off
	v_fmac_f32_e32 v32, v56, v18
	v_fmac_f32_e32 v44, v66, v18
	v_pk_mul_f32 v[30:31], v[42:43], v[88:89] op_sel_hi:[0,1]
	v_pk_mul_f32 v[34:35], v[52:53], v[94:95] op_sel_hi:[0,1]
	s_waitcnt vmcnt(7)
	v_mul_f32_e64 v70, v20, -v81
	v_pk_fma_f32 v[30:31], v[14:15], v[32:33], v[30:31] op_sel_hi:[1,0,1]
	v_pk_fma_f32 v[34:35], v[12:13], v[44:45], v[34:35] op_sel_hi:[1,0,1]
	v_mul_f32_e32 v68, v20, v58
	v_fmac_f32_e32 v70, v80, v18
	v_mul_f32_e32 v80, v20, v80
	v_pk_add_f32 v[30:31], v[30:31], v[34:35] neg_lo:[0,1] neg_hi:[0,1]
	v_mul_f32_e64 v56, v20, -v59
	v_fmac_f32_e32 v68, v59, v18
	v_fmac_f32_e32 v80, v81, v18
	global_store_dwordx2 v[48:49], v[30:31], off
	v_fmac_f32_e32 v56, v58, v18
	v_pk_mul_f32 v[30:31], v[68:69], v[88:89] op_sel_hi:[0,1]
	v_pk_mul_f32 v[34:35], v[80:81], v[94:95] op_sel_hi:[0,1]
	v_pk_fma_f32 v[30:31], v[14:15], v[56:57], v[30:31] op_sel_hi:[1,0,1]
	v_pk_fma_f32 v[34:35], v[12:13], v[70:71], v[34:35] op_sel_hi:[1,0,1]
	v_mul_f32_e64 v54, v20, -v63
	v_mul_f32_e32 v58, v20, v62
	s_waitcnt vmcnt(7)
	v_mul_f32_e32 v66, v20, v110
	v_pk_add_f32 v[30:31], v[30:31], v[34:35] neg_lo:[0,1] neg_hi:[0,1]
	v_fmac_f32_e32 v54, v62, v18
	v_fmac_f32_e32 v58, v63, v18
	v_mul_f32_e64 v62, v20, -v111
	v_fmac_f32_e32 v66, v111, v18
	global_store_dwordx2 v[28:29], v[30:31], off
	v_fmac_f32_e32 v62, v110, v18
	v_pk_mul_f32 v[28:29], v[58:59], v[88:89] op_sel_hi:[0,1]
	v_pk_mul_f32 v[30:31], v[66:67], v[94:95] op_sel_hi:[0,1]
	v_pk_fma_f32 v[28:29], v[14:15], v[54:55], v[28:29] op_sel_hi:[1,0,1]
	v_pk_fma_f32 v[30:31], v[12:13], v[62:63], v[30:31] op_sel_hi:[1,0,1]
	v_mul_f32_e32 v38, v20, v100
	s_waitcnt vmcnt(6)
	v_mul_f32_e32 v48, v20, v112
	v_pk_add_f32 v[28:29], v[28:29], v[30:31] neg_lo:[0,1] neg_hi:[0,1]
	v_mul_f32_e64 v34, v20, -v101
	v_fmac_f32_e32 v38, v101, v18
	v_mul_f32_e64 v40, v20, -v113
	v_fmac_f32_e32 v48, v113, v18
	global_store_dwordx2 v[26:27], v[28:29], off
	v_fmac_f32_e32 v34, v100, v18
	v_fmac_f32_e32 v40, v112, v18
	v_pk_mul_f32 v[26:27], v[38:39], v[88:89] op_sel_hi:[0,1]
	v_pk_mul_f32 v[28:29], v[48:49], v[94:95] op_sel_hi:[0,1]
	v_pk_fma_f32 v[26:27], v[14:15], v[34:35], v[26:27] op_sel_hi:[1,0,1]
	v_pk_fma_f32 v[28:29], v[12:13], v[40:41], v[28:29] op_sel_hi:[1,0,1]
	s_waitcnt vmcnt(6)
	v_mul_f32_e32 v30, v20, v118
	v_pk_add_f32 v[26:27], v[26:27], v[28:29] neg_lo:[0,1] neg_hi:[0,1]
	global_store_dwordx2 v[24:25], v[26:27], off
	v_mul_f32_e32 v26, v20, v114
	v_mul_f32_e64 v24, v20, -v115
	v_fmac_f32_e32 v26, v115, v18
	v_fmac_f32_e32 v24, v114, v18
	v_mul_f32_e64 v28, v20, -v119
	v_fmac_f32_e32 v30, v119, v18
	v_pk_mul_f32 v[88:89], v[26:27], v[88:89] op_sel_hi:[0,1]
	v_fmac_f32_e32 v28, v118, v18
	v_pk_fma_f32 v[14:15], v[14:15], v[24:25], v[88:89] op_sel_hi:[1,0,1]
	v_pk_mul_f32 v[88:89], v[30:31], v[94:95] op_sel_hi:[0,1]
	v_pk_fma_f32 v[12:13], v[12:13], v[28:29], v[88:89] op_sel_hi:[1,0,1]
	v_pk_mul_f32 v[88:89], v[86:87], v[16:17] op_sel_hi:[0,1]
	v_pk_add_f32 v[12:13], v[14:15], v[12:13] neg_lo:[0,1] neg_hi:[0,1]
	global_store_dwordx2 v[98:99], v[12:13], off
	v_pk_add_f32 v[12:13], v[6:7], 0 neg_lo:[1,1] neg_hi:[1,1]
	v_pk_fma_f32 v[88:89], v[4:5], v[82:83], v[88:89] op_sel_hi:[1,0,1]
	v_pk_mov_b32 v[14:15], v[6:7], v[12:13] op_sel:[1,0]
	s_nop 0
	v_pk_mul_f32 v[12:13], v[14:15], v[78:79] op_sel_hi:[1,0]
	s_nop 0
	v_pk_fma_f32 v[12:13], v[6:7], v[72:73], v[12:13] op_sel_hi:[1,0,1] neg_lo:[1,0,0] neg_hi:[1,0,0]
	s_nop 0
	v_pk_add_f32 v[12:13], v[12:13], v[88:89]
	global_store_dwordx2 v[22:23], v[12:13], off
	v_pk_mul_f32 v[12:13], v[14:15], v[46:47] op_sel_hi:[1,0]
	v_pk_mul_f32 v[22:23], v[60:61], v[16:17] op_sel_hi:[0,1]
	v_pk_fma_f32 v[12:13], v[6:7], v[36:37], v[12:13] op_sel_hi:[1,0,1] neg_lo:[1,0,0] neg_hi:[1,0,0]
	v_pk_fma_f32 v[22:23], v[4:5], v[50:51], v[22:23] op_sel_hi:[1,0,1]
	s_nop 0
	v_pk_add_f32 v[12:13], v[12:13], v[22:23]
	global_store_dwordx2 v[90:91], v[12:13], off
	v_pk_mul_f32 v[12:13], v[14:15], v[74:75] op_sel_hi:[1,0]
	v_pk_mul_f32 v[22:23], v[84:85], v[16:17] op_sel_hi:[0,1]
	v_pk_fma_f32 v[12:13], v[6:7], v[64:65], v[12:13] op_sel_hi:[1,0,1] neg_lo:[1,0,0] neg_hi:[1,0,0]
	v_pk_fma_f32 v[22:23], v[4:5], v[76:77], v[22:23] op_sel_hi:[1,0,1]
	;; [unrolled: 7-line block ×7, first 2 shown]
	s_nop 0
	v_pk_add_f32 v[12:13], v[12:13], v[22:23]
	global_store_dwordx2 v[116:117], v[12:13], off
	v_mov_b32_e32 v12, v4
	v_mov_b32_e32 v13, v4
	v_mov_b64_e32 v[22:23], v[2:3]
	s_and_saveexec_b64 s[20:21], s[2:3]
	s_cbranch_execz .LBB259_16
; %bb.15:                               ;   in Loop: Header=BB259_5 Depth=1
	v_add_u32_e32 v22, v1, v93
	v_add_u32_e32 v2, s28, v22
	v_lshl_add_u64 v[88:89], v[2:3], 3, s[8:9]
	global_load_dwordx2 v[90:91], v[88:89], off
	v_mov_b32_e32 v2, v11
	v_pk_mul_f32 v[14:15], v[2:3], v[14:15] op_sel_hi:[0,1]
	v_pk_mul_f32 v[16:17], v[2:3], v[16:17] op_sel_hi:[0,1]
	v_pk_fma_f32 v[6:7], v[6:7], v[10:11], v[14:15] op_sel_hi:[1,0,1] neg_lo:[1,0,0] neg_hi:[1,0,0]
	v_pk_fma_f32 v[14:15], v[4:5], v[10:11], v[16:17] op_sel_hi:[1,0,1]
	v_mov_b32_e32 v87, v86
	v_xor_b32_e32 v16, 0x80000000, v15
	v_mov_b32_e32 v17, v14
	v_mov_b32_e32 v83, v82
	v_pk_mul_f32 v[86:87], v[86:87], v[16:17]
	v_mov_b32_e32 v79, v78
	v_pk_fma_f32 v[82:83], v[14:15], v[82:83], v[86:87]
	v_pk_add_f32 v[86:87], v[6:7], 0 neg_lo:[1,1] neg_hi:[1,1]
	v_mov_b32_e32 v73, v72
	v_pk_mov_b32 v[86:87], v[6:7], v[86:87] op_sel:[1,0]
	v_add_u32_e32 v2, s29, v22
	v_pk_mul_f32 v[78:79], v[86:87], v[78:79]
	v_mov_b32_e32 v47, v46
	v_pk_fma_f32 v[72:73], v[6:7], v[72:73], v[78:79] neg_lo:[1,0,0] neg_hi:[1,0,0]
	v_lshl_add_u64 v[78:79], v[2:3], 3, s[8:9]
	v_pk_add_f32 v[72:73], v[72:73], v[82:83] neg_lo:[0,1] neg_hi:[0,1]
	v_add_u32_e32 v2, s30, v22
	global_load_dwordx2 v[82:83], v[78:79], off
	v_mov_b32_e32 v61, v60
	v_mov_b32_e32 v37, v36
	;; [unrolled: 1-line block ×3, first 2 shown]
	v_pk_mul_f32 v[60:61], v[60:61], v[16:17]
	v_pk_mul_f32 v[46:47], v[86:87], v[46:47]
	v_mov_b32_e32 v75, v74
	v_mov_b32_e32 v85, v84
	v_pk_fma_f32 v[50:51], v[14:15], v[50:51], v[60:61]
	v_pk_fma_f32 v[36:37], v[6:7], v[36:37], v[46:47] neg_lo:[1,0,0] neg_hi:[1,0,0]
	v_mov_b32_e32 v65, v64
	v_mov_b32_e32 v77, v76
	v_pk_mul_f32 v[84:85], v[84:85], v[16:17]
	v_pk_mul_f32 v[60:61], v[86:87], v[74:75]
	v_pk_add_f32 v[36:37], v[36:37], v[50:51] neg_lo:[0,1] neg_hi:[0,1]
	v_pk_fma_f32 v[74:75], v[14:15], v[76:77], v[84:85]
	v_pk_fma_f32 v[46:47], v[6:7], v[64:65], v[60:61] neg_lo:[1,0,0] neg_hi:[1,0,0]
	v_mov_b32_e32 v43, v42
	v_pk_add_f32 v[46:47], v[46:47], v[74:75] neg_lo:[0,1] neg_hi:[0,1]
	v_mov_b32_e32 v53, v52
	v_mov_b32_e32 v33, v32
	;; [unrolled: 1-line block ×5, first 2 shown]
	v_pk_mul_f32 v[50:51], v[52:53], v[16:17]
	v_pk_mul_f32 v[42:43], v[86:87], v[42:43]
	v_mov_b32_e32 v57, v56
	v_mov_b32_e32 v71, v70
	v_pk_mul_f32 v[52:53], v[80:81], v[16:17]
	v_pk_fma_f32 v[44:45], v[14:15], v[44:45], v[50:51]
	v_pk_mul_f32 v[50:51], v[86:87], v[68:69]
	v_pk_fma_f32 v[32:33], v[6:7], v[32:33], v[42:43] neg_lo:[1,0,0] neg_hi:[1,0,0]
	v_pk_fma_f32 v[52:53], v[14:15], v[70:71], v[52:53]
	v_pk_fma_f32 v[42:43], v[6:7], v[56:57], v[50:51] neg_lo:[1,0,0] neg_hi:[1,0,0]
	v_pk_add_f32 v[32:33], v[32:33], v[44:45] neg_lo:[0,1] neg_hi:[0,1]
	v_pk_add_f32 v[42:43], v[42:43], v[52:53] neg_lo:[0,1] neg_hi:[0,1]
	v_mov_b32_e32 v59, v58
	v_mov_b32_e32 v67, v66
	;; [unrolled: 1-line block ×8, first 2 shown]
	v_pk_mul_f32 v[38:39], v[86:87], v[38:39]
	v_ashrrev_i32_e32 v23, 31, v22
	v_pk_fma_f32 v[34:35], v[6:7], v[34:35], v[38:39] neg_lo:[1,0,0] neg_hi:[1,0,0]
	v_mov_b32_e32 v27, v26
	v_mov_b32_e32 v31, v30
	;; [unrolled: 1-line block ×4, first 2 shown]
	s_waitcnt vmcnt(1)
	v_pk_add_f32 v[72:73], v[72:73], v[90:91]
	v_lshl_add_u64 v[90:91], v[2:3], 3, s[8:9]
	global_store_dwordx2 v[88:89], v[72:73], off
	global_load_dwordx2 v[72:73], v[90:91], off
	v_add_u32_e32 v2, s31, v22
	v_lshl_add_u64 v[88:89], v[2:3], 3, s[8:9]
	v_add_u32_e32 v2, s33, v22
	v_lshl_add_u64 v[76:77], v[2:3], 3, s[8:9]
	;; [unrolled: 2-line block ×3, first 2 shown]
	v_add_u32_e32 v2, s35, v22
	s_waitcnt vmcnt(2)
	v_pk_add_f32 v[36:37], v[36:37], v[82:83]
	global_store_dwordx2 v[78:79], v[36:37], off
	global_load_dwordx2 v[36:37], v[88:89], off
	s_waitcnt vmcnt(2)
	v_pk_add_f32 v[46:47], v[46:47], v[72:73]
	global_store_dwordx2 v[90:91], v[46:47], off
	global_load_dwordx2 v[46:47], v[76:77], off
	s_waitcnt vmcnt(2)
	v_pk_add_f32 v[32:33], v[32:33], v[36:37]
	global_store_dwordx2 v[88:89], v[32:33], off
	v_pk_mul_f32 v[36:37], v[66:67], v[16:17]
	s_waitcnt vmcnt(1)
	v_pk_add_f32 v[32:33], v[42:43], v[46:47]
	global_store_dwordx2 v[76:77], v[32:33], off
	global_load_dwordx2 v[32:33], v[50:51], off
	v_pk_mul_f32 v[42:43], v[86:87], v[58:59]
	v_pk_fma_f32 v[36:37], v[14:15], v[62:63], v[36:37]
	v_pk_fma_f32 v[42:43], v[6:7], v[54:55], v[42:43] neg_lo:[1,0,0] neg_hi:[1,0,0]
	s_nop 0
	v_pk_add_f32 v[36:37], v[42:43], v[36:37] neg_lo:[0,1] neg_hi:[0,1]
	v_lshl_add_u64 v[42:43], v[2:3], 3, s[8:9]
	v_add_u32_e32 v2, s36, v22
	v_lshl_add_u64 v[22:23], v[22:23], 3, s[14:15]
	global_load_dwordx2 v[22:23], v[22:23], off
	s_waitcnt vmcnt(1)
	v_pk_add_f32 v[32:33], v[36:37], v[32:33]
	global_store_dwordx2 v[50:51], v[32:33], off
	global_load_dwordx2 v[32:33], v[42:43], off
	v_pk_mul_f32 v[36:37], v[48:49], v[16:17]
	s_nop 0
	v_pk_fma_f32 v[36:37], v[14:15], v[40:41], v[36:37]
	s_nop 0
	v_pk_add_f32 v[34:35], v[34:35], v[36:37] neg_lo:[0,1] neg_hi:[0,1]
	v_lshl_add_u64 v[36:37], v[2:3], 3, s[8:9]
	v_mov_b32_e32 v2, v9
	s_waitcnt vmcnt(0)
	v_pk_add_f32 v[32:33], v[34:35], v[32:33]
	global_store_dwordx2 v[42:43], v[32:33], off
	global_load_dwordx2 v[32:33], v[36:37], off
	v_xor_b32_e32 v34, 0x80000000, v11
	v_mov_b32_e32 v35, v10
	v_pk_mul_f32 v[4:5], v[4:5], v[34:35] op_sel:[1,0]
	s_nop 0
	v_pk_fma_f32 v[4:5], v[10:11], v[12:13], v[4:5]
	v_pk_mul_f32 v[12:13], v[30:31], v[16:17]
	v_xor_b32_e32 v10, 0x80000000, v5
	v_mov_b32_e32 v11, v4
	v_pk_mul_f32 v[10:11], v[2:3], v[10:11] op_sel_hi:[0,1]
	v_pk_fma_f32 v[4:5], v[4:5], v[8:9], v[10:11] op_sel_hi:[1,0,1]
	v_pk_mul_f32 v[16:17], v[86:87], v[26:27]
	v_xor_b32_e32 v8, 0x80000000, v5
	v_mov_b32_e32 v9, v4
	v_pk_fma_f32 v[12:13], v[14:15], v[28:29], v[12:13]
	v_pk_fma_f32 v[6:7], v[6:7], v[24:25], v[16:17] neg_lo:[1,0,0] neg_hi:[1,0,0]
	v_pk_mul_f32 v[8:9], v[20:21], v[8:9] op_sel_hi:[0,1]
	v_pk_add_f32 v[6:7], v[6:7], v[12:13] neg_lo:[0,1] neg_hi:[0,1]
	v_pk_fma_f32 v[4:5], v[4:5], v[18:19], v[8:9] op_sel_hi:[1,0,1]
	s_waitcnt vmcnt(0)
	v_pk_add_f32 v[6:7], v[6:7], v[32:33]
	v_pk_add_f32 v[22:23], v[22:23], v[4:5] neg_lo:[0,1] neg_hi:[0,1]
	global_store_dwordx2 v[36:37], v[6:7], off
.LBB259_16:                             ;   in Loop: Header=BB259_5 Depth=1
	s_or_b64 exec, exec, s[20:21]
	v_mov_b64_e32 v[4:5], v[22:23]
                                        ; implicit-def: $vgpr12_vgpr13
                                        ; implicit-def: $vgpr6
                                        ; implicit-def: $vgpr14_vgpr15
                                        ; implicit-def: $vgpr38
                                        ; implicit-def: $vgpr34
                                        ; implicit-def: $vgpr32
                                        ; implicit-def: $vgpr28
                                        ; implicit-def: $vgpr26
                                        ; implicit-def: $vgpr24
                                        ; implicit-def: $vgpr20
                                        ; implicit-def: $vgpr18
.LBB259_17:                             ;   in Loop: Header=BB259_5 Depth=1
	s_or_saveexec_b64 s[2:3], s[4:5]
	v_mov_b32_e32 v8, s27
	s_xor_b64 exec, exec, s[2:3]
	s_cbranch_execz .LBB259_4
; %bb.18:                               ;   in Loop: Header=BB259_5 Depth=1
	v_mov_b32_e32 v29, v3
	v_lshl_add_u64 v[10:11], v[2:3], 3, s[8:9]
	v_mov_b32_e32 v39, v3
	v_mov_b32_e32 v35, v3
	;; [unrolled: 1-line block ×3, first 2 shown]
	v_lshl_add_u64 v[42:43], v[28:29], 3, s[8:9]
	v_mov_b32_e32 v27, v3
	v_mov_b32_e32 v25, v3
	;; [unrolled: 1-line block ×3, first 2 shown]
	v_lshl_add_u64 v[36:37], v[38:39], 3, s[8:9]
	v_lshl_add_u64 v[34:35], v[34:35], 3, s[8:9]
	;; [unrolled: 1-line block ×3, first 2 shown]
	global_load_dwordx2 v[16:17], v[10:11], off
	global_load_dwordx2 v[22:23], v[36:37], off
	global_load_dwordx2 v[38:39], v[34:35], off
	global_load_dwordx2 v[40:41], v[32:33], off
	v_lshl_add_u64 v[44:45], v[26:27], 3, s[8:9]
	v_lshl_add_u64 v[46:47], v[24:25], 3, s[8:9]
	;; [unrolled: 1-line block ×3, first 2 shown]
	global_load_dwordx2 v[20:21], v[42:43], off
	global_load_dwordx2 v[50:51], v[44:45], off
	;; [unrolled: 1-line block ×4, first 2 shown]
	v_mul_f32_e32 v2, v5, v5
	v_fmac_f32_e32 v2, v4, v4
	v_div_scale_f32 v9, s[4:5], v2, v2, 1.0
	v_rcp_f32_e32 v19, v9
	v_fma_f32 v8, 0, v5, v4
	v_fma_f32 v5, v4, 0, -v5
	v_div_scale_f32 v4, vcc, 1.0, v2, 1.0
	v_fma_f32 v24, -v9, v19, 1.0
	v_fmac_f32_e32 v19, v24, v19
	v_mul_f32_e32 v24, v4, v19
	v_fma_f32 v25, -v9, v24, v4
	v_fmac_f32_e32 v24, v25, v19
	v_fma_f32 v4, -v9, v24, v4
	v_div_fmas_f32 v4, v4, v19, v24
	v_div_fixup_f32 v2, v4, v2, 1.0
	v_mul_f32_e32 v4, v8, v2
	v_mul_f32_e32 v8, v5, v2
	s_waitcnt vmcnt(7)
	v_pk_mul_f32 v[24:25], v[8:9], v[16:17] op_sel:[0,1] op_sel_hi:[0,0] neg_lo:[0,1]
	v_pk_fma_f32 v[26:27], v[16:17], v[4:5], v[24:25] op_sel_hi:[1,0,1]
	s_waitcnt vmcnt(6)
	v_pk_mul_f32 v[16:17], v[8:9], v[22:23] op_sel:[0,1] op_sel_hi:[0,0] neg_lo:[0,1]
	s_waitcnt vmcnt(5)
	v_pk_mul_f32 v[24:25], v[8:9], v[38:39] op_sel:[0,1] op_sel_hi:[0,0] neg_lo:[0,1]
	;; [unrolled: 2-line block ×7, first 2 shown]
	global_store_dwordx2 v[10:11], v[26:27], off
	v_pk_fma_f32 v[30:31], v[22:23], v[4:5], v[16:17] op_sel_hi:[1,0,1]
	v_pk_fma_f32 v[28:29], v[38:39], v[4:5], v[24:25] op_sel_hi:[1,0,1]
	;; [unrolled: 1-line block ×7, first 2 shown]
	global_store_dwordx2 v[36:37], v[30:31], off
	global_store_dwordx2 v[34:35], v[28:29], off
	;; [unrolled: 1-line block ×7, first 2 shown]
	s_and_saveexec_b64 s[4:5], s[0:1]
	s_cbranch_execz .LBB259_3
; %bb.19:                               ;   in Loop: Header=BB259_5 Depth=1
	v_add_u32_e32 v5, v92, v93
	v_add_u32_e32 v2, s28, v5
	v_lshl_add_u64 v[32:33], v[2:3], 3, s[8:9]
	global_load_dwordx2 v[34:35], v[32:33], off
	v_add_u32_e32 v2, s29, v5
	v_xor_b32_e32 v36, 0x80000000, v6
	v_mov_b32_e32 v37, v18
	v_lshl_add_u64 v[40:41], v[2:3], 3, s[8:9]
	v_mov_b32_e32 v38, v7
	v_mov_b32_e32 v39, v36
	global_load_dwordx2 v[42:43], v[40:41], off
	v_add_u32_e32 v2, s30, v5
	v_lshl_add_u64 v[44:45], v[2:3], 3, s[8:9]
	v_add_u32_e32 v2, s31, v5
	s_waitcnt vmcnt(1)
	v_pk_fma_f32 v[34:35], v[36:37], v[26:27], v[34:35] op_sel_hi:[1,0,1]
	s_nop 0
	v_pk_fma_f32 v[26:27], v[38:39], v[26:27], v[34:35] op_sel:[0,1,0]
	global_store_dwordx2 v[32:33], v[26:27], off
	global_load_dwordx2 v[26:27], v[44:45], off
	v_lshl_add_u64 v[32:33], v[2:3], 3, s[8:9]
	v_add_u32_e32 v2, s33, v5
	v_lshl_add_u64 v[34:35], v[2:3], 3, s[8:9]
	s_waitcnt vmcnt(2)
	v_pk_fma_f32 v[42:43], v[36:37], v[30:31], v[42:43] op_sel_hi:[1,0,1]
	v_add_u32_e32 v2, s34, v5
	v_pk_fma_f32 v[30:31], v[38:39], v[30:31], v[42:43] op_sel:[0,1,0]
	global_store_dwordx2 v[40:41], v[30:31], off
	global_load_dwordx2 v[30:31], v[32:33], off
	s_waitcnt vmcnt(2)
	v_pk_fma_f32 v[26:27], v[36:37], v[28:29], v[26:27] op_sel_hi:[1,0,1]
	s_nop 0
	v_pk_fma_f32 v[26:27], v[38:39], v[28:29], v[26:27] op_sel:[0,1,0]
	global_store_dwordx2 v[44:45], v[26:27], off
	global_load_dwordx2 v[26:27], v[34:35], off
	v_lshl_add_u64 v[28:29], v[2:3], 3, s[8:9]
	v_add_u32_e32 v2, s35, v5
	s_waitcnt vmcnt(2)
	v_pk_fma_f32 v[30:31], v[36:37], v[24:25], v[30:31] op_sel_hi:[1,0,1]
	s_nop 0
	v_pk_fma_f32 v[24:25], v[38:39], v[24:25], v[30:31] op_sel:[0,1,0]
	global_store_dwordx2 v[32:33], v[24:25], off
	s_waitcnt vmcnt(1)
	v_pk_fma_f32 v[24:25], v[36:37], v[22:23], v[26:27] op_sel_hi:[1,0,1]
	s_nop 0
	v_pk_fma_f32 v[22:23], v[38:39], v[22:23], v[24:25] op_sel:[0,1,0]
	global_store_dwordx2 v[34:35], v[22:23], off
	global_load_dwordx2 v[22:23], v[28:29], off
	v_lshl_add_u64 v[24:25], v[2:3], 3, s[8:9]
	v_add_u32_e32 v2, s36, v5
	s_waitcnt vmcnt(0)
	v_pk_fma_f32 v[22:23], v[36:37], v[20:21], v[22:23] op_sel_hi:[1,0,1]
	s_nop 0
	v_pk_fma_f32 v[20:21], v[38:39], v[20:21], v[22:23] op_sel:[0,1,0]
	global_store_dwordx2 v[28:29], v[20:21], off
	global_load_dwordx2 v[20:21], v[24:25], off
	s_waitcnt vmcnt(0)
	v_pk_fma_f32 v[20:21], v[36:37], v[16:17], v[20:21] op_sel_hi:[1,0,1]
	s_nop 0
	v_pk_fma_f32 v[16:17], v[38:39], v[16:17], v[20:21] op_sel:[0,1,0]
	global_store_dwordx2 v[24:25], v[16:17], off
	v_lshl_add_u64 v[16:17], v[2:3], 3, s[8:9]
	global_load_dwordx2 v[20:21], v[16:17], off
	s_waitcnt vmcnt(0)
	v_pk_fma_f32 v[20:21], v[36:37], v[10:11], v[20:21] op_sel_hi:[1,0,1]
	s_nop 0
	v_pk_fma_f32 v[10:11], v[38:39], v[10:11], v[20:21] op_sel:[0,1,0]
	global_store_dwordx2 v[16:17], v[10:11], off
	s_branch .LBB259_3
.LBB259_20:
	s_or_b64 exec, exec, s[18:19]
	s_branch .LBB259_22
.LBB259_21:
	v_mov_b32_e32 v93, 0
.LBB259_22:
	v_subrev_u32_e32 v1, s22, v93
	v_add_u32_e32 v2, v1, v0
	v_ashrrev_i32_e32 v3, 31, v2
	s_waitcnt lgkmcnt(0)
	v_lshl_add_u64 v[2:3], v[2:3], 2, s[6:7]
	buffer_wbl2 sc1
	s_waitcnt vmcnt(0)
	buffer_inv sc1
	global_load_dword v2, v[2:3], off
	s_waitcnt vmcnt(0)
	v_mul_lo_u32 v2, v2, s22
	v_sub_u32_e32 v1, v1, v2
	v_cmp_lt_i32_e32 vcc, -1, v1
	s_and_b64 exec, exec, vcc
	s_cbranch_execz .LBB259_29
; %bb.23:
	s_lshl_b32 s4, s24, 3
	s_add_i32 s5, s4, s23
	s_add_i32 s12, s5, s23
	;; [unrolled: 1-line block ×7, first 2 shown]
	s_lshl_b32 s18, s22, 1
	s_mov_b64 s[0:1], 0
	v_mov_b32_e32 v3, 0
	s_branch .LBB259_25
.LBB259_24:                             ;   in Loop: Header=BB259_25 Depth=1
	s_or_b64 exec, exec, s[2:3]
	v_sub_u32_e32 v1, v1, v2
	v_cmp_gt_i32_e32 vcc, 0, v1
	s_or_b64 s[0:1], vcc, s[0:1]
	s_andn2_b64 exec, exec, s[0:1]
	s_cbranch_execz .LBB259_29
.LBB259_25:                             ; =>This Inner Loop Header: Depth=1
	v_add_u32_e32 v4, v1, v0
	v_ashrrev_i32_e32 v5, 31, v4
	s_waitcnt vmcnt(0)
	v_lshl_add_u64 v[6:7], v[4:5], 2, s[6:7]
	global_load_dword v2, v[6:7], off
	v_lshl_add_u64 v[6:7], v[4:5], 3, s[10:11]
	global_load_dwordx2 v[6:7], v[6:7], off
	s_waitcnt vmcnt(1)
	v_cmp_ne_u32_e32 vcc, 1, v2
	s_and_saveexec_b64 s[2:3], vcc
	s_xor_b64 s[2:3], exec, s[2:3]
	s_cbranch_execz .LBB259_27
; %bb.26:                               ;   in Loop: Header=BB259_25 Depth=1
	v_add_u32_e32 v5, v92, v1
	v_add_u32_e32 v2, s4, v5
	v_lshl_add_u64 v[8:9], v[2:3], 3, s[8:9]
	v_add_u32_e32 v2, s5, v5
	v_lshl_add_u64 v[10:11], v[2:3], 3, s[8:9]
	;; [unrolled: 2-line block ×9, first 2 shown]
	global_load_dwordx2 v[8:9], v[8:9], off
	s_waitcnt vmcnt(1)
	v_pk_add_f32 v[28:29], v[6:7], 0 neg_lo:[1,1] neg_hi:[1,1]
	global_load_dwordx2 v[26:27], v[24:25], off
	v_xor_b32_e32 v31, 0x80000000, v7
	v_mov_b32_e32 v30, v28
	v_pk_mov_b32 v[6:7], v[6:7], v[28:29] op_sel:[1,0]
	global_load_dwordx2 v[28:29], v[10:11], off
	global_load_dwordx2 v[32:33], v[12:13], off
	;; [unrolled: 1-line block ×7, first 2 shown]
	v_add_u32_e32 v2, s5, v4
	v_lshl_add_u64 v[10:11], v[2:3], 3, s[8:9]
	v_add_u32_e32 v2, s12, v4
	v_lshl_add_u64 v[14:15], v[2:3], 3, s[8:9]
	v_add_u32_e32 v2, s13, v4
	s_waitcnt vmcnt(7)
	v_pk_fma_f32 v[12:13], v[30:31], v[8:9], v[26:27] op_sel_hi:[1,0,1]
	s_nop 0
	v_pk_fma_f32 v[12:13], v[6:7], v[8:9], v[12:13] op_sel:[0,1,0]
	global_store_dwordx2 v[24:25], v[12:13], off
	global_load_dwordx2 v[12:13], v[10:11], off
	s_waitcnt vmcnt(0)
	v_pk_fma_f32 v[12:13], v[30:31], v[28:29], v[12:13] op_sel_hi:[1,0,1]
	s_nop 0
	v_pk_fma_f32 v[12:13], v[6:7], v[28:29], v[12:13] op_sel:[0,1,0]
	global_store_dwordx2 v[10:11], v[12:13], off
	global_load_dwordx2 v[10:11], v[14:15], off
	v_lshl_add_u64 v[12:13], v[2:3], 3, s[8:9]
	v_add_u32_e32 v2, s14, v4
	s_waitcnt vmcnt(0)
	v_pk_fma_f32 v[10:11], v[30:31], v[32:33], v[10:11] op_sel_hi:[1,0,1]
	s_nop 0
	v_pk_fma_f32 v[10:11], v[6:7], v[32:33], v[10:11] op_sel:[0,1,0]
	global_store_dwordx2 v[14:15], v[10:11], off
	global_load_dwordx2 v[10:11], v[12:13], off
	v_lshl_add_u64 v[14:15], v[2:3], 3, s[8:9]
	v_add_u32_e32 v2, s15, v4
	;; [unrolled: 8-line block ×4, first 2 shown]
	v_lshl_add_u64 v[4:5], v[2:3], 3, s[8:9]
	v_subrev_u32_e32 v2, s22, v1
	s_waitcnt vmcnt(0)
	v_pk_fma_f32 v[10:11], v[30:31], v[38:39], v[10:11] op_sel_hi:[1,0,1]
	s_nop 0
	v_pk_fma_f32 v[10:11], v[6:7], v[38:39], v[10:11] op_sel:[0,1,0]
	global_store_dwordx2 v[12:13], v[10:11], off
	global_load_dwordx2 v[10:11], v[14:15], off
	v_add_u32_e32 v12, v2, v0
	v_ashrrev_i32_e32 v13, 31, v12
	v_add_u32_e32 v2, s4, v12
	v_lshl_add_u64 v[16:17], v[2:3], 3, s[8:9]
	v_add_u32_e32 v2, s5, v12
	s_waitcnt vmcnt(0)
	v_pk_fma_f32 v[10:11], v[30:31], v[40:41], v[10:11] op_sel_hi:[1,0,1]
	s_nop 0
	v_pk_fma_f32 v[10:11], v[6:7], v[40:41], v[10:11] op_sel:[0,1,0]
	global_store_dwordx2 v[14:15], v[10:11], off
	global_load_dwordx2 v[10:11], v[4:5], off
	v_lshl_add_u64 v[14:15], v[12:13], 3, s[10:11]
	global_load_dwordx2 v[14:15], v[14:15], off
	s_waitcnt vmcnt(1)
	v_pk_fma_f32 v[10:11], v[30:31], v[42:43], v[10:11] op_sel_hi:[1,0,1]
	s_nop 0
	v_pk_fma_f32 v[6:7], v[6:7], v[42:43], v[10:11] op_sel:[0,1,0]
	global_store_dwordx2 v[4:5], v[6:7], off
	global_load_dwordx2 v[4:5], v[16:17], off
	s_waitcnt vmcnt(2)
	v_pk_add_f32 v[10:11], v[14:15], 0 neg_lo:[1,1] neg_hi:[1,1]
	v_lshl_add_u64 v[6:7], v[2:3], 3, s[8:9]
	v_pk_mov_b32 v[10:11], v[14:15], v[10:11] op_sel:[1,0]
	v_add_u32_e32 v2, s12, v12
	s_waitcnt vmcnt(0)
	v_pk_fma_f32 v[4:5], v[14:15], v[8:9], v[4:5] op_sel_hi:[1,0,1] neg_lo:[1,0,0] neg_hi:[1,0,0]
	s_nop 0
	v_pk_fma_f32 v[4:5], v[10:11], v[8:9], v[4:5] op_sel:[0,1,0]
	global_store_dwordx2 v[16:17], v[4:5], off
	global_load_dwordx2 v[4:5], v[6:7], off
	v_lshl_add_u64 v[8:9], v[2:3], 3, s[8:9]
	v_add_u32_e32 v2, s13, v12
	s_waitcnt vmcnt(0)
	v_pk_fma_f32 v[4:5], v[14:15], v[28:29], v[4:5] op_sel_hi:[1,0,1] neg_lo:[1,0,0] neg_hi:[1,0,0]
	s_nop 0
	v_pk_fma_f32 v[4:5], v[10:11], v[28:29], v[4:5] op_sel:[0,1,0]
	global_store_dwordx2 v[6:7], v[4:5], off
	global_load_dwordx2 v[4:5], v[8:9], off
	v_lshl_add_u64 v[6:7], v[2:3], 3, s[8:9]
	;; [unrolled: 8-line block ×6, first 2 shown]
	s_waitcnt vmcnt(0)
	v_pk_fma_f32 v[4:5], v[14:15], v[40:41], v[4:5] op_sel_hi:[1,0,1] neg_lo:[1,0,0] neg_hi:[1,0,0]
	s_nop 0
	v_pk_fma_f32 v[4:5], v[10:11], v[40:41], v[4:5] op_sel:[0,1,0]
	global_store_dwordx2 v[8:9], v[4:5], off
	global_load_dwordx2 v[4:5], v[6:7], off
	s_waitcnt vmcnt(0)
	v_pk_fma_f32 v[4:5], v[14:15], v[42:43], v[4:5] op_sel_hi:[1,0,1] neg_lo:[1,0,0] neg_hi:[1,0,0]
	s_nop 0
	v_pk_fma_f32 v[4:5], v[10:11], v[42:43], v[4:5] op_sel:[0,1,0]
	global_store_dwordx2 v[6:7], v[4:5], off
                                        ; implicit-def: $vgpr4
                                        ; implicit-def: $vgpr6_vgpr7
.LBB259_27:                             ;   in Loop: Header=BB259_25 Depth=1
	s_or_saveexec_b64 s[2:3], s[2:3]
	v_mov_b32_e32 v2, s18
	s_xor_b64 exec, exec, s[2:3]
	s_cbranch_execz .LBB259_24
; %bb.28:                               ;   in Loop: Header=BB259_25 Depth=1
	v_add_u32_e32 v5, v92, v1
	v_add_u32_e32 v2, s4, v5
	v_lshl_add_u64 v[8:9], v[2:3], 3, s[8:9]
	v_add_u32_e32 v2, s4, v4
	v_lshl_add_u64 v[10:11], v[2:3], 3, s[8:9]
	global_load_dwordx2 v[12:13], v[8:9], off
	global_load_dwordx2 v[14:15], v[10:11], off
	s_waitcnt vmcnt(2)
	v_pk_add_f32 v[8:9], v[6:7], 0 neg_lo:[1,1] neg_hi:[1,1]
	v_xor_b32_e32 v17, 0x80000000, v7
	v_mov_b32_e32 v16, v8
	v_pk_mov_b32 v[8:9], v[6:7], v[8:9] op_sel:[1,0]
	v_add_u32_e32 v2, s5, v5
	v_lshl_add_u64 v[18:19], v[2:3], 3, s[8:9]
	v_add_u32_e32 v2, s5, v4
	v_lshl_add_u64 v[20:21], v[2:3], 3, s[8:9]
	v_add_u32_e32 v2, s12, v5
	s_waitcnt vmcnt(0)
	v_pk_fma_f32 v[14:15], v[16:17], v[12:13], v[14:15] op_sel_hi:[1,0,1]
	s_nop 0
	v_pk_fma_f32 v[12:13], v[8:9], v[12:13], v[14:15] op_sel:[0,1,0]
	global_store_dwordx2 v[10:11], v[12:13], off
	global_load_dwordx2 v[10:11], v[18:19], off
	s_nop 0
	global_load_dwordx2 v[12:13], v[20:21], off
	v_lshl_add_u64 v[14:15], v[2:3], 3, s[8:9]
	v_add_u32_e32 v2, s12, v4
	v_lshl_add_u64 v[18:19], v[2:3], 3, s[8:9]
	v_add_u32_e32 v2, s13, v5
	s_waitcnt vmcnt(0)
	v_pk_fma_f32 v[12:13], v[16:17], v[10:11], v[12:13] op_sel_hi:[1,0,1]
	s_nop 0
	v_pk_fma_f32 v[10:11], v[8:9], v[10:11], v[12:13] op_sel:[0,1,0]
	global_store_dwordx2 v[20:21], v[10:11], off
	global_load_dwordx2 v[10:11], v[14:15], off
	s_nop 0
	global_load_dwordx2 v[12:13], v[18:19], off
	;; [unrolled: 12-line block ×6, first 2 shown]
	v_lshl_add_u64 v[14:15], v[2:3], 3, s[8:9]
	v_add_u32_e32 v2, s17, v4
	v_lshl_add_u64 v[4:5], v[2:3], 3, s[8:9]
	v_mov_b32_e32 v2, s22
	s_waitcnt vmcnt(0)
	v_pk_fma_f32 v[12:13], v[16:17], v[10:11], v[12:13] op_sel_hi:[1,0,1]
	s_nop 0
	v_pk_fma_f32 v[10:11], v[8:9], v[10:11], v[12:13] op_sel:[0,1,0]
	global_store_dwordx2 v[18:19], v[10:11], off
	global_load_dwordx2 v[10:11], v[14:15], off
	s_nop 0
	global_load_dwordx2 v[12:13], v[4:5], off
	s_waitcnt vmcnt(0)
	v_pk_fma_f32 v[6:7], v[6:7], v[10:11], v[12:13] op_sel_hi:[1,0,1] neg_lo:[1,0,0] neg_hi:[1,0,0]
	s_nop 0
	v_pk_fma_f32 v[6:7], v[8:9], v[10:11], v[6:7] op_sel:[0,1,0]
	global_store_dwordx2 v[4:5], v[6:7], off
	s_branch .LBB259_24
.LBB259_29:
	s_endpgm
	.section	.rodata,"a",@progbits
	.p2align	6, 0x0
	.amdhsa_kernel _ZN9rocsparseL19gtsv_LBM_rhs_kernelILj256ELj256ELj8E21rocsparse_complex_numIfEEEviiiPKT2_S5_S5_PS3_S5_PKi
		.amdhsa_group_segment_fixed_size 0
		.amdhsa_private_segment_fixed_size 0
		.amdhsa_kernarg_size 64
		.amdhsa_user_sgpr_count 2
		.amdhsa_user_sgpr_dispatch_ptr 0
		.amdhsa_user_sgpr_queue_ptr 0
		.amdhsa_user_sgpr_kernarg_segment_ptr 1
		.amdhsa_user_sgpr_dispatch_id 0
		.amdhsa_user_sgpr_kernarg_preload_length 0
		.amdhsa_user_sgpr_kernarg_preload_offset 0
		.amdhsa_user_sgpr_private_segment_size 0
		.amdhsa_uses_dynamic_stack 0
		.amdhsa_enable_private_segment 0
		.amdhsa_system_sgpr_workgroup_id_x 1
		.amdhsa_system_sgpr_workgroup_id_y 1
		.amdhsa_system_sgpr_workgroup_id_z 0
		.amdhsa_system_sgpr_workgroup_info 0
		.amdhsa_system_vgpr_workitem_id 0
		.amdhsa_next_free_vgpr 120
		.amdhsa_next_free_sgpr 37
		.amdhsa_accum_offset 120
		.amdhsa_reserve_vcc 1
		.amdhsa_float_round_mode_32 0
		.amdhsa_float_round_mode_16_64 0
		.amdhsa_float_denorm_mode_32 3
		.amdhsa_float_denorm_mode_16_64 3
		.amdhsa_dx10_clamp 1
		.amdhsa_ieee_mode 1
		.amdhsa_fp16_overflow 0
		.amdhsa_tg_split 0
		.amdhsa_exception_fp_ieee_invalid_op 0
		.amdhsa_exception_fp_denorm_src 0
		.amdhsa_exception_fp_ieee_div_zero 0
		.amdhsa_exception_fp_ieee_overflow 0
		.amdhsa_exception_fp_ieee_underflow 0
		.amdhsa_exception_fp_ieee_inexact 0
		.amdhsa_exception_int_div_zero 0
	.end_amdhsa_kernel
	.section	.text._ZN9rocsparseL19gtsv_LBM_rhs_kernelILj256ELj256ELj8E21rocsparse_complex_numIfEEEviiiPKT2_S5_S5_PS3_S5_PKi,"axG",@progbits,_ZN9rocsparseL19gtsv_LBM_rhs_kernelILj256ELj256ELj8E21rocsparse_complex_numIfEEEviiiPKT2_S5_S5_PS3_S5_PKi,comdat
.Lfunc_end259:
	.size	_ZN9rocsparseL19gtsv_LBM_rhs_kernelILj256ELj256ELj8E21rocsparse_complex_numIfEEEviiiPKT2_S5_S5_PS3_S5_PKi, .Lfunc_end259-_ZN9rocsparseL19gtsv_LBM_rhs_kernelILj256ELj256ELj8E21rocsparse_complex_numIfEEEviiiPKT2_S5_S5_PS3_S5_PKi
                                        ; -- End function
	.set _ZN9rocsparseL19gtsv_LBM_rhs_kernelILj256ELj256ELj8E21rocsparse_complex_numIfEEEviiiPKT2_S5_S5_PS3_S5_PKi.num_vgpr, 120
	.set _ZN9rocsparseL19gtsv_LBM_rhs_kernelILj256ELj256ELj8E21rocsparse_complex_numIfEEEviiiPKT2_S5_S5_PS3_S5_PKi.num_agpr, 0
	.set _ZN9rocsparseL19gtsv_LBM_rhs_kernelILj256ELj256ELj8E21rocsparse_complex_numIfEEEviiiPKT2_S5_S5_PS3_S5_PKi.numbered_sgpr, 37
	.set _ZN9rocsparseL19gtsv_LBM_rhs_kernelILj256ELj256ELj8E21rocsparse_complex_numIfEEEviiiPKT2_S5_S5_PS3_S5_PKi.num_named_barrier, 0
	.set _ZN9rocsparseL19gtsv_LBM_rhs_kernelILj256ELj256ELj8E21rocsparse_complex_numIfEEEviiiPKT2_S5_S5_PS3_S5_PKi.private_seg_size, 0
	.set _ZN9rocsparseL19gtsv_LBM_rhs_kernelILj256ELj256ELj8E21rocsparse_complex_numIfEEEviiiPKT2_S5_S5_PS3_S5_PKi.uses_vcc, 1
	.set _ZN9rocsparseL19gtsv_LBM_rhs_kernelILj256ELj256ELj8E21rocsparse_complex_numIfEEEviiiPKT2_S5_S5_PS3_S5_PKi.uses_flat_scratch, 0
	.set _ZN9rocsparseL19gtsv_LBM_rhs_kernelILj256ELj256ELj8E21rocsparse_complex_numIfEEEviiiPKT2_S5_S5_PS3_S5_PKi.has_dyn_sized_stack, 0
	.set _ZN9rocsparseL19gtsv_LBM_rhs_kernelILj256ELj256ELj8E21rocsparse_complex_numIfEEEviiiPKT2_S5_S5_PS3_S5_PKi.has_recursion, 0
	.set _ZN9rocsparseL19gtsv_LBM_rhs_kernelILj256ELj256ELj8E21rocsparse_complex_numIfEEEviiiPKT2_S5_S5_PS3_S5_PKi.has_indirect_call, 0
	.section	.AMDGPU.csdata,"",@progbits
; Kernel info:
; codeLenInByte = 6192
; TotalNumSgprs: 43
; NumVgprs: 120
; NumAgprs: 0
; TotalNumVgprs: 120
; ScratchSize: 0
; MemoryBound: 0
; FloatMode: 240
; IeeeMode: 1
; LDSByteSize: 0 bytes/workgroup (compile time only)
; SGPRBlocks: 5
; VGPRBlocks: 14
; NumSGPRsForWavesPerEU: 43
; NumVGPRsForWavesPerEU: 120
; AccumOffset: 120
; Occupancy: 4
; WaveLimiterHint : 0
; COMPUTE_PGM_RSRC2:SCRATCH_EN: 0
; COMPUTE_PGM_RSRC2:USER_SGPR: 2
; COMPUTE_PGM_RSRC2:TRAP_HANDLER: 0
; COMPUTE_PGM_RSRC2:TGID_X_EN: 1
; COMPUTE_PGM_RSRC2:TGID_Y_EN: 1
; COMPUTE_PGM_RSRC2:TGID_Z_EN: 0
; COMPUTE_PGM_RSRC2:TIDIG_COMP_CNT: 0
; COMPUTE_PGM_RSRC3_GFX90A:ACCUM_OFFSET: 29
; COMPUTE_PGM_RSRC3_GFX90A:TG_SPLIT: 0
	.section	.text._ZN9rocsparseL19gtsv_LBM_rhs_kernelILj256ELj256ELj4E21rocsparse_complex_numIfEEEviiiPKT2_S5_S5_PS3_S5_PKi,"axG",@progbits,_ZN9rocsparseL19gtsv_LBM_rhs_kernelILj256ELj256ELj4E21rocsparse_complex_numIfEEEviiiPKT2_S5_S5_PS3_S5_PKi,comdat
	.globl	_ZN9rocsparseL19gtsv_LBM_rhs_kernelILj256ELj256ELj4E21rocsparse_complex_numIfEEEviiiPKT2_S5_S5_PS3_S5_PKi ; -- Begin function _ZN9rocsparseL19gtsv_LBM_rhs_kernelILj256ELj256ELj4E21rocsparse_complex_numIfEEEviiiPKT2_S5_S5_PS3_S5_PKi
	.p2align	8
	.type	_ZN9rocsparseL19gtsv_LBM_rhs_kernelILj256ELj256ELj4E21rocsparse_complex_numIfEEEviiiPKT2_S5_S5_PS3_S5_PKi,@function
_ZN9rocsparseL19gtsv_LBM_rhs_kernelILj256ELj256ELj4E21rocsparse_complex_numIfEEEviiiPKT2_S5_S5_PS3_S5_PKi: ; @_ZN9rocsparseL19gtsv_LBM_rhs_kernelILj256ELj256ELj4E21rocsparse_complex_numIfEEEviiiPKT2_S5_S5_PS3_S5_PKi
; %bb.0:
	s_load_dword s23, s[0:1], 0x0
	v_lshl_or_b32 v0, s2, 8, v0
	s_waitcnt lgkmcnt(0)
	s_lshr_b32 s22, s23, 8
	v_cmp_gt_i32_e32 vcc, s22, v0
	s_and_saveexec_b64 s[4:5], vcc
	s_cbranch_execz .LBB260_29
; %bb.1:
	s_load_dwordx4 s[8:11], s[0:1], 0x28
	s_load_dwordx2 s[6:7], s[0:1], 0x38
	s_cmp_lt_i32 s23, 1
	v_add_u32_e32 v56, s22, v0
	s_mul_i32 s24, s3, s23
	s_cbranch_scc1 .LBB260_21
; %bb.2:
	s_load_dwordx4 s[12:15], s[0:1], 0x10
	s_load_dwordx2 s[16:17], s[0:1], 0x20
	v_ashrrev_i32_e32 v1, 31, v0
	s_lshl_b32 s28, s24, 2
	s_add_i32 s29, s28, s23
	s_waitcnt lgkmcnt(0)
	v_lshl_add_u64 v[2:3], v[0:1], 3, s[14:15]
	global_load_dwordx2 v[4:5], v[2:3], off
	s_add_i32 s30, s29, s23
	s_mul_i32 s25, s22, 0xff
	s_mul_i32 s26, s22, 0xfe
	s_lshl_b32 s27, s22, 1
	v_add_u32_e32 v57, s22, v56
	s_add_i32 s31, s30, s23
	v_mov_b32_e32 v3, 0
	s_mov_b64 s[18:19], 0
	v_mov_b32_e32 v1, 0
	s_branch .LBB260_5
.LBB260_3:                              ;   in Loop: Header=BB260_5 Depth=1
	s_or_b64 exec, exec, s[4:5]
	v_mov_b32_e32 v17, v6
	v_pk_mul_f32 v[14:15], v[8:9], v[16:17] op_sel:[1,0]
	s_nop 0
	v_pk_fma_f32 v[6:7], v[6:7], v[8:9], v[14:15] op_sel_hi:[1,0,1]
	s_nop 0
	v_xor_b32_e32 v8, 0x80000000, v7
	v_mov_b32_e32 v9, v6
	v_pk_mul_f32 v[8:9], v[10:11], v[8:9] op_sel_hi:[0,1]
	v_pk_fma_f32 v[4:5], v[6:7], v[4:5], v[8:9] op_sel_hi:[1,0,1]
	v_mov_b32_e32 v10, s22
	v_pk_add_f32 v[4:5], v[12:13], v[4:5] neg_lo:[0,1] neg_hi:[0,1]
.LBB260_4:                              ;   in Loop: Header=BB260_5 Depth=1
	s_or_b64 exec, exec, s[2:3]
	v_add_u32_e32 v1, v10, v1
	v_cmp_le_i32_e32 vcc, s23, v1
	s_or_b64 s[18:19], vcc, s[18:19]
	s_andn2_b64 exec, exec, s[18:19]
	s_cbranch_execz .LBB260_20
.LBB260_5:                              ; =>This Inner Loop Header: Depth=1
	v_add_u32_e32 v16, v1, v0
	v_ashrrev_i32_e32 v17, 31, v16
	v_lshl_add_u64 v[6:7], v[16:17], 3, s[16:17]
	global_load_dwordx2 v[8:9], v[6:7], off
	v_cmp_gt_u32_e64 s[0:1], s25, v1
	v_mov_b32_e32 v6, 0
	v_mov_b32_e32 v7, 0
	s_and_saveexec_b64 s[2:3], s[0:1]
	s_cbranch_execz .LBB260_7
; %bb.6:                                ;   in Loop: Header=BB260_5 Depth=1
	v_add_u32_e32 v6, v56, v1
	v_ashrrev_i32_e32 v7, 31, v6
	v_lshl_add_u64 v[6:7], v[6:7], 3, s[12:13]
	global_load_dwordx2 v[6:7], v[6:7], off
.LBB260_7:                              ;   in Loop: Header=BB260_5 Depth=1
	s_or_b64 exec, exec, s[2:3]
	v_mov_b32_e32 v10, 0
	v_mov_b32_e32 v12, 0
	;; [unrolled: 1-line block ×3, first 2 shown]
	s_and_saveexec_b64 s[2:3], s[0:1]
	s_cbranch_execz .LBB260_9
; %bb.8:                                ;   in Loop: Header=BB260_5 Depth=1
	v_add_u32_e32 v12, v56, v1
	v_ashrrev_i32_e32 v13, 31, v12
	v_lshl_add_u64 v[12:13], v[12:13], 3, s[14:15]
	global_load_dwordx2 v[12:13], v[12:13], off
.LBB260_9:                              ;   in Loop: Header=BB260_5 Depth=1
	s_or_b64 exec, exec, s[2:3]
	v_mov_b32_e32 v11, 0
	s_and_saveexec_b64 s[2:3], s[0:1]
	s_cbranch_execz .LBB260_11
; %bb.10:                               ;   in Loop: Header=BB260_5 Depth=1
	v_add_u32_e32 v10, v56, v1
	v_ashrrev_i32_e32 v11, 31, v10
	v_lshl_add_u64 v[10:11], v[10:11], 3, s[16:17]
	global_load_dwordx2 v[10:11], v[10:11], off
.LBB260_11:                             ;   in Loop: Header=BB260_5 Depth=1
	s_or_b64 exec, exec, s[2:3]
	v_cmp_gt_u32_e64 s[2:3], s26, v1
	v_mov_b32_e32 v14, 0
	v_mov_b32_e32 v15, 0
	s_and_saveexec_b64 s[4:5], s[2:3]
	s_cbranch_execz .LBB260_13
; %bb.12:                               ;   in Loop: Header=BB260_5 Depth=1
	v_add_u32_e32 v14, v57, v1
	v_ashrrev_i32_e32 v15, 31, v14
	v_lshl_add_u64 v[14:15], v[14:15], 3, s[12:13]
	global_load_dwordx2 v[14:15], v[14:15], off
.LBB260_13:                             ;   in Loop: Header=BB260_5 Depth=1
	s_or_b64 exec, exec, s[4:5]
	v_lshl_add_u64 v[18:19], v[16:17], 2, s[6:7]
	global_load_dword v17, v[18:19], off
	v_cmp_ne_u32_e32 vcc, s25, v1
	v_add_u32_e32 v2, s28, v16
	v_add_u32_e32 v22, s29, v16
	;; [unrolled: 1-line block ×4, first 2 shown]
	s_waitcnt vmcnt(1)
	v_xor_b32_e32 v16, 0x80000000, v7
	s_waitcnt vmcnt(0)
	v_cmp_ne_u32_e64 s[4:5], 1, v17
	s_and_b64 s[4:5], vcc, s[4:5]
	s_and_saveexec_b64 s[20:21], s[4:5]
	s_xor_b64 s[4:5], exec, s[20:21]
	s_cbranch_execz .LBB260_17
; %bb.14:                               ;   in Loop: Header=BB260_5 Depth=1
	v_add_u32_e32 v17, v56, v1
	v_lshl_add_u64 v[24:25], v[2:3], 3, s[8:9]
	v_add_u32_e32 v2, s28, v17
	v_lshl_add_u64 v[54:55], v[2:3], 3, s[8:9]
	global_load_dwordx2 v[26:27], v[24:25], off
	global_load_dwordx2 v[28:29], v[54:55], off
	v_mov_b32_e32 v23, v3
	v_add_u32_e32 v2, s29, v17
	v_mov_b32_e32 v21, v3
	v_lshl_add_u64 v[22:23], v[22:23], 3, s[8:9]
	v_lshl_add_u64 v[58:59], v[2:3], 3, s[8:9]
	;; [unrolled: 1-line block ×3, first 2 shown]
	global_load_dwordx2 v[32:33], v[58:59], off
	global_load_dwordx2 v[40:41], v[34:35], off
	global_load_dwordx2 v[30:31], v[22:23], off
	v_add_u32_e32 v2, s30, v17
	v_lshl_add_u64 v[60:61], v[2:3], 3, s[8:9]
	global_load_dwordx2 v[62:63], v[60:61], off
	v_mov_b32_e32 v19, v3
	v_lshl_add_u64 v[64:65], v[18:19], 3, s[8:9]
	v_add_u32_e32 v2, s31, v17
	global_load_dwordx2 v[66:67], v[64:65], off
	v_lshl_add_u64 v[68:69], v[2:3], 3, s[8:9]
	global_load_dwordx2 v[70:71], v[68:69], off
	v_xor_b32_e32 v18, 0x80000000, v5
	v_mov_b32_e32 v19, v4
	v_mov_b32_e32 v17, v6
	v_pk_mul_f32 v[20:21], v[12:13], v[18:19] op_sel:[1,0]
	v_pk_mul_f32 v[16:17], v[8:9], v[16:17] op_sel:[1,0]
	v_pk_fma_f32 v[20:21], v[4:5], v[12:13], v[20:21] op_sel_hi:[1,0,1]
	v_pk_fma_f32 v[16:17], v[6:7], v[8:9], v[16:17] op_sel_hi:[1,0,1]
	v_xor_b32_e32 v72, 0x80000000, v13
	v_pk_add_f32 v[16:17], v[20:21], v[16:17] neg_lo:[0,1] neg_hi:[0,1]
	v_xor_b32_e32 v74, 0x80000000, v9
	v_mul_f32_e32 v2, v17, v17
	v_fmac_f32_e32 v2, v16, v16
	v_div_scale_f32 v21, s[20:21], v2, v2, 1.0
	v_rcp_f32_e32 v36, v21
	v_fma_f32 v20, 0, v17, v16
	v_fma_f32 v17, v16, 0, -v17
	v_div_scale_f32 v16, vcc, 1.0, v2, 1.0
	v_fma_f32 v37, -v21, v36, 1.0
	v_fmac_f32_e32 v36, v37, v36
	v_mul_f32_e32 v37, v16, v36
	v_fma_f32 v38, -v21, v37, v16
	v_fmac_f32_e32 v37, v38, v36
	v_fma_f32 v16, -v21, v37, v16
	v_div_fmas_f32 v16, v16, v36, v37
	v_div_fixup_f32 v2, v16, v2, 1.0
	v_mul_f32_e32 v16, v20, v2
	v_mul_f32_e32 v20, v17, v2
	v_mov_b32_e32 v73, v12
	v_mov_b32_e32 v75, v8
	;; [unrolled: 1-line block ×3, first 2 shown]
	s_waitcnt vmcnt(7)
	v_mul_f32_e32 v48, v20, v26
	s_waitcnt vmcnt(6)
	v_mul_f32_e32 v44, v20, v28
	v_mul_f32_e64 v46, v20, -v27
	v_fmac_f32_e32 v48, v27, v16
	v_mul_f32_e64 v42, v20, -v29
	v_fmac_f32_e32 v44, v29, v16
	v_fmac_f32_e32 v46, v26, v16
	;; [unrolled: 1-line block ×3, first 2 shown]
	v_pk_mul_f32 v[26:27], v[48:49], v[72:73] op_sel_hi:[0,1]
	v_pk_mul_f32 v[28:29], v[44:45], v[74:75] op_sel_hi:[0,1]
	v_pk_fma_f32 v[26:27], v[12:13], v[46:47], v[26:27] op_sel_hi:[1,0,1]
	v_pk_fma_f32 v[28:29], v[8:9], v[42:43], v[28:29] op_sel_hi:[1,0,1]
	s_waitcnt vmcnt(3)
	v_mul_f32_e32 v38, v20, v30
	v_mul_f32_e32 v52, v20, v32
	v_pk_add_f32 v[26:27], v[26:27], v[28:29] neg_lo:[0,1] neg_hi:[0,1]
	v_mul_f32_e64 v36, v20, -v31
	v_fmac_f32_e32 v38, v31, v16
	v_mul_f32_e64 v50, v20, -v33
	v_fmac_f32_e32 v52, v33, v16
	global_store_dwordx2 v[24:25], v[26:27], off
	v_fmac_f32_e32 v36, v30, v16
	v_fmac_f32_e32 v50, v32, v16
	v_pk_mul_f32 v[24:25], v[38:39], v[72:73] op_sel_hi:[0,1]
	v_pk_mul_f32 v[26:27], v[52:53], v[74:75] op_sel_hi:[0,1]
	v_pk_fma_f32 v[24:25], v[12:13], v[36:37], v[24:25] op_sel_hi:[1,0,1]
	v_pk_fma_f32 v[26:27], v[8:9], v[50:51], v[26:27] op_sel_hi:[1,0,1]
	s_waitcnt vmcnt(3)
	v_mul_f32_e32 v28, v20, v62
	v_pk_add_f32 v[24:25], v[24:25], v[26:27] neg_lo:[0,1] neg_hi:[0,1]
	global_store_dwordx2 v[22:23], v[24:25], off
	v_mul_f32_e32 v24, v20, v40
	v_mul_f32_e64 v22, v20, -v41
	v_fmac_f32_e32 v24, v41, v16
	v_mul_f32_e64 v26, v20, -v63
	v_fmac_f32_e32 v28, v63, v16
	v_fmac_f32_e32 v22, v40, v16
	;; [unrolled: 1-line block ×3, first 2 shown]
	v_pk_mul_f32 v[30:31], v[24:25], v[72:73] op_sel_hi:[0,1]
	v_pk_mul_f32 v[32:33], v[28:29], v[74:75] op_sel_hi:[0,1]
	v_pk_fma_f32 v[30:31], v[12:13], v[22:23], v[30:31] op_sel_hi:[1,0,1]
	v_pk_fma_f32 v[32:33], v[8:9], v[26:27], v[32:33] op_sel_hi:[1,0,1]
	s_waitcnt vmcnt(2)
	v_mul_f32_e32 v40, v20, v70
	v_pk_add_f32 v[30:31], v[30:31], v[32:33] neg_lo:[0,1] neg_hi:[0,1]
	v_mul_f32_e32 v32, v20, v66
	global_store_dwordx2 v[34:35], v[30:31], off
	v_mul_f32_e64 v30, v20, -v67
	v_fmac_f32_e32 v32, v67, v16
	v_fmac_f32_e32 v30, v66, v16
	v_mul_f32_e64 v34, v20, -v71
	v_fmac_f32_e32 v40, v71, v16
	v_pk_mul_f32 v[62:63], v[32:33], v[72:73] op_sel_hi:[0,1]
	v_fmac_f32_e32 v34, v70, v16
	v_pk_fma_f32 v[12:13], v[12:13], v[30:31], v[62:63] op_sel_hi:[1,0,1]
	v_pk_mul_f32 v[62:63], v[40:41], v[74:75] op_sel_hi:[0,1]
	v_pk_fma_f32 v[8:9], v[8:9], v[34:35], v[62:63] op_sel_hi:[1,0,1]
	v_pk_mul_f32 v[62:63], v[44:45], v[18:19] op_sel_hi:[0,1]
	v_pk_add_f32 v[8:9], v[12:13], v[8:9] neg_lo:[0,1] neg_hi:[0,1]
	v_pk_add_f32 v[12:13], v[6:7], 0 neg_lo:[1,1] neg_hi:[1,1]
	global_store_dwordx2 v[64:65], v[8:9], off
	v_pk_mov_b32 v[12:13], v[6:7], v[12:13] op_sel:[1,0]
	v_pk_fma_f32 v[62:63], v[4:5], v[42:43], v[62:63] op_sel_hi:[1,0,1]
	v_pk_mul_f32 v[8:9], v[12:13], v[48:49] op_sel_hi:[1,0]
	s_nop 0
	v_pk_fma_f32 v[8:9], v[6:7], v[46:47], v[8:9] op_sel_hi:[1,0,1] neg_lo:[1,0,0] neg_hi:[1,0,0]
	s_nop 0
	v_pk_add_f32 v[62:63], v[8:9], v[62:63]
	global_store_dwordx2 v[54:55], v[62:63], off
	v_pk_mul_f32 v[54:55], v[12:13], v[38:39] op_sel_hi:[1,0]
	v_pk_mul_f32 v[62:63], v[52:53], v[18:19] op_sel_hi:[0,1]
	v_pk_fma_f32 v[54:55], v[6:7], v[36:37], v[54:55] op_sel_hi:[1,0,1] neg_lo:[1,0,0] neg_hi:[1,0,0]
	v_pk_fma_f32 v[62:63], v[4:5], v[50:51], v[62:63] op_sel_hi:[1,0,1]
	v_mov_b32_e32 v8, v4
	v_pk_add_f32 v[54:55], v[54:55], v[62:63]
	global_store_dwordx2 v[58:59], v[54:55], off
	v_pk_mul_f32 v[54:55], v[12:13], v[24:25] op_sel_hi:[1,0]
	v_pk_mul_f32 v[58:59], v[28:29], v[18:19] op_sel_hi:[0,1]
	v_pk_fma_f32 v[54:55], v[6:7], v[22:23], v[54:55] op_sel_hi:[1,0,1] neg_lo:[1,0,0] neg_hi:[1,0,0]
	v_pk_fma_f32 v[58:59], v[4:5], v[26:27], v[58:59] op_sel_hi:[1,0,1]
	v_mov_b32_e32 v9, v4
	v_pk_add_f32 v[54:55], v[54:55], v[58:59]
	global_store_dwordx2 v[60:61], v[54:55], off
	v_pk_mul_f32 v[54:55], v[12:13], v[32:33] op_sel_hi:[1,0]
	v_pk_mul_f32 v[58:59], v[40:41], v[18:19] op_sel_hi:[0,1]
	v_pk_fma_f32 v[54:55], v[6:7], v[30:31], v[54:55] op_sel_hi:[1,0,1] neg_lo:[1,0,0] neg_hi:[1,0,0]
	v_pk_fma_f32 v[58:59], v[4:5], v[34:35], v[58:59] op_sel_hi:[1,0,1]
	s_nop 0
	v_pk_add_f32 v[54:55], v[54:55], v[58:59]
	global_store_dwordx2 v[68:69], v[54:55], off
	v_mov_b64_e32 v[54:55], v[2:3]
	s_and_saveexec_b64 s[20:21], s[2:3]
	s_cbranch_execz .LBB260_16
; %bb.15:                               ;   in Loop: Header=BB260_5 Depth=1
	v_mov_b32_e32 v60, v15
	v_pk_mul_f32 v[12:13], v[60:61], v[12:13] op_sel_hi:[0,1]
	v_pk_fma_f32 v[6:7], v[6:7], v[14:15], v[12:13] op_sel_hi:[1,0,1] neg_lo:[1,0,0] neg_hi:[1,0,0]
	v_pk_mul_f32 v[18:19], v[60:61], v[18:19] op_sel_hi:[0,1]
	v_pk_add_f32 v[60:61], v[6:7], 0 neg_lo:[1,1] neg_hi:[1,1]
	v_mov_b32_e32 v49, v48
	v_pk_mov_b32 v[60:61], v[6:7], v[60:61] op_sel:[1,0]
	v_mov_b32_e32 v47, v46
	v_add_u32_e32 v54, v57, v1
	v_pk_fma_f32 v[18:19], v[4:5], v[14:15], v[18:19] op_sel_hi:[1,0,1]
	v_pk_mul_f32 v[48:49], v[60:61], v[48:49]
	v_mov_b32_e32 v45, v44
	v_add_u32_e32 v2, s28, v54
	v_pk_fma_f32 v[46:47], v[6:7], v[46:47], v[48:49] neg_lo:[1,0,0] neg_hi:[1,0,0]
	v_xor_b32_e32 v48, 0x80000000, v19
	v_mov_b32_e32 v49, v18
	v_mov_b32_e32 v43, v42
	v_lshl_add_u64 v[58:59], v[2:3], 3, s[8:9]
	v_pk_mul_f32 v[44:45], v[44:45], v[48:49]
	v_mov_b32_e32 v53, v52
	v_add_u32_e32 v2, s29, v54
	v_pk_fma_f32 v[42:43], v[18:19], v[42:43], v[44:45]
	global_load_dwordx2 v[44:45], v[58:59], off
	v_mov_b32_e32 v51, v50
	v_lshl_add_u64 v[12:13], v[2:3], 3, s[8:9]
	v_pk_mul_f32 v[52:53], v[52:53], v[48:49]
	v_mov_b32_e32 v39, v38
	v_pk_fma_f32 v[50:51], v[18:19], v[50:51], v[52:53]
	global_load_dwordx2 v[52:53], v[12:13], off
	v_mov_b32_e32 v37, v36
	v_pk_mul_f32 v[38:39], v[60:61], v[38:39]
	v_pk_add_f32 v[42:43], v[46:47], v[42:43] neg_lo:[0,1] neg_hi:[0,1]
	v_add_u32_e32 v2, s30, v54
	v_pk_fma_f32 v[36:37], v[6:7], v[36:37], v[38:39] neg_lo:[1,0,0] neg_hi:[1,0,0]
	v_lshl_add_u64 v[38:39], v[2:3], 3, s[8:9]
	v_pk_add_f32 v[36:37], v[36:37], v[50:51] neg_lo:[0,1] neg_hi:[0,1]
	v_ashrrev_i32_e32 v55, 31, v54
	v_add_u32_e32 v2, s31, v54
	v_lshl_add_u64 v[46:47], v[2:3], 3, s[8:9]
	v_mov_b32_e32 v2, v11
	v_mov_b32_e32 v29, v28
	;; [unrolled: 1-line block ×9, first 2 shown]
	v_pk_mul_f32 v[24:25], v[60:61], v[24:25]
	s_waitcnt vmcnt(1)
	v_pk_add_f32 v[42:43], v[42:43], v[44:45]
	global_store_dwordx2 v[58:59], v[42:43], off
	global_load_dwordx2 v[42:43], v[38:39], off
	v_xor_b32_e32 v44, 0x80000000, v15
	v_mov_b32_e32 v45, v14
	v_pk_mul_f32 v[4:5], v[4:5], v[44:45] op_sel:[1,0]
	s_waitcnt vmcnt(2)
	v_pk_add_f32 v[36:37], v[36:37], v[52:53]
	global_store_dwordx2 v[12:13], v[36:37], off
	v_lshl_add_u64 v[36:37], v[54:55], 3, s[14:15]
	global_load_dwordx2 v[12:13], v[46:47], off
	v_pk_fma_f32 v[4:5], v[14:15], v[8:9], v[4:5]
	global_load_dwordx2 v[36:37], v[36:37], off
	v_xor_b32_e32 v8, 0x80000000, v5
	v_mov_b32_e32 v9, v4
	v_pk_mul_f32 v[8:9], v[2:3], v[8:9] op_sel_hi:[0,1]
	v_pk_mul_f32 v[14:15], v[28:29], v[48:49]
	v_pk_fma_f32 v[4:5], v[4:5], v[10:11], v[8:9] op_sel_hi:[1,0,1]
	v_pk_mul_f32 v[28:29], v[40:41], v[48:49]
	v_pk_fma_f32 v[14:15], v[18:19], v[26:27], v[14:15]
	v_pk_mul_f32 v[26:27], v[60:61], v[32:33]
	v_xor_b32_e32 v10, 0x80000000, v5
	v_mov_b32_e32 v11, v4
	v_pk_fma_f32 v[18:19], v[18:19], v[34:35], v[28:29]
	v_pk_fma_f32 v[8:9], v[6:7], v[22:23], v[24:25] neg_lo:[1,0,0] neg_hi:[1,0,0]
	v_pk_fma_f32 v[6:7], v[6:7], v[30:31], v[26:27] neg_lo:[1,0,0] neg_hi:[1,0,0]
	v_pk_mul_f32 v[10:11], v[20:21], v[10:11] op_sel_hi:[0,1]
	v_pk_add_f32 v[8:9], v[8:9], v[14:15] neg_lo:[0,1] neg_hi:[0,1]
	v_pk_add_f32 v[6:7], v[6:7], v[18:19] neg_lo:[0,1] neg_hi:[0,1]
	v_pk_fma_f32 v[4:5], v[4:5], v[16:17], v[10:11] op_sel_hi:[1,0,1]
	s_waitcnt vmcnt(3)
	v_pk_add_f32 v[8:9], v[8:9], v[42:43]
	global_store_dwordx2 v[38:39], v[8:9], off
	s_waitcnt vmcnt(2)
	v_pk_add_f32 v[6:7], v[6:7], v[12:13]
	global_store_dwordx2 v[46:47], v[6:7], off
	s_waitcnt vmcnt(2)
	v_pk_add_f32 v[54:55], v[36:37], v[4:5] neg_lo:[0,1] neg_hi:[0,1]
.LBB260_16:                             ;   in Loop: Header=BB260_5 Depth=1
	s_or_b64 exec, exec, s[20:21]
	v_mov_b64_e32 v[4:5], v[54:55]
                                        ; implicit-def: $vgpr8_vgpr9
                                        ; implicit-def: $vgpr6
                                        ; implicit-def: $vgpr12_vgpr13
                                        ; implicit-def: $vgpr22
                                        ; implicit-def: $vgpr20
                                        ; implicit-def: $vgpr18
                                        ; implicit-def: $vgpr16
.LBB260_17:                             ;   in Loop: Header=BB260_5 Depth=1
	s_or_saveexec_b64 s[2:3], s[4:5]
	v_mov_b32_e32 v10, s27
	s_xor_b64 exec, exec, s[2:3]
	s_cbranch_execz .LBB260_4
; %bb.18:                               ;   in Loop: Header=BB260_5 Depth=1
	v_lshl_add_u64 v[24:25], v[2:3], 3, s[8:9]
	v_mov_b32_e32 v23, v3
	global_load_dwordx2 v[14:15], v[24:25], off
	v_lshl_add_u64 v[26:27], v[22:23], 3, s[8:9]
	v_mov_b32_e32 v21, v3
	v_mov_b32_e32 v19, v3
	v_lshl_add_u64 v[28:29], v[20:21], 3, s[8:9]
	v_lshl_add_u64 v[30:31], v[18:19], 3, s[8:9]
	global_load_dwordx2 v[18:19], v[26:27], off
	global_load_dwordx2 v[20:21], v[28:29], off
	;; [unrolled: 1-line block ×3, first 2 shown]
	v_mul_f32_e32 v2, v5, v5
	v_fmac_f32_e32 v2, v4, v4
	v_div_scale_f32 v11, s[4:5], v2, v2, 1.0
	v_rcp_f32_e32 v17, v11
	v_fma_f32 v10, 0, v5, v4
	v_fma_f32 v5, v4, 0, -v5
	v_div_scale_f32 v4, vcc, 1.0, v2, 1.0
	v_fma_f32 v22, -v11, v17, 1.0
	v_fmac_f32_e32 v17, v22, v17
	v_mul_f32_e32 v22, v4, v17
	v_fma_f32 v23, -v11, v22, v4
	v_fmac_f32_e32 v22, v23, v17
	v_fma_f32 v4, -v11, v22, v4
	v_div_fmas_f32 v4, v4, v17, v22
	v_div_fixup_f32 v2, v4, v2, 1.0
	v_mul_f32_e32 v4, v10, v2
	v_mul_f32_e32 v10, v5, v2
	s_waitcnt vmcnt(3)
	v_pk_mul_f32 v[22:23], v[10:11], v[14:15] op_sel:[0,1] op_sel_hi:[0,0] neg_lo:[0,1]
	v_pk_fma_f32 v[14:15], v[14:15], v[4:5], v[22:23] op_sel_hi:[1,0,1]
	global_store_dwordx2 v[24:25], v[14:15], off
	s_waitcnt vmcnt(3)
	v_pk_mul_f32 v[22:23], v[10:11], v[18:19] op_sel:[0,1] op_sel_hi:[0,0] neg_lo:[0,1]
	s_waitcnt vmcnt(2)
	v_pk_mul_f32 v[34:35], v[10:11], v[20:21] op_sel:[0,1] op_sel_hi:[0,0] neg_lo:[0,1]
	;; [unrolled: 2-line block ×3, first 2 shown]
	v_pk_fma_f32 v[22:23], v[18:19], v[4:5], v[22:23] op_sel_hi:[1,0,1]
	v_pk_fma_f32 v[20:21], v[20:21], v[4:5], v[34:35] op_sel_hi:[1,0,1]
	;; [unrolled: 1-line block ×3, first 2 shown]
	global_store_dwordx2 v[26:27], v[22:23], off
	global_store_dwordx2 v[28:29], v[20:21], off
	;; [unrolled: 1-line block ×3, first 2 shown]
	s_and_saveexec_b64 s[4:5], s[0:1]
	s_cbranch_execz .LBB260_3
; %bb.19:                               ;   in Loop: Header=BB260_5 Depth=1
	v_add_u32_e32 v5, v56, v1
	v_add_u32_e32 v2, s28, v5
	v_lshl_add_u64 v[24:25], v[2:3], 3, s[8:9]
	v_add_u32_e32 v2, s29, v5
	global_load_dwordx2 v[26:27], v[24:25], off
	v_lshl_add_u64 v[28:29], v[2:3], 3, s[8:9]
	global_load_dwordx2 v[30:31], v[28:29], off
	v_xor_b32_e32 v32, 0x80000000, v6
	v_mov_b32_e32 v33, v16
	v_mov_b32_e32 v34, v7
	;; [unrolled: 1-line block ×3, first 2 shown]
	v_add_u32_e32 v2, s30, v5
	v_lshl_add_u64 v[36:37], v[2:3], 3, s[8:9]
	v_add_u32_e32 v2, s31, v5
	v_lshl_add_u64 v[38:39], v[2:3], 3, s[8:9]
	s_waitcnt vmcnt(1)
	v_pk_fma_f32 v[26:27], v[32:33], v[14:15], v[26:27] op_sel_hi:[1,0,1]
	s_nop 0
	v_pk_fma_f32 v[14:15], v[34:35], v[14:15], v[26:27] op_sel:[0,1,0]
	s_waitcnt vmcnt(0)
	v_pk_fma_f32 v[26:27], v[32:33], v[22:23], v[30:31] op_sel_hi:[1,0,1]
	global_store_dwordx2 v[24:25], v[14:15], off
	v_pk_fma_f32 v[14:15], v[34:35], v[22:23], v[26:27] op_sel:[0,1,0]
	global_store_dwordx2 v[28:29], v[14:15], off
	global_load_dwordx2 v[22:23], v[36:37], off
	s_nop 0
	global_load_dwordx2 v[14:15], v[38:39], off
	s_waitcnt vmcnt(1)
	v_pk_fma_f32 v[22:23], v[32:33], v[20:21], v[22:23] op_sel_hi:[1,0,1]
	s_nop 0
	v_pk_fma_f32 v[20:21], v[34:35], v[20:21], v[22:23] op_sel:[0,1,0]
	s_waitcnt vmcnt(0)
	v_pk_fma_f32 v[14:15], v[32:33], v[18:19], v[14:15] op_sel_hi:[1,0,1]
	global_store_dwordx2 v[36:37], v[20:21], off
	v_pk_fma_f32 v[14:15], v[34:35], v[18:19], v[14:15] op_sel:[0,1,0]
	global_store_dwordx2 v[38:39], v[14:15], off
	s_branch .LBB260_3
.LBB260_20:
	s_or_b64 exec, exec, s[18:19]
	s_branch .LBB260_22
.LBB260_21:
	v_mov_b32_e32 v1, 0
.LBB260_22:
	v_subrev_u32_e32 v1, s22, v1
	v_add_u32_e32 v2, v1, v0
	v_ashrrev_i32_e32 v3, 31, v2
	s_waitcnt lgkmcnt(0)
	v_lshl_add_u64 v[2:3], v[2:3], 2, s[6:7]
	buffer_wbl2 sc1
	s_waitcnt vmcnt(0)
	buffer_inv sc1
	global_load_dword v2, v[2:3], off
	s_waitcnt vmcnt(0)
	v_mul_lo_u32 v2, v2, s22
	v_sub_u32_e32 v1, v1, v2
	v_cmp_lt_i32_e32 vcc, -1, v1
	s_and_b64 exec, exec, vcc
	s_cbranch_execz .LBB260_29
; %bb.23:
	s_lshl_b32 s4, s24, 2
	s_add_i32 s5, s4, s23
	s_add_i32 s12, s5, s23
	;; [unrolled: 1-line block ×3, first 2 shown]
	s_lshl_b32 s14, s22, 1
	s_mov_b64 s[0:1], 0
	v_mov_b32_e32 v3, 0
	s_branch .LBB260_25
.LBB260_24:                             ;   in Loop: Header=BB260_25 Depth=1
	s_or_b64 exec, exec, s[2:3]
	v_sub_u32_e32 v1, v1, v2
	v_cmp_gt_i32_e32 vcc, 0, v1
	s_or_b64 s[0:1], vcc, s[0:1]
	s_andn2_b64 exec, exec, s[0:1]
	s_cbranch_execz .LBB260_29
.LBB260_25:                             ; =>This Inner Loop Header: Depth=1
	v_add_u32_e32 v4, v1, v0
	v_ashrrev_i32_e32 v5, 31, v4
	s_waitcnt vmcnt(0)
	v_lshl_add_u64 v[6:7], v[4:5], 2, s[6:7]
	global_load_dword v2, v[6:7], off
	v_lshl_add_u64 v[6:7], v[4:5], 3, s[10:11]
	global_load_dwordx2 v[6:7], v[6:7], off
	s_waitcnt vmcnt(1)
	v_cmp_ne_u32_e32 vcc, 1, v2
	s_and_saveexec_b64 s[2:3], vcc
	s_xor_b64 s[2:3], exec, s[2:3]
	s_cbranch_execz .LBB260_27
; %bb.26:                               ;   in Loop: Header=BB260_25 Depth=1
	v_add_u32_e32 v5, v56, v1
	v_add_u32_e32 v2, s4, v5
	v_lshl_add_u64 v[8:9], v[2:3], 3, s[8:9]
	v_add_u32_e32 v2, s5, v5
	v_lshl_add_u64 v[10:11], v[2:3], 3, s[8:9]
	;; [unrolled: 2-line block ×5, first 2 shown]
	global_load_dwordx2 v[8:9], v[8:9], off
	s_waitcnt vmcnt(1)
	v_pk_add_f32 v[20:21], v[6:7], 0 neg_lo:[1,1] neg_hi:[1,1]
	global_load_dwordx2 v[18:19], v[16:17], off
	v_xor_b32_e32 v23, 0x80000000, v7
	v_mov_b32_e32 v22, v20
	v_pk_mov_b32 v[6:7], v[6:7], v[20:21] op_sel:[1,0]
	global_load_dwordx2 v[20:21], v[10:11], off
	global_load_dwordx2 v[24:25], v[12:13], off
	;; [unrolled: 1-line block ×3, first 2 shown]
	v_add_u32_e32 v2, s5, v4
	v_lshl_add_u64 v[10:11], v[2:3], 3, s[8:9]
	v_add_u32_e32 v2, s12, v4
	v_lshl_add_u64 v[14:15], v[2:3], 3, s[8:9]
	v_add_u32_e32 v2, s13, v4
	v_lshl_add_u64 v[4:5], v[2:3], 3, s[8:9]
	v_subrev_u32_e32 v2, s22, v1
	s_waitcnt vmcnt(3)
	v_pk_fma_f32 v[12:13], v[22:23], v[8:9], v[18:19] op_sel_hi:[1,0,1]
	s_nop 0
	v_pk_fma_f32 v[12:13], v[6:7], v[8:9], v[12:13] op_sel:[0,1,0]
	global_store_dwordx2 v[16:17], v[12:13], off
	global_load_dwordx2 v[12:13], v[10:11], off
	s_waitcnt vmcnt(0)
	v_pk_fma_f32 v[12:13], v[22:23], v[20:21], v[12:13] op_sel_hi:[1,0,1]
	s_nop 0
	v_pk_fma_f32 v[12:13], v[6:7], v[20:21], v[12:13] op_sel:[0,1,0]
	global_store_dwordx2 v[10:11], v[12:13], off
	global_load_dwordx2 v[10:11], v[14:15], off
	v_add_u32_e32 v12, v2, v0
	v_ashrrev_i32_e32 v13, 31, v12
	v_add_u32_e32 v2, s4, v12
	v_lshl_add_u64 v[16:17], v[2:3], 3, s[8:9]
	v_add_u32_e32 v2, s5, v12
	s_waitcnt vmcnt(0)
	v_pk_fma_f32 v[10:11], v[22:23], v[24:25], v[10:11] op_sel_hi:[1,0,1]
	s_nop 0
	v_pk_fma_f32 v[10:11], v[6:7], v[24:25], v[10:11] op_sel:[0,1,0]
	global_store_dwordx2 v[14:15], v[10:11], off
	global_load_dwordx2 v[10:11], v[4:5], off
	v_lshl_add_u64 v[14:15], v[12:13], 3, s[10:11]
	global_load_dwordx2 v[14:15], v[14:15], off
	s_waitcnt vmcnt(1)
	v_pk_fma_f32 v[10:11], v[22:23], v[26:27], v[10:11] op_sel_hi:[1,0,1]
	s_nop 0
	v_pk_fma_f32 v[6:7], v[6:7], v[26:27], v[10:11] op_sel:[0,1,0]
	global_store_dwordx2 v[4:5], v[6:7], off
	global_load_dwordx2 v[4:5], v[16:17], off
	s_waitcnt vmcnt(2)
	v_pk_add_f32 v[10:11], v[14:15], 0 neg_lo:[1,1] neg_hi:[1,1]
	v_lshl_add_u64 v[6:7], v[2:3], 3, s[8:9]
	v_pk_mov_b32 v[10:11], v[14:15], v[10:11] op_sel:[1,0]
	v_add_u32_e32 v2, s12, v12
	s_waitcnt vmcnt(0)
	v_pk_fma_f32 v[4:5], v[14:15], v[8:9], v[4:5] op_sel_hi:[1,0,1] neg_lo:[1,0,0] neg_hi:[1,0,0]
	s_nop 0
	v_pk_fma_f32 v[4:5], v[10:11], v[8:9], v[4:5] op_sel:[0,1,0]
	global_store_dwordx2 v[16:17], v[4:5], off
	global_load_dwordx2 v[4:5], v[6:7], off
	v_lshl_add_u64 v[8:9], v[2:3], 3, s[8:9]
	v_add_u32_e32 v2, s13, v12
	s_waitcnt vmcnt(0)
	v_pk_fma_f32 v[4:5], v[14:15], v[20:21], v[4:5] op_sel_hi:[1,0,1] neg_lo:[1,0,0] neg_hi:[1,0,0]
	s_nop 0
	v_pk_fma_f32 v[4:5], v[10:11], v[20:21], v[4:5] op_sel:[0,1,0]
	global_store_dwordx2 v[6:7], v[4:5], off
	global_load_dwordx2 v[4:5], v[8:9], off
	v_lshl_add_u64 v[6:7], v[2:3], 3, s[8:9]
	s_waitcnt vmcnt(0)
	v_pk_fma_f32 v[4:5], v[14:15], v[24:25], v[4:5] op_sel_hi:[1,0,1] neg_lo:[1,0,0] neg_hi:[1,0,0]
	s_nop 0
	v_pk_fma_f32 v[4:5], v[10:11], v[24:25], v[4:5] op_sel:[0,1,0]
	global_store_dwordx2 v[8:9], v[4:5], off
	global_load_dwordx2 v[4:5], v[6:7], off
	s_waitcnt vmcnt(0)
	v_pk_fma_f32 v[4:5], v[14:15], v[26:27], v[4:5] op_sel_hi:[1,0,1] neg_lo:[1,0,0] neg_hi:[1,0,0]
	s_nop 0
	v_pk_fma_f32 v[4:5], v[10:11], v[26:27], v[4:5] op_sel:[0,1,0]
	global_store_dwordx2 v[6:7], v[4:5], off
                                        ; implicit-def: $vgpr4
                                        ; implicit-def: $vgpr6_vgpr7
.LBB260_27:                             ;   in Loop: Header=BB260_25 Depth=1
	s_or_saveexec_b64 s[2:3], s[2:3]
	v_mov_b32_e32 v2, s14
	s_xor_b64 exec, exec, s[2:3]
	s_cbranch_execz .LBB260_24
; %bb.28:                               ;   in Loop: Header=BB260_25 Depth=1
	v_add_u32_e32 v5, v56, v1
	v_add_u32_e32 v2, s4, v5
	v_lshl_add_u64 v[8:9], v[2:3], 3, s[8:9]
	v_add_u32_e32 v2, s4, v4
	v_lshl_add_u64 v[10:11], v[2:3], 3, s[8:9]
	global_load_dwordx2 v[12:13], v[8:9], off
	global_load_dwordx2 v[14:15], v[10:11], off
	s_waitcnt vmcnt(2)
	v_pk_add_f32 v[8:9], v[6:7], 0 neg_lo:[1,1] neg_hi:[1,1]
	v_xor_b32_e32 v17, 0x80000000, v7
	v_mov_b32_e32 v16, v8
	v_pk_mov_b32 v[8:9], v[6:7], v[8:9] op_sel:[1,0]
	v_add_u32_e32 v2, s5, v5
	v_lshl_add_u64 v[18:19], v[2:3], 3, s[8:9]
	v_add_u32_e32 v2, s5, v4
	v_lshl_add_u64 v[20:21], v[2:3], 3, s[8:9]
	v_add_u32_e32 v2, s12, v5
	s_waitcnt vmcnt(0)
	v_pk_fma_f32 v[14:15], v[16:17], v[12:13], v[14:15] op_sel_hi:[1,0,1]
	s_nop 0
	v_pk_fma_f32 v[12:13], v[8:9], v[12:13], v[14:15] op_sel:[0,1,0]
	global_store_dwordx2 v[10:11], v[12:13], off
	global_load_dwordx2 v[10:11], v[18:19], off
	s_nop 0
	global_load_dwordx2 v[12:13], v[20:21], off
	v_lshl_add_u64 v[14:15], v[2:3], 3, s[8:9]
	v_add_u32_e32 v2, s12, v4
	v_lshl_add_u64 v[18:19], v[2:3], 3, s[8:9]
	v_add_u32_e32 v2, s13, v5
	s_waitcnt vmcnt(0)
	v_pk_fma_f32 v[12:13], v[16:17], v[10:11], v[12:13] op_sel_hi:[1,0,1]
	s_nop 0
	v_pk_fma_f32 v[10:11], v[8:9], v[10:11], v[12:13] op_sel:[0,1,0]
	global_store_dwordx2 v[20:21], v[10:11], off
	global_load_dwordx2 v[10:11], v[14:15], off
	s_nop 0
	global_load_dwordx2 v[12:13], v[18:19], off
	v_lshl_add_u64 v[14:15], v[2:3], 3, s[8:9]
	v_add_u32_e32 v2, s13, v4
	v_lshl_add_u64 v[4:5], v[2:3], 3, s[8:9]
	v_mov_b32_e32 v2, s22
	s_waitcnt vmcnt(0)
	v_pk_fma_f32 v[12:13], v[16:17], v[10:11], v[12:13] op_sel_hi:[1,0,1]
	s_nop 0
	v_pk_fma_f32 v[10:11], v[8:9], v[10:11], v[12:13] op_sel:[0,1,0]
	global_store_dwordx2 v[18:19], v[10:11], off
	global_load_dwordx2 v[10:11], v[14:15], off
	s_nop 0
	global_load_dwordx2 v[12:13], v[4:5], off
	s_waitcnt vmcnt(0)
	v_pk_fma_f32 v[6:7], v[6:7], v[10:11], v[12:13] op_sel_hi:[1,0,1] neg_lo:[1,0,0] neg_hi:[1,0,0]
	s_nop 0
	v_pk_fma_f32 v[6:7], v[8:9], v[10:11], v[6:7] op_sel:[0,1,0]
	global_store_dwordx2 v[4:5], v[6:7], off
	s_branch .LBB260_24
.LBB260_29:
	s_endpgm
	.section	.rodata,"a",@progbits
	.p2align	6, 0x0
	.amdhsa_kernel _ZN9rocsparseL19gtsv_LBM_rhs_kernelILj256ELj256ELj4E21rocsparse_complex_numIfEEEviiiPKT2_S5_S5_PS3_S5_PKi
		.amdhsa_group_segment_fixed_size 0
		.amdhsa_private_segment_fixed_size 0
		.amdhsa_kernarg_size 64
		.amdhsa_user_sgpr_count 2
		.amdhsa_user_sgpr_dispatch_ptr 0
		.amdhsa_user_sgpr_queue_ptr 0
		.amdhsa_user_sgpr_kernarg_segment_ptr 1
		.amdhsa_user_sgpr_dispatch_id 0
		.amdhsa_user_sgpr_kernarg_preload_length 0
		.amdhsa_user_sgpr_kernarg_preload_offset 0
		.amdhsa_user_sgpr_private_segment_size 0
		.amdhsa_uses_dynamic_stack 0
		.amdhsa_enable_private_segment 0
		.amdhsa_system_sgpr_workgroup_id_x 1
		.amdhsa_system_sgpr_workgroup_id_y 1
		.amdhsa_system_sgpr_workgroup_id_z 0
		.amdhsa_system_sgpr_workgroup_info 0
		.amdhsa_system_vgpr_workitem_id 0
		.amdhsa_next_free_vgpr 76
		.amdhsa_next_free_sgpr 32
		.amdhsa_accum_offset 76
		.amdhsa_reserve_vcc 1
		.amdhsa_float_round_mode_32 0
		.amdhsa_float_round_mode_16_64 0
		.amdhsa_float_denorm_mode_32 3
		.amdhsa_float_denorm_mode_16_64 3
		.amdhsa_dx10_clamp 1
		.amdhsa_ieee_mode 1
		.amdhsa_fp16_overflow 0
		.amdhsa_tg_split 0
		.amdhsa_exception_fp_ieee_invalid_op 0
		.amdhsa_exception_fp_denorm_src 0
		.amdhsa_exception_fp_ieee_div_zero 0
		.amdhsa_exception_fp_ieee_overflow 0
		.amdhsa_exception_fp_ieee_underflow 0
		.amdhsa_exception_fp_ieee_inexact 0
		.amdhsa_exception_int_div_zero 0
	.end_amdhsa_kernel
	.section	.text._ZN9rocsparseL19gtsv_LBM_rhs_kernelILj256ELj256ELj4E21rocsparse_complex_numIfEEEviiiPKT2_S5_S5_PS3_S5_PKi,"axG",@progbits,_ZN9rocsparseL19gtsv_LBM_rhs_kernelILj256ELj256ELj4E21rocsparse_complex_numIfEEEviiiPKT2_S5_S5_PS3_S5_PKi,comdat
.Lfunc_end260:
	.size	_ZN9rocsparseL19gtsv_LBM_rhs_kernelILj256ELj256ELj4E21rocsparse_complex_numIfEEEviiiPKT2_S5_S5_PS3_S5_PKi, .Lfunc_end260-_ZN9rocsparseL19gtsv_LBM_rhs_kernelILj256ELj256ELj4E21rocsparse_complex_numIfEEEviiiPKT2_S5_S5_PS3_S5_PKi
                                        ; -- End function
	.set _ZN9rocsparseL19gtsv_LBM_rhs_kernelILj256ELj256ELj4E21rocsparse_complex_numIfEEEviiiPKT2_S5_S5_PS3_S5_PKi.num_vgpr, 76
	.set _ZN9rocsparseL19gtsv_LBM_rhs_kernelILj256ELj256ELj4E21rocsparse_complex_numIfEEEviiiPKT2_S5_S5_PS3_S5_PKi.num_agpr, 0
	.set _ZN9rocsparseL19gtsv_LBM_rhs_kernelILj256ELj256ELj4E21rocsparse_complex_numIfEEEviiiPKT2_S5_S5_PS3_S5_PKi.numbered_sgpr, 32
	.set _ZN9rocsparseL19gtsv_LBM_rhs_kernelILj256ELj256ELj4E21rocsparse_complex_numIfEEEviiiPKT2_S5_S5_PS3_S5_PKi.num_named_barrier, 0
	.set _ZN9rocsparseL19gtsv_LBM_rhs_kernelILj256ELj256ELj4E21rocsparse_complex_numIfEEEviiiPKT2_S5_S5_PS3_S5_PKi.private_seg_size, 0
	.set _ZN9rocsparseL19gtsv_LBM_rhs_kernelILj256ELj256ELj4E21rocsparse_complex_numIfEEEviiiPKT2_S5_S5_PS3_S5_PKi.uses_vcc, 1
	.set _ZN9rocsparseL19gtsv_LBM_rhs_kernelILj256ELj256ELj4E21rocsparse_complex_numIfEEEviiiPKT2_S5_S5_PS3_S5_PKi.uses_flat_scratch, 0
	.set _ZN9rocsparseL19gtsv_LBM_rhs_kernelILj256ELj256ELj4E21rocsparse_complex_numIfEEEviiiPKT2_S5_S5_PS3_S5_PKi.has_dyn_sized_stack, 0
	.set _ZN9rocsparseL19gtsv_LBM_rhs_kernelILj256ELj256ELj4E21rocsparse_complex_numIfEEEviiiPKT2_S5_S5_PS3_S5_PKi.has_recursion, 0
	.set _ZN9rocsparseL19gtsv_LBM_rhs_kernelILj256ELj256ELj4E21rocsparse_complex_numIfEEEviiiPKT2_S5_S5_PS3_S5_PKi.has_indirect_call, 0
	.section	.AMDGPU.csdata,"",@progbits
; Kernel info:
; codeLenInByte = 3796
; TotalNumSgprs: 38
; NumVgprs: 76
; NumAgprs: 0
; TotalNumVgprs: 76
; ScratchSize: 0
; MemoryBound: 0
; FloatMode: 240
; IeeeMode: 1
; LDSByteSize: 0 bytes/workgroup (compile time only)
; SGPRBlocks: 4
; VGPRBlocks: 9
; NumSGPRsForWavesPerEU: 38
; NumVGPRsForWavesPerEU: 76
; AccumOffset: 76
; Occupancy: 6
; WaveLimiterHint : 0
; COMPUTE_PGM_RSRC2:SCRATCH_EN: 0
; COMPUTE_PGM_RSRC2:USER_SGPR: 2
; COMPUTE_PGM_RSRC2:TRAP_HANDLER: 0
; COMPUTE_PGM_RSRC2:TGID_X_EN: 1
; COMPUTE_PGM_RSRC2:TGID_Y_EN: 1
; COMPUTE_PGM_RSRC2:TGID_Z_EN: 0
; COMPUTE_PGM_RSRC2:TIDIG_COMP_CNT: 0
; COMPUTE_PGM_RSRC3_GFX90A:ACCUM_OFFSET: 18
; COMPUTE_PGM_RSRC3_GFX90A:TG_SPLIT: 0
	.section	.text._ZN9rocsparseL19gtsv_LBM_rhs_kernelILj256ELj256ELj2E21rocsparse_complex_numIfEEEviiiPKT2_S5_S5_PS3_S5_PKi,"axG",@progbits,_ZN9rocsparseL19gtsv_LBM_rhs_kernelILj256ELj256ELj2E21rocsparse_complex_numIfEEEviiiPKT2_S5_S5_PS3_S5_PKi,comdat
	.globl	_ZN9rocsparseL19gtsv_LBM_rhs_kernelILj256ELj256ELj2E21rocsparse_complex_numIfEEEviiiPKT2_S5_S5_PS3_S5_PKi ; -- Begin function _ZN9rocsparseL19gtsv_LBM_rhs_kernelILj256ELj256ELj2E21rocsparse_complex_numIfEEEviiiPKT2_S5_S5_PS3_S5_PKi
	.p2align	8
	.type	_ZN9rocsparseL19gtsv_LBM_rhs_kernelILj256ELj256ELj2E21rocsparse_complex_numIfEEEviiiPKT2_S5_S5_PS3_S5_PKi,@function
_ZN9rocsparseL19gtsv_LBM_rhs_kernelILj256ELj256ELj2E21rocsparse_complex_numIfEEEviiiPKT2_S5_S5_PS3_S5_PKi: ; @_ZN9rocsparseL19gtsv_LBM_rhs_kernelILj256ELj256ELj2E21rocsparse_complex_numIfEEEviiiPKT2_S5_S5_PS3_S5_PKi
; %bb.0:
	s_load_dword s23, s[0:1], 0x0
	v_lshl_or_b32 v0, s2, 8, v0
	s_waitcnt lgkmcnt(0)
	s_lshr_b32 s22, s23, 8
	v_cmp_gt_i32_e32 vcc, s22, v0
	s_and_saveexec_b64 s[4:5], vcc
	s_cbranch_execz .LBB261_29
; %bb.1:
	s_load_dwordx4 s[8:11], s[0:1], 0x28
	s_load_dwordx2 s[6:7], s[0:1], 0x38
	s_cmp_lt_i32 s23, 1
	v_add_u32_e32 v25, s22, v0
	s_mul_i32 s24, s3, s23
	s_cbranch_scc1 .LBB261_21
; %bb.2:
	s_load_dwordx4 s[12:15], s[0:1], 0x10
	s_load_dwordx2 s[16:17], s[0:1], 0x20
	v_ashrrev_i32_e32 v1, 31, v0
	s_lshl_b32 s28, s24, 1
	s_mul_i32 s25, s22, 0xff
	s_waitcnt lgkmcnt(0)
	v_lshl_add_u64 v[2:3], v[0:1], 3, s[14:15]
	global_load_dwordx2 v[6:7], v[2:3], off
	s_mul_i32 s26, s22, 0xfe
	s_lshl_b32 s27, s22, 1
	v_add_u32_e32 v42, s22, v25
	s_add_i32 s29, s28, s23
	v_mov_b32_e32 v3, 0
	s_mov_b64 s[18:19], 0
	v_mov_b32_e32 v1, 0
	s_branch .LBB261_5
.LBB261_3:                              ;   in Loop: Header=BB261_5 Depth=1
	s_or_b64 exec, exec, s[4:5]
	v_mov_b32_e32 v21, v4
	v_pk_mul_f32 v[14:15], v[8:9], v[20:21] op_sel:[1,0]
	s_nop 0
	v_pk_fma_f32 v[4:5], v[4:5], v[8:9], v[14:15] op_sel_hi:[1,0,1]
	s_nop 0
	v_xor_b32_e32 v8, 0x80000000, v5
	v_mov_b32_e32 v9, v4
	v_pk_mul_f32 v[8:9], v[12:13], v[8:9] op_sel_hi:[0,1]
	v_pk_fma_f32 v[4:5], v[4:5], v[6:7], v[8:9] op_sel_hi:[1,0,1]
	v_mov_b32_e32 v12, s22
	v_pk_add_f32 v[6:7], v[10:11], v[4:5] neg_lo:[0,1] neg_hi:[0,1]
.LBB261_4:                              ;   in Loop: Header=BB261_5 Depth=1
	s_or_b64 exec, exec, s[2:3]
	v_add_u32_e32 v1, v12, v1
	v_cmp_le_i32_e32 vcc, s23, v1
	s_or_b64 s[18:19], vcc, s[18:19]
	s_andn2_b64 exec, exec, s[18:19]
	s_cbranch_execz .LBB261_20
.LBB261_5:                              ; =>This Inner Loop Header: Depth=1
	v_add_u32_e32 v16, v1, v0
	v_ashrrev_i32_e32 v17, 31, v16
	v_lshl_add_u64 v[4:5], v[16:17], 3, s[16:17]
	global_load_dwordx2 v[8:9], v[4:5], off
	v_cmp_gt_u32_e64 s[0:1], s25, v1
	v_mov_b32_e32 v4, 0
	v_mov_b32_e32 v5, 0
	s_and_saveexec_b64 s[2:3], s[0:1]
	s_cbranch_execz .LBB261_7
; %bb.6:                                ;   in Loop: Header=BB261_5 Depth=1
	v_add_u32_e32 v4, v25, v1
	v_ashrrev_i32_e32 v5, 31, v4
	v_lshl_add_u64 v[4:5], v[4:5], 3, s[12:13]
	global_load_dwordx2 v[4:5], v[4:5], off
.LBB261_7:                              ;   in Loop: Header=BB261_5 Depth=1
	s_or_b64 exec, exec, s[2:3]
	v_mov_b32_e32 v12, 0
	v_mov_b32_e32 v10, 0
	;; [unrolled: 1-line block ×3, first 2 shown]
	s_and_saveexec_b64 s[2:3], s[0:1]
	s_cbranch_execz .LBB261_9
; %bb.8:                                ;   in Loop: Header=BB261_5 Depth=1
	v_add_u32_e32 v10, v25, v1
	v_ashrrev_i32_e32 v11, 31, v10
	v_lshl_add_u64 v[10:11], v[10:11], 3, s[14:15]
	global_load_dwordx2 v[10:11], v[10:11], off
.LBB261_9:                              ;   in Loop: Header=BB261_5 Depth=1
	s_or_b64 exec, exec, s[2:3]
	v_mov_b32_e32 v13, 0
	s_and_saveexec_b64 s[2:3], s[0:1]
	s_cbranch_execz .LBB261_11
; %bb.10:                               ;   in Loop: Header=BB261_5 Depth=1
	v_add_u32_e32 v12, v25, v1
	v_ashrrev_i32_e32 v13, 31, v12
	v_lshl_add_u64 v[12:13], v[12:13], 3, s[16:17]
	global_load_dwordx2 v[12:13], v[12:13], off
.LBB261_11:                             ;   in Loop: Header=BB261_5 Depth=1
	s_or_b64 exec, exec, s[2:3]
	v_cmp_gt_u32_e64 s[2:3], s26, v1
	v_mov_b32_e32 v14, 0
	v_mov_b32_e32 v15, 0
	s_and_saveexec_b64 s[4:5], s[2:3]
	s_cbranch_execz .LBB261_13
; %bb.12:                               ;   in Loop: Header=BB261_5 Depth=1
	v_add_u32_e32 v14, v42, v1
	v_ashrrev_i32_e32 v15, 31, v14
	v_lshl_add_u64 v[14:15], v[14:15], 3, s[12:13]
	global_load_dwordx2 v[14:15], v[14:15], off
.LBB261_13:                             ;   in Loop: Header=BB261_5 Depth=1
	s_or_b64 exec, exec, s[4:5]
	v_lshl_add_u64 v[18:19], v[16:17], 2, s[6:7]
	global_load_dword v17, v[18:19], off
	v_cmp_ne_u32_e32 vcc, s25, v1
	v_add_u32_e32 v2, s28, v16
	v_add_u32_e32 v16, s29, v16
	s_waitcnt vmcnt(1)
	v_xor_b32_e32 v20, 0x80000000, v5
	s_waitcnt vmcnt(0)
	v_cmp_ne_u32_e64 s[4:5], 1, v17
	s_and_b64 s[4:5], vcc, s[4:5]
	s_and_saveexec_b64 s[20:21], s[4:5]
	s_xor_b64 s[4:5], exec, s[20:21]
	s_cbranch_execz .LBB261_17
; %bb.14:                               ;   in Loop: Header=BB261_5 Depth=1
	v_mov_b32_e32 v17, v3
	v_lshl_add_u64 v[46:47], v[16:17], 3, s[8:9]
	v_add_u32_e32 v16, v25, v1
	v_lshl_add_u64 v[44:45], v[2:3], 3, s[8:9]
	v_add_u32_e32 v2, s28, v16
	global_load_dwordx2 v[28:29], v[44:45], off
	global_load_dwordx2 v[34:35], v[46:47], off
	v_lshl_add_u64 v[48:49], v[2:3], 3, s[8:9]
	v_add_u32_e32 v2, s29, v16
	v_lshl_add_u64 v[50:51], v[2:3], 3, s[8:9]
	global_load_dwordx2 v[36:37], v[48:49], off
	global_load_dwordx2 v[52:53], v[50:51], off
	v_xor_b32_e32 v16, 0x80000000, v7
	v_mov_b32_e32 v17, v6
	v_mov_b32_e32 v21, v4
	v_pk_mul_f32 v[26:27], v[10:11], v[16:17] op_sel:[1,0]
	v_pk_mul_f32 v[20:21], v[8:9], v[20:21] op_sel:[1,0]
	v_pk_fma_f32 v[26:27], v[6:7], v[10:11], v[26:27] op_sel_hi:[1,0,1]
	v_pk_fma_f32 v[20:21], v[4:5], v[8:9], v[20:21] op_sel_hi:[1,0,1]
	v_xor_b32_e32 v54, 0x80000000, v11
	v_pk_add_f32 v[20:21], v[26:27], v[20:21] neg_lo:[0,1] neg_hi:[0,1]
	v_xor_b32_e32 v56, 0x80000000, v9
	v_mul_f32_e32 v24, v21, v21
	v_fmac_f32_e32 v24, v20, v20
	v_div_scale_f32 v27, s[20:21], v24, v24, 1.0
	v_rcp_f32_e32 v30, v27
	v_fma_f32 v26, 0, v21, v20
	v_fma_f32 v21, v20, 0, -v21
	v_div_scale_f32 v20, vcc, 1.0, v24, 1.0
	v_fma_f32 v31, -v27, v30, 1.0
	v_fmac_f32_e32 v30, v31, v30
	v_mul_f32_e32 v31, v20, v30
	v_fma_f32 v32, -v27, v31, v20
	v_fmac_f32_e32 v31, v32, v30
	v_fma_f32 v20, -v27, v31, v20
	v_div_fmas_f32 v20, v20, v30, v31
	v_div_fixup_f32 v24, v20, v24, 1.0
	v_mul_f32_e32 v20, v26, v24
	v_mul_f32_e32 v24, v21, v24
	v_pk_add_f32 v[22:23], v[4:5], 0 neg_lo:[1,1] neg_hi:[1,1]
	v_mov_b32_e32 v55, v10
	v_mov_b32_e32 v57, v8
	v_pk_mov_b32 v[22:23], v[4:5], v[22:23] op_sel:[1,0]
	v_mov_b32_e32 v2, v3
	v_mov_b32_e32 v18, v6
	v_mov_b32_e32 v19, v6
	s_waitcnt vmcnt(3)
	v_mul_f32_e64 v26, v24, -v29
	v_mul_f32_e32 v30, v24, v28
	v_fmac_f32_e32 v26, v28, v20
	s_waitcnt vmcnt(2)
	v_mul_f32_e64 v28, v24, -v35
	v_mul_f32_e32 v32, v24, v34
	v_fmac_f32_e32 v28, v34, v20
	s_waitcnt vmcnt(1)
	v_mul_f32_e64 v34, v24, -v37
	v_mul_f32_e32 v38, v24, v36
	s_waitcnt vmcnt(0)
	v_mul_f32_e32 v40, v24, v52
	v_fmac_f32_e32 v30, v29, v20
	v_fmac_f32_e32 v32, v35, v20
	;; [unrolled: 1-line block ×4, first 2 shown]
	v_mul_f32_e64 v36, v24, -v53
	v_fmac_f32_e32 v40, v53, v20
	v_pk_mul_f32 v[58:59], v[30:31], v[54:55] op_sel_hi:[0,1]
	v_pk_mul_f32 v[54:55], v[32:33], v[54:55] op_sel_hi:[0,1]
	v_fmac_f32_e32 v36, v52, v20
	v_pk_mul_f32 v[52:53], v[38:39], v[56:57] op_sel_hi:[0,1]
	v_pk_mul_f32 v[56:57], v[40:41], v[56:57] op_sel_hi:[0,1]
	;; [unrolled: 1-line block ×3, first 2 shown]
	v_pk_fma_f32 v[58:59], v[10:11], v[26:27], v[58:59] op_sel_hi:[1,0,1]
	v_pk_mul_f32 v[62:63], v[22:23], v[32:33] op_sel_hi:[1,0]
	v_pk_fma_f32 v[10:11], v[10:11], v[28:29], v[54:55] op_sel_hi:[1,0,1]
	v_pk_mul_f32 v[54:55], v[38:39], v[16:17] op_sel_hi:[0,1]
	;; [unrolled: 2-line block ×3, first 2 shown]
	v_pk_fma_f32 v[8:9], v[8:9], v[36:37], v[56:57] op_sel_hi:[1,0,1]
	v_pk_fma_f32 v[60:61], v[4:5], v[26:27], v[60:61] op_sel_hi:[1,0,1] neg_lo:[1,0,0] neg_hi:[1,0,0]
	v_pk_fma_f32 v[62:63], v[4:5], v[28:29], v[62:63] op_sel_hi:[1,0,1] neg_lo:[1,0,0] neg_hi:[1,0,0]
	v_pk_fma_f32 v[54:55], v[6:7], v[34:35], v[54:55] op_sel_hi:[1,0,1]
	v_pk_add_f32 v[52:53], v[58:59], v[52:53] neg_lo:[0,1] neg_hi:[0,1]
	v_pk_fma_f32 v[56:57], v[6:7], v[36:37], v[64:65] op_sel_hi:[1,0,1]
	v_pk_add_f32 v[8:9], v[10:11], v[8:9] neg_lo:[0,1] neg_hi:[0,1]
	v_pk_add_f32 v[54:55], v[60:61], v[54:55]
	global_store_dwordx2 v[44:45], v[52:53], off
	v_pk_add_f32 v[10:11], v[62:63], v[56:57]
	global_store_dwordx2 v[46:47], v[8:9], off
	global_store_dwordx2 v[48:49], v[54:55], off
	global_store_dwordx2 v[50:51], v[10:11], off
	v_mov_b64_e32 v[8:9], v[2:3]
	s_and_saveexec_b64 s[20:21], s[2:3]
	s_cbranch_execz .LBB261_16
; %bb.15:                               ;   in Loop: Header=BB261_5 Depth=1
	v_add_u32_e32 v8, v42, v1
	v_add_u32_e32 v2, s28, v8
	v_ashrrev_i32_e32 v9, 31, v8
	v_lshl_add_u64 v[10:11], v[2:3], 3, s[8:9]
	v_add_u32_e32 v2, s29, v8
	v_lshl_add_u64 v[8:9], v[8:9], 3, s[14:15]
	v_lshl_add_u64 v[44:45], v[2:3], 3, s[8:9]
	global_load_dwordx2 v[46:47], v[10:11], off
	global_load_dwordx2 v[48:49], v[44:45], off
	v_mov_b32_e32 v2, v15
	global_load_dwordx2 v[8:9], v[8:9], off
	v_xor_b32_e32 v50, 0x80000000, v15
	v_mov_b32_e32 v51, v14
	v_pk_mul_f32 v[22:23], v[2:3], v[22:23] op_sel_hi:[0,1]
	v_pk_mul_f32 v[16:17], v[2:3], v[16:17] op_sel_hi:[0,1]
	v_pk_mul_f32 v[50:51], v[6:7], v[50:51] op_sel:[1,0]
	v_pk_fma_f32 v[4:5], v[4:5], v[14:15], v[22:23] op_sel_hi:[1,0,1] neg_lo:[1,0,0] neg_hi:[1,0,0]
	v_pk_fma_f32 v[6:7], v[6:7], v[14:15], v[16:17] op_sel_hi:[1,0,1]
	v_pk_fma_f32 v[14:15], v[14:15], v[18:19], v[50:51]
	v_mov_b32_e32 v52, v13
	v_pk_add_f32 v[16:17], v[4:5], 0 neg_lo:[1,1] neg_hi:[1,1]
	v_xor_b32_e32 v22, 0x80000000, v15
	v_mov_b32_e32 v23, v14
	v_mov_b32_e32 v31, v30
	;; [unrolled: 1-line block ×5, first 2 shown]
	v_xor_b32_e32 v18, 0x80000000, v7
	v_mov_b32_e32 v19, v6
	v_pk_mov_b32 v[16:17], v[4:5], v[16:17] op_sel:[1,0]
	v_pk_mul_f32 v[22:23], v[52:53], v[22:23] op_sel_hi:[0,1]
	v_mov_b32_e32 v27, v26
	v_mov_b32_e32 v35, v34
	;; [unrolled: 1-line block ×4, first 2 shown]
	v_pk_mul_f32 v[38:39], v[38:39], v[18:19]
	v_pk_mul_f32 v[18:19], v[40:41], v[18:19]
	;; [unrolled: 1-line block ×4, first 2 shown]
	v_pk_fma_f32 v[12:13], v[14:15], v[12:13], v[22:23] op_sel_hi:[1,0,1]
	v_pk_fma_f32 v[34:35], v[6:7], v[34:35], v[38:39]
	v_pk_fma_f32 v[6:7], v[6:7], v[36:37], v[18:19]
	v_pk_fma_f32 v[14:15], v[4:5], v[26:27], v[30:31] neg_lo:[1,0,0] neg_hi:[1,0,0]
	v_pk_fma_f32 v[4:5], v[4:5], v[28:29], v[16:17] neg_lo:[1,0,0] neg_hi:[1,0,0]
	v_xor_b32_e32 v16, 0x80000000, v13
	v_mov_b32_e32 v17, v12
	v_pk_add_f32 v[4:5], v[4:5], v[6:7] neg_lo:[0,1] neg_hi:[0,1]
	v_pk_mul_f32 v[6:7], v[24:25], v[16:17] op_sel_hi:[0,1]
	v_pk_add_f32 v[14:15], v[14:15], v[34:35] neg_lo:[0,1] neg_hi:[0,1]
	v_pk_fma_f32 v[6:7], v[12:13], v[20:21], v[6:7] op_sel_hi:[1,0,1]
	s_waitcnt vmcnt(2)
	v_pk_add_f32 v[12:13], v[14:15], v[46:47]
	s_waitcnt vmcnt(1)
	v_pk_add_f32 v[4:5], v[4:5], v[48:49]
	global_store_dwordx2 v[10:11], v[12:13], off
	s_waitcnt vmcnt(1)
	v_pk_add_f32 v[8:9], v[8:9], v[6:7] neg_lo:[0,1] neg_hi:[0,1]
	global_store_dwordx2 v[44:45], v[4:5], off
.LBB261_16:                             ;   in Loop: Header=BB261_5 Depth=1
	s_or_b64 exec, exec, s[20:21]
	v_mov_b64_e32 v[6:7], v[8:9]
                                        ; implicit-def: $vgpr8_vgpr9
                                        ; implicit-def: $vgpr4
                                        ; implicit-def: $vgpr10_vgpr11
                                        ; implicit-def: $vgpr16
                                        ; implicit-def: $vgpr20
.LBB261_17:                             ;   in Loop: Header=BB261_5 Depth=1
	s_or_saveexec_b64 s[2:3], s[4:5]
	v_mov_b32_e32 v12, s27
	s_xor_b64 exec, exec, s[2:3]
	s_cbranch_execz .LBB261_4
; %bb.18:                               ;   in Loop: Header=BB261_5 Depth=1
	v_lshl_add_u64 v[18:19], v[2:3], 3, s[8:9]
	v_mov_b32_e32 v17, v3
	global_load_dwordx2 v[14:15], v[18:19], off
	v_lshl_add_u64 v[22:23], v[16:17], 3, s[8:9]
	global_load_dwordx2 v[16:17], v[22:23], off
	v_mul_f32_e32 v2, v7, v7
	v_fmac_f32_e32 v2, v6, v6
	v_div_scale_f32 v13, s[4:5], v2, v2, 1.0
	v_rcp_f32_e32 v21, v13
	v_fma_f32 v12, 0, v7, v6
	v_fma_f32 v7, v6, 0, -v7
	v_div_scale_f32 v6, vcc, 1.0, v2, 1.0
	v_fma_f32 v24, -v13, v21, 1.0
	v_fmac_f32_e32 v21, v24, v21
	v_mul_f32_e32 v24, v6, v21
	v_fma_f32 v26, -v13, v24, v6
	v_fmac_f32_e32 v24, v26, v21
	v_fma_f32 v6, -v13, v24, v6
	v_div_fmas_f32 v6, v6, v21, v24
	v_div_fixup_f32 v2, v6, v2, 1.0
	v_mul_f32_e32 v6, v12, v2
	v_mul_f32_e32 v12, v7, v2
	s_waitcnt vmcnt(1)
	v_pk_mul_f32 v[26:27], v[12:13], v[14:15] op_sel:[0,1] op_sel_hi:[0,0] neg_lo:[0,1]
	v_pk_fma_f32 v[14:15], v[14:15], v[6:7], v[26:27] op_sel_hi:[1,0,1]
	s_waitcnt vmcnt(0)
	v_pk_mul_f32 v[26:27], v[12:13], v[16:17] op_sel:[0,1] op_sel_hi:[0,0] neg_lo:[0,1]
	v_pk_fma_f32 v[16:17], v[16:17], v[6:7], v[26:27] op_sel_hi:[1,0,1]
	global_store_dwordx2 v[18:19], v[14:15], off
	global_store_dwordx2 v[22:23], v[16:17], off
	s_and_saveexec_b64 s[4:5], s[0:1]
	s_cbranch_execz .LBB261_3
; %bb.19:                               ;   in Loop: Header=BB261_5 Depth=1
	v_add_u32_e32 v7, v25, v1
	v_add_u32_e32 v2, s28, v7
	v_lshl_add_u64 v[18:19], v[2:3], 3, s[8:9]
	v_add_u32_e32 v2, s29, v7
	global_load_dwordx2 v[22:23], v[18:19], off
	v_lshl_add_u64 v[26:27], v[2:3], 3, s[8:9]
	global_load_dwordx2 v[28:29], v[26:27], off
	v_xor_b32_e32 v30, 0x80000000, v4
	v_mov_b32_e32 v31, v20
	v_mov_b32_e32 v32, v5
	;; [unrolled: 1-line block ×3, first 2 shown]
	s_waitcnt vmcnt(1)
	v_pk_fma_f32 v[22:23], v[30:31], v[14:15], v[22:23] op_sel_hi:[1,0,1]
	s_nop 0
	v_pk_fma_f32 v[14:15], v[32:33], v[14:15], v[22:23] op_sel:[0,1,0]
	s_waitcnt vmcnt(0)
	v_pk_fma_f32 v[22:23], v[30:31], v[16:17], v[28:29] op_sel_hi:[1,0,1]
	global_store_dwordx2 v[18:19], v[14:15], off
	v_pk_fma_f32 v[14:15], v[32:33], v[16:17], v[22:23] op_sel:[0,1,0]
	global_store_dwordx2 v[26:27], v[14:15], off
	s_branch .LBB261_3
.LBB261_20:
	s_or_b64 exec, exec, s[18:19]
	s_branch .LBB261_22
.LBB261_21:
	v_mov_b32_e32 v1, 0
.LBB261_22:
	v_subrev_u32_e32 v1, s22, v1
	v_add_u32_e32 v2, v1, v0
	v_ashrrev_i32_e32 v3, 31, v2
	s_waitcnt lgkmcnt(0)
	v_lshl_add_u64 v[2:3], v[2:3], 2, s[6:7]
	buffer_wbl2 sc1
	s_waitcnt vmcnt(0)
	buffer_inv sc1
	global_load_dword v2, v[2:3], off
	s_waitcnt vmcnt(0)
	v_mul_lo_u32 v2, v2, s22
	v_sub_u32_e32 v1, v1, v2
	v_cmp_lt_i32_e32 vcc, -1, v1
	s_and_b64 exec, exec, vcc
	s_cbranch_execz .LBB261_29
; %bb.23:
	s_lshl_b32 s4, s24, 1
	s_add_i32 s5, s4, s23
	s_lshl_b32 s12, s22, 1
	s_mov_b64 s[0:1], 0
	v_mov_b32_e32 v3, 0
	s_branch .LBB261_25
.LBB261_24:                             ;   in Loop: Header=BB261_25 Depth=1
	s_or_b64 exec, exec, s[2:3]
	v_sub_u32_e32 v1, v1, v2
	v_cmp_gt_i32_e32 vcc, 0, v1
	s_or_b64 s[0:1], vcc, s[0:1]
	s_andn2_b64 exec, exec, s[0:1]
	s_cbranch_execz .LBB261_29
.LBB261_25:                             ; =>This Inner Loop Header: Depth=1
	v_add_u32_e32 v4, v1, v0
	v_ashrrev_i32_e32 v5, 31, v4
	s_waitcnt vmcnt(0)
	v_lshl_add_u64 v[6:7], v[4:5], 2, s[6:7]
	global_load_dword v2, v[6:7], off
	v_lshl_add_u64 v[6:7], v[4:5], 3, s[10:11]
	global_load_dwordx2 v[6:7], v[6:7], off
	s_waitcnt vmcnt(1)
	v_cmp_ne_u32_e32 vcc, 1, v2
	s_and_saveexec_b64 s[2:3], vcc
	s_xor_b64 s[2:3], exec, s[2:3]
	s_cbranch_execz .LBB261_27
; %bb.26:                               ;   in Loop: Header=BB261_25 Depth=1
	v_add_u32_e32 v5, v25, v1
	v_add_u32_e32 v2, s4, v5
	v_lshl_add_u64 v[8:9], v[2:3], 3, s[8:9]
	v_add_u32_e32 v2, s5, v5
	v_lshl_add_u64 v[10:11], v[2:3], 3, s[8:9]
	;; [unrolled: 2-line block ×3, first 2 shown]
	global_load_dwordx2 v[14:15], v[8:9], off
	global_load_dwordx2 v[16:17], v[12:13], off
	;; [unrolled: 1-line block ×3, first 2 shown]
	s_waitcnt vmcnt(3)
	v_pk_add_f32 v[8:9], v[6:7], 0 neg_lo:[1,1] neg_hi:[1,1]
	v_xor_b32_e32 v11, 0x80000000, v7
	v_mov_b32_e32 v10, v8
	v_pk_mov_b32 v[6:7], v[6:7], v[8:9] op_sel:[1,0]
	v_add_u32_e32 v2, s5, v4
	v_lshl_add_u64 v[4:5], v[2:3], 3, s[8:9]
	v_subrev_u32_e32 v2, s22, v1
	s_waitcnt vmcnt(1)
	v_pk_fma_f32 v[8:9], v[10:11], v[14:15], v[16:17] op_sel_hi:[1,0,1]
	s_nop 0
	v_pk_fma_f32 v[8:9], v[6:7], v[14:15], v[8:9] op_sel:[0,1,0]
	global_store_dwordx2 v[12:13], v[8:9], off
	global_load_dwordx2 v[8:9], v[4:5], off
	v_add_u32_e32 v12, v2, v0
	v_ashrrev_i32_e32 v13, 31, v12
	v_lshl_add_u64 v[16:17], v[12:13], 3, s[10:11]
	v_add_u32_e32 v2, s4, v12
	global_load_dwordx2 v[16:17], v[16:17], off
	v_lshl_add_u64 v[20:21], v[2:3], 3, s[8:9]
	v_add_u32_e32 v2, s5, v12
	s_waitcnt vmcnt(1)
	v_pk_fma_f32 v[8:9], v[10:11], v[18:19], v[8:9] op_sel_hi:[1,0,1]
	s_nop 0
	v_pk_fma_f32 v[6:7], v[6:7], v[18:19], v[8:9] op_sel:[0,1,0]
	global_store_dwordx2 v[4:5], v[6:7], off
	global_load_dwordx2 v[4:5], v[20:21], off
	v_lshl_add_u64 v[6:7], v[2:3], 3, s[8:9]
	s_waitcnt vmcnt(2)
	v_pk_add_f32 v[8:9], v[16:17], 0 neg_lo:[1,1] neg_hi:[1,1]
	s_waitcnt vmcnt(0)
	v_pk_fma_f32 v[4:5], v[16:17], v[14:15], v[4:5] op_sel_hi:[1,0,1] neg_lo:[1,0,0] neg_hi:[1,0,0]
	v_pk_mov_b32 v[8:9], v[16:17], v[8:9] op_sel:[1,0]
	s_nop 0
	v_pk_fma_f32 v[4:5], v[8:9], v[14:15], v[4:5] op_sel:[0,1,0]
	global_store_dwordx2 v[20:21], v[4:5], off
	global_load_dwordx2 v[4:5], v[6:7], off
	s_waitcnt vmcnt(0)
	v_pk_fma_f32 v[4:5], v[16:17], v[18:19], v[4:5] op_sel_hi:[1,0,1] neg_lo:[1,0,0] neg_hi:[1,0,0]
	s_nop 0
	v_pk_fma_f32 v[4:5], v[8:9], v[18:19], v[4:5] op_sel:[0,1,0]
	global_store_dwordx2 v[6:7], v[4:5], off
                                        ; implicit-def: $vgpr4
                                        ; implicit-def: $vgpr6_vgpr7
.LBB261_27:                             ;   in Loop: Header=BB261_25 Depth=1
	s_or_saveexec_b64 s[2:3], s[2:3]
	v_mov_b32_e32 v2, s12
	s_xor_b64 exec, exec, s[2:3]
	s_cbranch_execz .LBB261_24
; %bb.28:                               ;   in Loop: Header=BB261_25 Depth=1
	v_add_u32_e32 v5, v25, v1
	v_add_u32_e32 v2, s4, v5
	v_lshl_add_u64 v[8:9], v[2:3], 3, s[8:9]
	v_add_u32_e32 v2, s4, v4
	v_lshl_add_u64 v[10:11], v[2:3], 3, s[8:9]
	global_load_dwordx2 v[12:13], v[8:9], off
	global_load_dwordx2 v[14:15], v[10:11], off
	s_waitcnt vmcnt(2)
	v_pk_add_f32 v[8:9], v[6:7], 0 neg_lo:[1,1] neg_hi:[1,1]
	v_xor_b32_e32 v17, 0x80000000, v7
	v_mov_b32_e32 v16, v8
	v_pk_mov_b32 v[8:9], v[6:7], v[8:9] op_sel:[1,0]
	v_add_u32_e32 v2, s5, v5
	v_lshl_add_u64 v[18:19], v[2:3], 3, s[8:9]
	v_add_u32_e32 v2, s5, v4
	v_lshl_add_u64 v[4:5], v[2:3], 3, s[8:9]
	v_mov_b32_e32 v2, s22
	s_waitcnt vmcnt(0)
	v_pk_fma_f32 v[14:15], v[16:17], v[12:13], v[14:15] op_sel_hi:[1,0,1]
	s_nop 0
	v_pk_fma_f32 v[12:13], v[8:9], v[12:13], v[14:15] op_sel:[0,1,0]
	global_store_dwordx2 v[10:11], v[12:13], off
	global_load_dwordx2 v[10:11], v[18:19], off
	s_nop 0
	global_load_dwordx2 v[12:13], v[4:5], off
	s_waitcnt vmcnt(0)
	v_pk_fma_f32 v[6:7], v[6:7], v[10:11], v[12:13] op_sel_hi:[1,0,1] neg_lo:[1,0,0] neg_hi:[1,0,0]
	s_nop 0
	v_pk_fma_f32 v[6:7], v[8:9], v[10:11], v[6:7] op_sel:[0,1,0]
	global_store_dwordx2 v[4:5], v[6:7], off
	s_branch .LBB261_24
.LBB261_29:
	s_endpgm
	.section	.rodata,"a",@progbits
	.p2align	6, 0x0
	.amdhsa_kernel _ZN9rocsparseL19gtsv_LBM_rhs_kernelILj256ELj256ELj2E21rocsparse_complex_numIfEEEviiiPKT2_S5_S5_PS3_S5_PKi
		.amdhsa_group_segment_fixed_size 0
		.amdhsa_private_segment_fixed_size 0
		.amdhsa_kernarg_size 64
		.amdhsa_user_sgpr_count 2
		.amdhsa_user_sgpr_dispatch_ptr 0
		.amdhsa_user_sgpr_queue_ptr 0
		.amdhsa_user_sgpr_kernarg_segment_ptr 1
		.amdhsa_user_sgpr_dispatch_id 0
		.amdhsa_user_sgpr_kernarg_preload_length 0
		.amdhsa_user_sgpr_kernarg_preload_offset 0
		.amdhsa_user_sgpr_private_segment_size 0
		.amdhsa_uses_dynamic_stack 0
		.amdhsa_enable_private_segment 0
		.amdhsa_system_sgpr_workgroup_id_x 1
		.amdhsa_system_sgpr_workgroup_id_y 1
		.amdhsa_system_sgpr_workgroup_id_z 0
		.amdhsa_system_sgpr_workgroup_info 0
		.amdhsa_system_vgpr_workitem_id 0
		.amdhsa_next_free_vgpr 66
		.amdhsa_next_free_sgpr 30
		.amdhsa_accum_offset 68
		.amdhsa_reserve_vcc 1
		.amdhsa_float_round_mode_32 0
		.amdhsa_float_round_mode_16_64 0
		.amdhsa_float_denorm_mode_32 3
		.amdhsa_float_denorm_mode_16_64 3
		.amdhsa_dx10_clamp 1
		.amdhsa_ieee_mode 1
		.amdhsa_fp16_overflow 0
		.amdhsa_tg_split 0
		.amdhsa_exception_fp_ieee_invalid_op 0
		.amdhsa_exception_fp_denorm_src 0
		.amdhsa_exception_fp_ieee_div_zero 0
		.amdhsa_exception_fp_ieee_overflow 0
		.amdhsa_exception_fp_ieee_underflow 0
		.amdhsa_exception_fp_ieee_inexact 0
		.amdhsa_exception_int_div_zero 0
	.end_amdhsa_kernel
	.section	.text._ZN9rocsparseL19gtsv_LBM_rhs_kernelILj256ELj256ELj2E21rocsparse_complex_numIfEEEviiiPKT2_S5_S5_PS3_S5_PKi,"axG",@progbits,_ZN9rocsparseL19gtsv_LBM_rhs_kernelILj256ELj256ELj2E21rocsparse_complex_numIfEEEviiiPKT2_S5_S5_PS3_S5_PKi,comdat
.Lfunc_end261:
	.size	_ZN9rocsparseL19gtsv_LBM_rhs_kernelILj256ELj256ELj2E21rocsparse_complex_numIfEEEviiiPKT2_S5_S5_PS3_S5_PKi, .Lfunc_end261-_ZN9rocsparseL19gtsv_LBM_rhs_kernelILj256ELj256ELj2E21rocsparse_complex_numIfEEEviiiPKT2_S5_S5_PS3_S5_PKi
                                        ; -- End function
	.set _ZN9rocsparseL19gtsv_LBM_rhs_kernelILj256ELj256ELj2E21rocsparse_complex_numIfEEEviiiPKT2_S5_S5_PS3_S5_PKi.num_vgpr, 66
	.set _ZN9rocsparseL19gtsv_LBM_rhs_kernelILj256ELj256ELj2E21rocsparse_complex_numIfEEEviiiPKT2_S5_S5_PS3_S5_PKi.num_agpr, 0
	.set _ZN9rocsparseL19gtsv_LBM_rhs_kernelILj256ELj256ELj2E21rocsparse_complex_numIfEEEviiiPKT2_S5_S5_PS3_S5_PKi.numbered_sgpr, 30
	.set _ZN9rocsparseL19gtsv_LBM_rhs_kernelILj256ELj256ELj2E21rocsparse_complex_numIfEEEviiiPKT2_S5_S5_PS3_S5_PKi.num_named_barrier, 0
	.set _ZN9rocsparseL19gtsv_LBM_rhs_kernelILj256ELj256ELj2E21rocsparse_complex_numIfEEEviiiPKT2_S5_S5_PS3_S5_PKi.private_seg_size, 0
	.set _ZN9rocsparseL19gtsv_LBM_rhs_kernelILj256ELj256ELj2E21rocsparse_complex_numIfEEEviiiPKT2_S5_S5_PS3_S5_PKi.uses_vcc, 1
	.set _ZN9rocsparseL19gtsv_LBM_rhs_kernelILj256ELj256ELj2E21rocsparse_complex_numIfEEEviiiPKT2_S5_S5_PS3_S5_PKi.uses_flat_scratch, 0
	.set _ZN9rocsparseL19gtsv_LBM_rhs_kernelILj256ELj256ELj2E21rocsparse_complex_numIfEEEviiiPKT2_S5_S5_PS3_S5_PKi.has_dyn_sized_stack, 0
	.set _ZN9rocsparseL19gtsv_LBM_rhs_kernelILj256ELj256ELj2E21rocsparse_complex_numIfEEEviiiPKT2_S5_S5_PS3_S5_PKi.has_recursion, 0
	.set _ZN9rocsparseL19gtsv_LBM_rhs_kernelILj256ELj256ELj2E21rocsparse_complex_numIfEEEviiiPKT2_S5_S5_PS3_S5_PKi.has_indirect_call, 0
	.section	.AMDGPU.csdata,"",@progbits
; Kernel info:
; codeLenInByte = 2612
; TotalNumSgprs: 36
; NumVgprs: 66
; NumAgprs: 0
; TotalNumVgprs: 66
; ScratchSize: 0
; MemoryBound: 0
; FloatMode: 240
; IeeeMode: 1
; LDSByteSize: 0 bytes/workgroup (compile time only)
; SGPRBlocks: 4
; VGPRBlocks: 8
; NumSGPRsForWavesPerEU: 36
; NumVGPRsForWavesPerEU: 66
; AccumOffset: 68
; Occupancy: 7
; WaveLimiterHint : 0
; COMPUTE_PGM_RSRC2:SCRATCH_EN: 0
; COMPUTE_PGM_RSRC2:USER_SGPR: 2
; COMPUTE_PGM_RSRC2:TRAP_HANDLER: 0
; COMPUTE_PGM_RSRC2:TGID_X_EN: 1
; COMPUTE_PGM_RSRC2:TGID_Y_EN: 1
; COMPUTE_PGM_RSRC2:TGID_Z_EN: 0
; COMPUTE_PGM_RSRC2:TIDIG_COMP_CNT: 0
; COMPUTE_PGM_RSRC3_GFX90A:ACCUM_OFFSET: 16
; COMPUTE_PGM_RSRC3_GFX90A:TG_SPLIT: 0
	.section	.text._ZN9rocsparseL19gtsv_LBM_rhs_kernelILj256ELj256ELj1E21rocsparse_complex_numIfEEEviiiPKT2_S5_S5_PS3_S5_PKi,"axG",@progbits,_ZN9rocsparseL19gtsv_LBM_rhs_kernelILj256ELj256ELj1E21rocsparse_complex_numIfEEEviiiPKT2_S5_S5_PS3_S5_PKi,comdat
	.globl	_ZN9rocsparseL19gtsv_LBM_rhs_kernelILj256ELj256ELj1E21rocsparse_complex_numIfEEEviiiPKT2_S5_S5_PS3_S5_PKi ; -- Begin function _ZN9rocsparseL19gtsv_LBM_rhs_kernelILj256ELj256ELj1E21rocsparse_complex_numIfEEEviiiPKT2_S5_S5_PS3_S5_PKi
	.p2align	8
	.type	_ZN9rocsparseL19gtsv_LBM_rhs_kernelILj256ELj256ELj1E21rocsparse_complex_numIfEEEviiiPKT2_S5_S5_PS3_S5_PKi,@function
_ZN9rocsparseL19gtsv_LBM_rhs_kernelILj256ELj256ELj1E21rocsparse_complex_numIfEEEviiiPKT2_S5_S5_PS3_S5_PKi: ; @_ZN9rocsparseL19gtsv_LBM_rhs_kernelILj256ELj256ELj1E21rocsparse_complex_numIfEEEviiiPKT2_S5_S5_PS3_S5_PKi
; %bb.0:
	s_load_dword s24, s[0:1], 0x0
	v_lshl_or_b32 v0, s2, 8, v0
	s_waitcnt lgkmcnt(0)
	s_lshr_b32 s22, s24, 8
	v_cmp_gt_i32_e32 vcc, s22, v0
	s_and_saveexec_b64 s[4:5], vcc
	s_cbranch_execz .LBB262_29
; %bb.1:
	s_load_dwordx4 s[8:11], s[0:1], 0x28
	s_load_dwordx2 s[6:7], s[0:1], 0x38
	s_cmp_lt_i32 s24, 1
	s_mul_i32 s23, s24, s3
	s_cbranch_scc1 .LBB262_21
; %bb.2:
	s_load_dwordx4 s[12:15], s[0:1], 0x10
	s_load_dwordx2 s[16:17], s[0:1], 0x20
	v_ashrrev_i32_e32 v1, 31, v0
	v_add_u32_e32 v25, s22, v0
	s_mul_i32 s25, s22, 0xff
	s_waitcnt lgkmcnt(0)
	v_lshl_add_u64 v[2:3], v[0:1], 3, s[14:15]
	global_load_dwordx2 v[4:5], v[2:3], off
	s_mul_i32 s26, s22, 0xfe
	s_lshl_b32 s27, s22, 1
	v_add_u32_e32 v34, s22, v25
	v_add_u32_e32 v35, s23, v25
	v_mov_b32_e32 v3, 0
	s_mov_b64 s[18:19], 0
	v_mov_b32_e32 v1, 0
	s_branch .LBB262_5
.LBB262_3:                              ;   in Loop: Header=BB262_5 Depth=1
	s_or_b64 exec, exec, s[4:5]
	v_mov_b32_e32 v17, v6
	v_pk_mul_f32 v[14:15], v[8:9], v[16:17] op_sel:[1,0]
	s_nop 0
	v_pk_fma_f32 v[6:7], v[6:7], v[8:9], v[14:15] op_sel_hi:[1,0,1]
	s_nop 0
	v_xor_b32_e32 v8, 0x80000000, v7
	v_mov_b32_e32 v9, v6
	v_pk_mul_f32 v[4:5], v[4:5], v[8:9] op_sel_hi:[0,1]
	v_pk_fma_f32 v[4:5], v[6:7], v[12:13], v[4:5] op_sel_hi:[1,0,1]
	v_mov_b32_e32 v12, s22
	v_pk_add_f32 v[4:5], v[10:11], v[4:5] neg_lo:[0,1] neg_hi:[0,1]
.LBB262_4:                              ;   in Loop: Header=BB262_5 Depth=1
	s_or_b64 exec, exec, s[2:3]
	v_add_u32_e32 v1, v12, v1
	v_cmp_le_i32_e32 vcc, s24, v1
	s_or_b64 s[18:19], vcc, s[18:19]
	s_andn2_b64 exec, exec, s[18:19]
	s_cbranch_execz .LBB262_20
.LBB262_5:                              ; =>This Inner Loop Header: Depth=1
	v_add_u32_e32 v16, v1, v0
	v_ashrrev_i32_e32 v17, 31, v16
	v_lshl_add_u64 v[6:7], v[16:17], 3, s[16:17]
	global_load_dwordx2 v[8:9], v[6:7], off
	v_cmp_gt_u32_e64 s[0:1], s25, v1
	v_add_u32_e32 v14, v25, v1
	v_mov_b32_e32 v6, 0
	v_mov_b32_e32 v7, 0
	s_and_saveexec_b64 s[2:3], s[0:1]
	s_cbranch_execz .LBB262_7
; %bb.6:                                ;   in Loop: Header=BB262_5 Depth=1
	v_ashrrev_i32_e32 v15, 31, v14
	v_lshl_add_u64 v[6:7], v[14:15], 3, s[12:13]
	global_load_dwordx2 v[6:7], v[6:7], off
.LBB262_7:                              ;   in Loop: Header=BB262_5 Depth=1
	s_or_b64 exec, exec, s[2:3]
	v_mov_b32_e32 v12, 0
	v_mov_b32_e32 v10, 0
	;; [unrolled: 1-line block ×3, first 2 shown]
	s_and_saveexec_b64 s[2:3], s[0:1]
	s_cbranch_execz .LBB262_9
; %bb.8:                                ;   in Loop: Header=BB262_5 Depth=1
	v_ashrrev_i32_e32 v15, 31, v14
	v_lshl_add_u64 v[10:11], v[14:15], 3, s[14:15]
	global_load_dwordx2 v[10:11], v[10:11], off
.LBB262_9:                              ;   in Loop: Header=BB262_5 Depth=1
	s_or_b64 exec, exec, s[2:3]
	v_mov_b32_e32 v13, 0
	s_and_saveexec_b64 s[2:3], s[0:1]
	s_cbranch_execz .LBB262_11
; %bb.10:                               ;   in Loop: Header=BB262_5 Depth=1
	v_ashrrev_i32_e32 v15, 31, v14
	v_lshl_add_u64 v[12:13], v[14:15], 3, s[16:17]
	global_load_dwordx2 v[12:13], v[12:13], off
.LBB262_11:                             ;   in Loop: Header=BB262_5 Depth=1
	s_or_b64 exec, exec, s[2:3]
	v_cmp_gt_u32_e64 s[2:3], s26, v1
	v_mov_b32_e32 v14, 0
	v_mov_b32_e32 v15, 0
	s_and_saveexec_b64 s[4:5], s[2:3]
	s_cbranch_execz .LBB262_13
; %bb.12:                               ;   in Loop: Header=BB262_5 Depth=1
	v_add_u32_e32 v14, v34, v1
	v_ashrrev_i32_e32 v15, 31, v14
	v_lshl_add_u64 v[14:15], v[14:15], 3, s[12:13]
	global_load_dwordx2 v[14:15], v[14:15], off
.LBB262_13:                             ;   in Loop: Header=BB262_5 Depth=1
	s_or_b64 exec, exec, s[4:5]
	v_lshl_add_u64 v[18:19], v[16:17], 2, s[6:7]
	global_load_dword v17, v[18:19], off
	v_cmp_ne_u32_e32 vcc, s25, v1
	v_add_u32_e32 v2, s23, v16
	s_waitcnt vmcnt(1)
	v_xor_b32_e32 v16, 0x80000000, v7
	s_waitcnt vmcnt(0)
	v_cmp_ne_u32_e64 s[4:5], 1, v17
	s_and_b64 s[4:5], vcc, s[4:5]
	s_and_saveexec_b64 s[20:21], s[4:5]
	s_xor_b64 s[4:5], exec, s[20:21]
	s_cbranch_execz .LBB262_17
; %bb.14:                               ;   in Loop: Header=BB262_5 Depth=1
	v_lshl_add_u64 v[36:37], v[2:3], 3, s[8:9]
	v_add_u32_e32 v2, v35, v1
	global_load_dwordx2 v[30:31], v[36:37], off
	v_lshl_add_u64 v[38:39], v[2:3], 3, s[8:9]
	global_load_dwordx2 v[40:41], v[38:39], off
	v_xor_b32_e32 v18, 0x80000000, v5
	v_mov_b32_e32 v19, v4
	v_mov_b32_e32 v17, v6
	v_pk_mul_f32 v[26:27], v[10:11], v[18:19] op_sel:[1,0]
	v_pk_mul_f32 v[16:17], v[8:9], v[16:17] op_sel:[1,0]
	v_pk_fma_f32 v[26:27], v[4:5], v[10:11], v[26:27] op_sel_hi:[1,0,1]
	v_pk_fma_f32 v[16:17], v[6:7], v[8:9], v[16:17] op_sel_hi:[1,0,1]
	v_xor_b32_e32 v42, 0x80000000, v11
	v_pk_add_f32 v[16:17], v[26:27], v[16:17] neg_lo:[0,1] neg_hi:[0,1]
	v_mov_b32_e32 v43, v10
	v_mul_f32_e32 v24, v17, v17
	v_fmac_f32_e32 v24, v16, v16
	v_div_scale_f32 v27, s[20:21], v24, v24, 1.0
	v_rcp_f32_e32 v28, v27
	v_fma_f32 v26, 0, v17, v16
	v_fma_f32 v17, v16, 0, -v17
	v_div_scale_f32 v16, vcc, 1.0, v24, 1.0
	v_fma_f32 v29, -v27, v28, 1.0
	v_fmac_f32_e32 v28, v29, v28
	v_mul_f32_e32 v29, v16, v28
	v_fma_f32 v32, -v27, v29, v16
	v_fmac_f32_e32 v29, v32, v28
	v_fma_f32 v16, -v27, v29, v16
	v_div_fmas_f32 v16, v16, v28, v29
	v_div_fixup_f32 v24, v16, v24, 1.0
	v_mul_f32_e32 v16, v26, v24
	v_mul_f32_e32 v24, v17, v24
	v_xor_b32_e32 v44, 0x80000000, v9
	v_pk_add_f32 v[22:23], v[6:7], 0 neg_lo:[1,1] neg_hi:[1,1]
	v_mov_b32_e32 v45, v8
	v_pk_mov_b32 v[22:23], v[6:7], v[22:23] op_sel:[1,0]
	v_mov_b32_e32 v2, v3
	v_mov_b32_e32 v20, v4
	;; [unrolled: 1-line block ×3, first 2 shown]
	s_waitcnt vmcnt(1)
	v_mul_f32_e64 v26, v24, -v31
	v_mul_f32_e32 v28, v24, v30
	v_fmac_f32_e32 v26, v30, v16
	v_fmac_f32_e32 v28, v31, v16
	s_waitcnt vmcnt(0)
	v_mul_f32_e64 v30, v24, -v41
	v_mul_f32_e32 v32, v24, v40
	v_fmac_f32_e32 v30, v40, v16
	v_fmac_f32_e32 v32, v41, v16
	v_pk_mul_f32 v[40:41], v[28:29], v[42:43] op_sel_hi:[0,1]
	v_pk_fma_f32 v[10:11], v[10:11], v[26:27], v[40:41] op_sel_hi:[1,0,1]
	v_pk_mul_f32 v[40:41], v[32:33], v[44:45] op_sel_hi:[0,1]
	v_pk_mul_f32 v[42:43], v[22:23], v[28:29] op_sel_hi:[1,0]
	;; [unrolled: 1-line block ×3, first 2 shown]
	v_pk_fma_f32 v[8:9], v[8:9], v[30:31], v[40:41] op_sel_hi:[1,0,1]
	v_pk_fma_f32 v[42:43], v[6:7], v[26:27], v[42:43] op_sel_hi:[1,0,1] neg_lo:[1,0,0] neg_hi:[1,0,0]
	v_pk_fma_f32 v[40:41], v[4:5], v[30:31], v[44:45] op_sel_hi:[1,0,1]
	v_pk_add_f32 v[8:9], v[10:11], v[8:9] neg_lo:[0,1] neg_hi:[0,1]
	v_pk_add_f32 v[10:11], v[42:43], v[40:41]
	global_store_dwordx2 v[36:37], v[8:9], off
	global_store_dwordx2 v[38:39], v[10:11], off
	v_mov_b64_e32 v[8:9], v[2:3]
	s_and_saveexec_b64 s[20:21], s[2:3]
	s_cbranch_execz .LBB262_16
; %bb.15:                               ;   in Loop: Header=BB262_5 Depth=1
	v_add_u32_e32 v8, v34, v1
	v_add_u32_e32 v2, s23, v8
	v_ashrrev_i32_e32 v9, 31, v8
	v_lshl_add_u64 v[10:11], v[2:3], 3, s[8:9]
	v_lshl_add_u64 v[8:9], v[8:9], 3, s[14:15]
	global_load_dwordx2 v[36:37], v[10:11], off
	v_mov_b32_e32 v2, v15
	global_load_dwordx2 v[8:9], v[8:9], off
	v_xor_b32_e32 v38, 0x80000000, v15
	v_mov_b32_e32 v39, v14
	v_pk_mul_f32 v[22:23], v[2:3], v[22:23] op_sel_hi:[0,1]
	v_pk_mul_f32 v[18:19], v[2:3], v[18:19] op_sel_hi:[0,1]
	v_pk_mul_f32 v[38:39], v[4:5], v[38:39] op_sel:[1,0]
	v_pk_fma_f32 v[6:7], v[6:7], v[14:15], v[22:23] op_sel_hi:[1,0,1] neg_lo:[1,0,0] neg_hi:[1,0,0]
	v_pk_fma_f32 v[4:5], v[4:5], v[14:15], v[18:19] op_sel_hi:[1,0,1]
	v_pk_fma_f32 v[14:15], v[14:15], v[20:21], v[38:39]
	v_mov_b32_e32 v40, v13
	v_pk_add_f32 v[18:19], v[6:7], 0 neg_lo:[1,1] neg_hi:[1,1]
	v_xor_b32_e32 v22, 0x80000000, v15
	v_mov_b32_e32 v23, v14
	v_mov_b32_e32 v29, v28
	;; [unrolled: 1-line block ×3, first 2 shown]
	v_xor_b32_e32 v20, 0x80000000, v5
	v_mov_b32_e32 v21, v4
	v_pk_mov_b32 v[18:19], v[6:7], v[18:19] op_sel:[1,0]
	v_pk_mul_f32 v[22:23], v[40:41], v[22:23] op_sel_hi:[0,1]
	v_mov_b32_e32 v27, v26
	v_mov_b32_e32 v31, v30
	v_pk_mul_f32 v[20:21], v[32:33], v[20:21]
	v_pk_mul_f32 v[18:19], v[18:19], v[28:29]
	v_pk_fma_f32 v[12:13], v[14:15], v[12:13], v[22:23] op_sel_hi:[1,0,1]
	v_pk_fma_f32 v[4:5], v[4:5], v[30:31], v[20:21]
	v_pk_fma_f32 v[6:7], v[6:7], v[26:27], v[18:19] neg_lo:[1,0,0] neg_hi:[1,0,0]
	v_xor_b32_e32 v14, 0x80000000, v13
	v_mov_b32_e32 v15, v12
	v_pk_add_f32 v[4:5], v[6:7], v[4:5] neg_lo:[0,1] neg_hi:[0,1]
	v_pk_mul_f32 v[6:7], v[24:25], v[14:15] op_sel_hi:[0,1]
	v_pk_fma_f32 v[6:7], v[12:13], v[16:17], v[6:7] op_sel_hi:[1,0,1]
	s_waitcnt vmcnt(1)
	v_pk_add_f32 v[4:5], v[4:5], v[36:37]
	global_store_dwordx2 v[10:11], v[4:5], off
	s_waitcnt vmcnt(1)
	v_pk_add_f32 v[8:9], v[8:9], v[6:7] neg_lo:[0,1] neg_hi:[0,1]
.LBB262_16:                             ;   in Loop: Header=BB262_5 Depth=1
	s_or_b64 exec, exec, s[20:21]
	v_mov_b64_e32 v[4:5], v[8:9]
                                        ; implicit-def: $vgpr16
                                        ; implicit-def: $vgpr6
                                        ; implicit-def: $vgpr8_vgpr9
                                        ; implicit-def: $vgpr10_vgpr11
.LBB262_17:                             ;   in Loop: Header=BB262_5 Depth=1
	s_or_saveexec_b64 s[2:3], s[4:5]
	v_mov_b32_e32 v12, s27
	s_xor_b64 exec, exec, s[2:3]
	s_cbranch_execz .LBB262_4
; %bb.18:                               ;   in Loop: Header=BB262_5 Depth=1
	v_lshl_add_u64 v[18:19], v[2:3], 3, s[8:9]
	global_load_dwordx2 v[14:15], v[18:19], off
	v_mul_f32_e32 v2, v5, v5
	v_fmac_f32_e32 v2, v4, v4
	v_div_scale_f32 v12, s[4:5], v2, v2, 1.0
	v_rcp_f32_e32 v13, v12
	s_nop 0
	v_fma_f32 v17, -v12, v13, 1.0
	v_fmac_f32_e32 v13, v17, v13
	v_div_scale_f32 v17, vcc, 1.0, v2, 1.0
	v_mul_f32_e32 v20, v17, v13
	v_fma_f32 v21, -v12, v20, v17
	v_fmac_f32_e32 v20, v21, v13
	v_fma_f32 v12, -v12, v20, v17
	v_div_fmas_f32 v12, v12, v13, v20
	v_div_fixup_f32 v2, v12, v2, 1.0
	v_fma_f32 v12, 0, v5, v4
	v_fma_f32 v4, v4, 0, -v5
	v_mul_f32_e32 v4, v4, v2
	v_mul_f32_e32 v12, v12, v2
	s_waitcnt vmcnt(0)
	v_pk_mul_f32 v[20:21], v[4:5], v[14:15] op_sel:[0,1] op_sel_hi:[0,0] neg_lo:[0,1]
	v_pk_fma_f32 v[14:15], v[14:15], v[12:13], v[20:21] op_sel_hi:[1,0,1]
	global_store_dwordx2 v[18:19], v[14:15], off
	s_and_saveexec_b64 s[4:5], s[0:1]
	s_cbranch_execz .LBB262_3
; %bb.19:                               ;   in Loop: Header=BB262_5 Depth=1
	v_add_u32_e32 v2, v35, v1
	v_lshl_add_u64 v[18:19], v[2:3], 3, s[8:9]
	global_load_dwordx2 v[20:21], v[18:19], off
	v_xor_b32_e32 v22, 0x80000000, v6
	v_mov_b32_e32 v23, v16
	v_mov_b32_e32 v26, v7
	v_mov_b32_e32 v27, v22
	s_waitcnt vmcnt(0)
	v_pk_fma_f32 v[20:21], v[22:23], v[14:15], v[20:21] op_sel_hi:[1,0,1]
	s_nop 0
	v_pk_fma_f32 v[14:15], v[26:27], v[14:15], v[20:21] op_sel:[0,1,0]
	global_store_dwordx2 v[18:19], v[14:15], off
	s_branch .LBB262_3
.LBB262_20:
	s_or_b64 exec, exec, s[18:19]
	s_branch .LBB262_22
.LBB262_21:
	v_mov_b32_e32 v1, 0
.LBB262_22:
	v_subrev_u32_e32 v1, s22, v1
	v_add_u32_e32 v2, v1, v0
	v_ashrrev_i32_e32 v3, 31, v2
	s_waitcnt lgkmcnt(0)
	v_lshl_add_u64 v[2:3], v[2:3], 2, s[6:7]
	buffer_wbl2 sc1
	s_waitcnt vmcnt(0)
	buffer_inv sc1
	global_load_dword v2, v[2:3], off
	s_waitcnt vmcnt(0)
	v_mul_lo_u32 v2, v2, s22
	v_sub_u32_e32 v1, v1, v2
	v_cmp_lt_i32_e32 vcc, -1, v1
	s_and_b64 exec, exec, vcc
	s_cbranch_execz .LBB262_29
; %bb.23:
	s_add_i32 s0, s23, s22
	v_add_u32_e32 v8, s0, v0
	s_lshl_b32 s4, s22, 1
	s_mov_b64 s[0:1], 0
	v_mov_b32_e32 v3, 0
	s_branch .LBB262_25
.LBB262_24:                             ;   in Loop: Header=BB262_25 Depth=1
	s_or_b64 exec, exec, s[2:3]
	v_sub_u32_e32 v1, v1, v2
	v_cmp_gt_i32_e32 vcc, 0, v1
	s_or_b64 s[0:1], vcc, s[0:1]
	s_andn2_b64 exec, exec, s[0:1]
	s_cbranch_execz .LBB262_29
.LBB262_25:                             ; =>This Inner Loop Header: Depth=1
	v_add_u32_e32 v6, v1, v0
	v_ashrrev_i32_e32 v7, 31, v6
	s_waitcnt vmcnt(0)
	v_lshl_add_u64 v[4:5], v[6:7], 2, s[6:7]
	global_load_dword v2, v[4:5], off
	v_lshl_add_u64 v[4:5], v[6:7], 3, s[10:11]
	global_load_dwordx2 v[4:5], v[4:5], off
	s_waitcnt vmcnt(1)
	v_cmp_ne_u32_e32 vcc, 1, v2
	s_and_saveexec_b64 s[2:3], vcc
	s_xor_b64 s[2:3], exec, s[2:3]
	s_cbranch_execz .LBB262_27
; %bb.26:                               ;   in Loop: Header=BB262_25 Depth=1
	v_add_u32_e32 v2, v8, v1
	v_lshl_add_u64 v[10:11], v[2:3], 3, s[8:9]
	v_add_u32_e32 v2, s23, v6
	v_lshl_add_u64 v[6:7], v[2:3], 3, s[8:9]
	global_load_dwordx2 v[12:13], v[10:11], off
	global_load_dwordx2 v[14:15], v[6:7], off
	v_subrev_u32_e32 v2, s22, v1
	s_waitcnt vmcnt(2)
	v_pk_add_f32 v[10:11], v[4:5], 0 neg_lo:[1,1] neg_hi:[1,1]
	v_add_u32_e32 v16, v2, v0
	v_pk_mov_b32 v[10:11], v[4:5], v[10:11] op_sel:[1,0]
	v_ashrrev_i32_e32 v17, 31, v16
	v_add_u32_e32 v2, s23, v16
	v_lshl_add_u64 v[16:17], v[16:17], 3, s[10:11]
	v_lshl_add_u64 v[18:19], v[2:3], 3, s[8:9]
	global_load_dwordx2 v[16:17], v[16:17], off
	s_waitcnt vmcnt(1)
	v_pk_fma_f32 v[4:5], v[4:5], v[12:13], v[14:15] op_sel_hi:[1,0,1] neg_lo:[1,0,0] neg_hi:[1,0,0]
	s_nop 0
	v_pk_fma_f32 v[4:5], v[10:11], v[12:13], v[4:5] op_sel:[0,1,0]
	global_store_dwordx2 v[6:7], v[4:5], off
	global_load_dwordx2 v[4:5], v[18:19], off
	s_waitcnt vmcnt(2)
	v_pk_add_f32 v[6:7], v[16:17], 0 neg_lo:[1,1] neg_hi:[1,1]
	s_nop 0
	v_pk_mov_b32 v[6:7], v[16:17], v[6:7] op_sel:[1,0]
	s_waitcnt vmcnt(0)
	v_pk_fma_f32 v[4:5], v[16:17], v[12:13], v[4:5] op_sel_hi:[1,0,1] neg_lo:[1,0,0] neg_hi:[1,0,0]
	s_nop 0
	v_pk_fma_f32 v[4:5], v[6:7], v[12:13], v[4:5] op_sel:[0,1,0]
	global_store_dwordx2 v[18:19], v[4:5], off
                                        ; implicit-def: $vgpr6
                                        ; implicit-def: $vgpr4_vgpr5
.LBB262_27:                             ;   in Loop: Header=BB262_25 Depth=1
	s_or_saveexec_b64 s[2:3], s[2:3]
	v_mov_b32_e32 v2, s4
	s_xor_b64 exec, exec, s[2:3]
	s_cbranch_execz .LBB262_24
; %bb.28:                               ;   in Loop: Header=BB262_25 Depth=1
	v_add_u32_e32 v2, v8, v1
	v_lshl_add_u64 v[10:11], v[2:3], 3, s[8:9]
	v_add_u32_e32 v2, s23, v6
	v_lshl_add_u64 v[6:7], v[2:3], 3, s[8:9]
	global_load_dwordx2 v[12:13], v[10:11], off
	global_load_dwordx2 v[14:15], v[6:7], off
	s_waitcnt vmcnt(2)
	v_pk_add_f32 v[10:11], v[4:5], 0 neg_lo:[1,1] neg_hi:[1,1]
	v_mov_b32_e32 v2, s22
	v_pk_mov_b32 v[10:11], v[4:5], v[10:11] op_sel:[1,0]
	s_waitcnt vmcnt(0)
	v_pk_fma_f32 v[4:5], v[4:5], v[12:13], v[14:15] op_sel_hi:[1,0,1] neg_lo:[1,0,0] neg_hi:[1,0,0]
	s_nop 0
	v_pk_fma_f32 v[4:5], v[10:11], v[12:13], v[4:5] op_sel:[0,1,0]
	global_store_dwordx2 v[6:7], v[4:5], off
	s_branch .LBB262_24
.LBB262_29:
	s_endpgm
	.section	.rodata,"a",@progbits
	.p2align	6, 0x0
	.amdhsa_kernel _ZN9rocsparseL19gtsv_LBM_rhs_kernelILj256ELj256ELj1E21rocsparse_complex_numIfEEEviiiPKT2_S5_S5_PS3_S5_PKi
		.amdhsa_group_segment_fixed_size 0
		.amdhsa_private_segment_fixed_size 0
		.amdhsa_kernarg_size 64
		.amdhsa_user_sgpr_count 2
		.amdhsa_user_sgpr_dispatch_ptr 0
		.amdhsa_user_sgpr_queue_ptr 0
		.amdhsa_user_sgpr_kernarg_segment_ptr 1
		.amdhsa_user_sgpr_dispatch_id 0
		.amdhsa_user_sgpr_kernarg_preload_length 0
		.amdhsa_user_sgpr_kernarg_preload_offset 0
		.amdhsa_user_sgpr_private_segment_size 0
		.amdhsa_uses_dynamic_stack 0
		.amdhsa_enable_private_segment 0
		.amdhsa_system_sgpr_workgroup_id_x 1
		.amdhsa_system_sgpr_workgroup_id_y 1
		.amdhsa_system_sgpr_workgroup_id_z 0
		.amdhsa_system_sgpr_workgroup_info 0
		.amdhsa_system_vgpr_workitem_id 0
		.amdhsa_next_free_vgpr 46
		.amdhsa_next_free_sgpr 28
		.amdhsa_accum_offset 48
		.amdhsa_reserve_vcc 1
		.amdhsa_float_round_mode_32 0
		.amdhsa_float_round_mode_16_64 0
		.amdhsa_float_denorm_mode_32 3
		.amdhsa_float_denorm_mode_16_64 3
		.amdhsa_dx10_clamp 1
		.amdhsa_ieee_mode 1
		.amdhsa_fp16_overflow 0
		.amdhsa_tg_split 0
		.amdhsa_exception_fp_ieee_invalid_op 0
		.amdhsa_exception_fp_denorm_src 0
		.amdhsa_exception_fp_ieee_div_zero 0
		.amdhsa_exception_fp_ieee_overflow 0
		.amdhsa_exception_fp_ieee_underflow 0
		.amdhsa_exception_fp_ieee_inexact 0
		.amdhsa_exception_int_div_zero 0
	.end_amdhsa_kernel
	.section	.text._ZN9rocsparseL19gtsv_LBM_rhs_kernelILj256ELj256ELj1E21rocsparse_complex_numIfEEEviiiPKT2_S5_S5_PS3_S5_PKi,"axG",@progbits,_ZN9rocsparseL19gtsv_LBM_rhs_kernelILj256ELj256ELj1E21rocsparse_complex_numIfEEEviiiPKT2_S5_S5_PS3_S5_PKi,comdat
.Lfunc_end262:
	.size	_ZN9rocsparseL19gtsv_LBM_rhs_kernelILj256ELj256ELj1E21rocsparse_complex_numIfEEEviiiPKT2_S5_S5_PS3_S5_PKi, .Lfunc_end262-_ZN9rocsparseL19gtsv_LBM_rhs_kernelILj256ELj256ELj1E21rocsparse_complex_numIfEEEviiiPKT2_S5_S5_PS3_S5_PKi
                                        ; -- End function
	.set _ZN9rocsparseL19gtsv_LBM_rhs_kernelILj256ELj256ELj1E21rocsparse_complex_numIfEEEviiiPKT2_S5_S5_PS3_S5_PKi.num_vgpr, 46
	.set _ZN9rocsparseL19gtsv_LBM_rhs_kernelILj256ELj256ELj1E21rocsparse_complex_numIfEEEviiiPKT2_S5_S5_PS3_S5_PKi.num_agpr, 0
	.set _ZN9rocsparseL19gtsv_LBM_rhs_kernelILj256ELj256ELj1E21rocsparse_complex_numIfEEEviiiPKT2_S5_S5_PS3_S5_PKi.numbered_sgpr, 28
	.set _ZN9rocsparseL19gtsv_LBM_rhs_kernelILj256ELj256ELj1E21rocsparse_complex_numIfEEEviiiPKT2_S5_S5_PS3_S5_PKi.num_named_barrier, 0
	.set _ZN9rocsparseL19gtsv_LBM_rhs_kernelILj256ELj256ELj1E21rocsparse_complex_numIfEEEviiiPKT2_S5_S5_PS3_S5_PKi.private_seg_size, 0
	.set _ZN9rocsparseL19gtsv_LBM_rhs_kernelILj256ELj256ELj1E21rocsparse_complex_numIfEEEviiiPKT2_S5_S5_PS3_S5_PKi.uses_vcc, 1
	.set _ZN9rocsparseL19gtsv_LBM_rhs_kernelILj256ELj256ELj1E21rocsparse_complex_numIfEEEviiiPKT2_S5_S5_PS3_S5_PKi.uses_flat_scratch, 0
	.set _ZN9rocsparseL19gtsv_LBM_rhs_kernelILj256ELj256ELj1E21rocsparse_complex_numIfEEEviiiPKT2_S5_S5_PS3_S5_PKi.has_dyn_sized_stack, 0
	.set _ZN9rocsparseL19gtsv_LBM_rhs_kernelILj256ELj256ELj1E21rocsparse_complex_numIfEEEviiiPKT2_S5_S5_PS3_S5_PKi.has_recursion, 0
	.set _ZN9rocsparseL19gtsv_LBM_rhs_kernelILj256ELj256ELj1E21rocsparse_complex_numIfEEEviiiPKT2_S5_S5_PS3_S5_PKi.has_indirect_call, 0
	.section	.AMDGPU.csdata,"",@progbits
; Kernel info:
; codeLenInByte = 1988
; TotalNumSgprs: 34
; NumVgprs: 46
; NumAgprs: 0
; TotalNumVgprs: 46
; ScratchSize: 0
; MemoryBound: 0
; FloatMode: 240
; IeeeMode: 1
; LDSByteSize: 0 bytes/workgroup (compile time only)
; SGPRBlocks: 4
; VGPRBlocks: 5
; NumSGPRsForWavesPerEU: 34
; NumVGPRsForWavesPerEU: 46
; AccumOffset: 48
; Occupancy: 8
; WaveLimiterHint : 0
; COMPUTE_PGM_RSRC2:SCRATCH_EN: 0
; COMPUTE_PGM_RSRC2:USER_SGPR: 2
; COMPUTE_PGM_RSRC2:TRAP_HANDLER: 0
; COMPUTE_PGM_RSRC2:TGID_X_EN: 1
; COMPUTE_PGM_RSRC2:TGID_Y_EN: 1
; COMPUTE_PGM_RSRC2:TGID_Z_EN: 0
; COMPUTE_PGM_RSRC2:TIDIG_COMP_CNT: 0
; COMPUTE_PGM_RSRC3_GFX90A:ACCUM_OFFSET: 11
; COMPUTE_PGM_RSRC3_GFX90A:TG_SPLIT: 0
	.section	.text._ZN9rocsparseL29gtsv_spike_block_level_kernelILj256ELj256E21rocsparse_complex_numIfEEEviiiPT1_PKS3_S6_S4_S4_S4_S4_S4_,"axG",@progbits,_ZN9rocsparseL29gtsv_spike_block_level_kernelILj256ELj256E21rocsparse_complex_numIfEEEviiiPT1_PKS3_S6_S4_S4_S4_S4_S4_,comdat
	.globl	_ZN9rocsparseL29gtsv_spike_block_level_kernelILj256ELj256E21rocsparse_complex_numIfEEEviiiPT1_PKS3_S6_S4_S4_S4_S4_S4_ ; -- Begin function _ZN9rocsparseL29gtsv_spike_block_level_kernelILj256ELj256E21rocsparse_complex_numIfEEEviiiPT1_PKS3_S6_S4_S4_S4_S4_S4_
	.p2align	8
	.type	_ZN9rocsparseL29gtsv_spike_block_level_kernelILj256ELj256E21rocsparse_complex_numIfEEEviiiPT1_PKS3_S6_S4_S4_S4_S4_S4_,@function
_ZN9rocsparseL29gtsv_spike_block_level_kernelILj256ELj256E21rocsparse_complex_numIfEEEviiiPT1_PKS3_S6_S4_S4_S4_S4_S4_: ; @_ZN9rocsparseL29gtsv_spike_block_level_kernelILj256ELj256E21rocsparse_complex_numIfEEEviiiPT1_PKS3_S6_S4_S4_S4_S4_S4_
; %bb.0:
	s_load_dword s14, s[0:1], 0x0
	s_load_dwordx2 s[8:9], s[0:1], 0x18
	v_lshl_or_b32 v2, s2, 8, v0
	v_mov_b32_e32 v4, 0
	v_mov_b32_e32 v8, 0
	s_waitcnt lgkmcnt(0)
	s_lshr_b32 s19, s14, 8
	v_cmp_gt_i32_e64 s[4:5], s19, v2
	v_mov_b32_e32 v9, 0
	s_and_saveexec_b64 s[6:7], s[4:5]
	s_cbranch_execz .LBB263_2
; %bb.1:
	v_ashrrev_i32_e32 v3, 31, v2
	v_lshl_add_u64 v[6:7], v[2:3], 3, s[8:9]
	global_load_dwordx2 v[8:9], v[6:7], off
.LBB263_2:
	s_or_b64 exec, exec, s[6:7]
	s_load_dwordx2 s[6:7], s[0:1], 0x20
	v_lshlrev_b32_e32 v1, 3, v0
	v_or_b32_e32 v6, 0x1000, v1
	s_mul_i32 s18, s19, 0xff
	v_mov_b32_e32 v5, 0
	s_waitcnt vmcnt(0)
	ds_write_b64 v1, v[8:9] offset:4096
	s_and_saveexec_b64 s[10:11], s[4:5]
	s_cbranch_execz .LBB263_4
; %bb.3:
	s_mul_i32 s12, s19, 0xff
	v_add_u32_e32 v4, s12, v2
	v_mov_b32_e32 v5, 0
	v_lshl_add_u64 v[4:5], v[4:5], 3, s[8:9]
	global_load_dwordx2 v[4:5], v[4:5], off
.LBB263_4:
	s_or_b64 exec, exec, s[10:11]
	s_waitcnt vmcnt(0)
	ds_write_b64 v6, v[4:5] offset:2048
	v_mov_b32_e32 v4, 0
	v_mov_b32_e32 v8, 0
	;; [unrolled: 1-line block ×3, first 2 shown]
	s_and_saveexec_b64 s[8:9], s[4:5]
	s_cbranch_execz .LBB263_6
; %bb.5:
	v_ashrrev_i32_e32 v3, 31, v2
	s_waitcnt lgkmcnt(0)
	v_lshl_add_u64 v[8:9], v[2:3], 3, s[6:7]
	global_load_dwordx2 v[8:9], v[8:9], off
.LBB263_6:
	s_or_b64 exec, exec, s[8:9]
	s_load_dwordx2 s[12:13], s[0:1], 0x10
	v_mov_b32_e32 v5, 0
	s_waitcnt vmcnt(0)
	ds_write_b64 v1, v[8:9]
	s_and_saveexec_b64 s[8:9], s[4:5]
	s_cbranch_execz .LBB263_8
; %bb.7:
	s_mul_i32 s10, s19, 0xff
	v_add_u32_e32 v4, s10, v2
	v_mov_b32_e32 v5, 0
	s_waitcnt lgkmcnt(0)
	v_lshl_add_u64 v[4:5], v[4:5], 3, s[6:7]
	global_load_dwordx2 v[4:5], v[4:5], off
.LBB263_8:
	s_or_b64 exec, exec, s[8:9]
	s_mul_i32 s14, s14, s3
	s_waitcnt vmcnt(0)
	ds_write_b64 v1, v[4:5] offset:2048
	v_mov_b32_e32 v8, 0
	v_add_u32_e32 v4, s14, v2
	v_mov_b32_e32 v10, 0
	v_mov_b32_e32 v11, 0
	s_waitcnt lgkmcnt(0)
	s_and_saveexec_b64 s[6:7], s[4:5]
	s_cbranch_execz .LBB263_10
; %bb.9:
	v_ashrrev_i32_e32 v5, 31, v4
	v_lshl_add_u64 v[10:11], v[4:5], 3, s[12:13]
	global_load_dwordx2 v[10:11], v[10:11], off
.LBB263_10:
	s_or_b64 exec, exec, s[6:7]
	v_or_b32_e32 v5, 0x2000, v1
	v_mov_b32_e32 v9, 0
	s_waitcnt vmcnt(0)
	ds_write_b64 v1, v[10:11] offset:8192
	s_and_saveexec_b64 s[6:7], s[4:5]
	s_cbranch_execz .LBB263_12
; %bb.11:
	s_mul_i32 s8, s19, 0xff
	s_add_i32 s8, s8, s14
	v_add_u32_e32 v8, s8, v2
	v_mov_b32_e32 v9, 0
	v_lshl_add_u64 v[8:9], v[8:9], 3, s[12:13]
	global_load_dwordx2 v[8:9], v[8:9], off
.LBB263_12:
	s_or_b64 exec, exec, s[6:7]
	s_movk_i32 s6, 0x80
	v_cmp_gt_u32_e32 vcc, s6, v0
	s_waitcnt vmcnt(0)
	ds_write_b64 v5, v[8:9] offset:2048
	s_waitcnt lgkmcnt(0)
	s_barrier
	s_and_saveexec_b64 s[6:7], vcc
	s_cbranch_execz .LBB263_14
; %bb.13:
	v_add_u32_e32 v3, v6, v1
	ds_read2_b64 v[8:11], v3 offset1:1
	v_add_u32_e32 v7, v1, v1
	ds_read_b128 v[12:15], v7 offset:2048
	ds_read_b64 v[36:37], v3 offset:2056
	s_mov_b64 s[8:9], 0x3f800000
	v_add_u32_e32 v47, v5, v1
	s_waitcnt lgkmcnt(2)
	v_xor_b32_e32 v20, 0x80000000, v11
	v_mov_b32_e32 v21, v10
	s_waitcnt lgkmcnt(1)
	v_pk_mul_f32 v[20:21], v[12:13], v[20:21] op_sel:[1,0]
	ds_read_b128 v[16:19], v7
	v_pk_fma_f32 v[12:13], v[10:11], v[12:13], v[20:21] op_sel_hi:[1,0,1]
	v_add_u32_e32 v28, 0x800, v47
	v_pk_add_f32 v[12:13], v[12:13], s[8:9] neg_lo:[1,0] neg_hi:[1,0]
	s_nop 0
	v_mul_f32_e32 v20, v13, v13
	v_fmac_f32_e32 v20, v12, v12
	v_div_scale_f32 v21, s[8:9], v20, v20, 1.0
	v_rcp_f32_e32 v22, v21
	v_fma_f32 v39, v12, 0, -v13
	v_fmac_f32_e32 v12, 0, v13
	v_add_u32_e32 v13, 0x800, v3
	v_fma_f32 v23, -v21, v22, 1.0
	v_fmac_f32_e32 v22, v23, v22
	v_div_scale_f32 v23, vcc, 1.0, v20, 1.0
	v_mul_f32_e32 v24, v23, v22
	v_fma_f32 v25, -v21, v24, v23
	v_fmac_f32_e32 v24, v25, v22
	v_fma_f32 v21, -v21, v24, v23
	v_div_fmas_f32 v21, v21, v22, v24
	v_div_fixup_f32 v38, v21, v20, 1.0
	ds_read_b128 v[20:23], v47
	ds_read2st64_b64 v[24:27], v7 offset1:4
	ds_read2_b64 v[28:31], v28 offset1:1
	s_waitcnt lgkmcnt(2)
	v_mov_b32_e32 v32, v23
	s_waitcnt lgkmcnt(1)
	v_pk_mul_f32 v[32:33], v[32:33], v[26:27] op_sel:[0,1] op_sel_hi:[0,0] neg_lo:[0,1]
	v_pk_fma_f32 v[32:33], v[26:27], v[22:23], v[32:33] op_sel_hi:[1,0,1]
	s_waitcnt lgkmcnt(0)
	v_pk_mul_f32 v[44:45], v[10:11], v[28:29] op_sel:[1,1] op_sel_hi:[1,0] neg_lo:[0,1]
	v_pk_add_f32 v[40:41], v[28:29], v[32:33] neg_lo:[0,1] neg_hi:[0,1]
	ds_read2_b64 v[32:35], v13 offset1:1
	v_pk_fma_f32 v[28:29], v[28:29], v[10:11], v[44:45] op_sel_hi:[1,0,1]
	v_mov_b32_e32 v13, v39
	v_xor_b32_e32 v42, 0x80000000, v41
	v_mov_b32_e32 v43, v40
	v_pk_add_f32 v[22:23], v[22:23], v[28:29] neg_lo:[0,1] neg_hi:[0,1]
	v_pk_mul_f32 v[38:39], v[12:13], v[38:39] op_sel_hi:[1,0]
	v_xor_b32_e32 v28, 0x80000000, v23
	v_mov_b32_e32 v29, v22
	v_mul_f32_e64 v46, v19, -v27
	v_mul_f32_e32 v48, v19, v26
	v_pk_mul_f32 v[12:13], v[38:39], v[42:43] op_sel:[1,0]
	v_fmac_f32_e32 v46, v26, v18
	v_fmac_f32_e32 v48, v27, v18
	v_pk_fma_f32 v[26:27], v[40:41], v[38:39], v[12:13] op_sel_hi:[1,0,1]
	v_pk_mul_f32 v[12:13], v[38:39], v[28:29] op_sel:[1,0]
	s_waitcnt lgkmcnt(0)
	v_xor_b32_e32 v44, 0x80000000, v35
	v_pk_fma_f32 v[22:23], v[22:23], v[38:39], v[12:13] op_sel_hi:[1,0,1]
	v_mov_b32_e32 v45, v34
	v_pk_mul_f32 v[12:13], v[22:23], v[16:17] op_sel:[1,1] op_sel_hi:[1,0] neg_lo:[0,1]
	s_nop 0
	v_pk_fma_f32 v[12:13], v[16:17], v[22:23], v[12:13] op_sel_hi:[1,0,1]
	v_pk_add_f32 v[16:17], v[38:39], 0 neg_lo:[1,1] neg_hi:[1,1]
	v_pk_add_f32 v[20:21], v[20:21], v[12:13] neg_lo:[0,1] neg_hi:[0,1]
	ds_write_b128 v47, v[20:23]
	v_pk_mov_b32 v[20:21], v[38:39], v[16:17] op_sel:[1,0]
	v_mov_b32_e32 v22, v19
	v_pk_mov_b32 v[16:17], v[16:17], v[38:39] op_sel:[1,0]
	v_pk_mul_f32 v[12:13], v[26:27], v[44:45] op_sel:[1,0]
	v_pk_mul_f32 v[16:17], v[22:23], v[16:17] op_sel_hi:[0,1]
	v_mul_f32_e32 v22, v11, v32
	v_pk_fma_f32 v[18:19], v[38:39], v[18:19], v[16:17] op_sel_hi:[1,0,1]
	v_mul_f32_e64 v16, v11, -v33
	v_fmac_f32_e32 v22, v33, v10
	v_pk_fma_f32 v[12:13], v[34:35], v[26:27], v[12:13] op_sel_hi:[1,0,1]
	v_fmac_f32_e32 v16, v32, v10
	v_pk_mul_f32 v[10:11], v[20:21], v[22:23] op_sel_hi:[1,0]
	v_pk_add_f32 v[28:29], v[30:31], v[12:13] neg_lo:[0,1] neg_hi:[0,1]
	v_pk_fma_f32 v[10:11], v[38:39], v[16:17], v[10:11] op_sel_hi:[1,0,1] neg_lo:[1,0,0] neg_hi:[1,0,0]
	ds_write_b128 v47, v[26:29] offset:2048
	v_xor_b32_e32 v26, 0x80000000, v39
	v_mov_b32_e32 v27, v38
	v_pk_mul_f32 v[22:23], v[10:11], v[24:25] op_sel:[1,1] op_sel_hi:[1,0] neg_lo:[0,1]
	v_pk_mul_f32 v[16:17], v[32:33], v[26:27] op_sel:[1,0]
	v_pk_fma_f32 v[22:23], v[24:25], v[10:11], v[22:23] op_sel_hi:[1,0,1]
	v_pk_mul_f32 v[12:13], v[20:21], v[48:49] op_sel_hi:[1,0]
	v_pk_fma_f32 v[20:21], v[38:39], v[32:33], v[16:17] op_sel_hi:[1,0,1]
	v_pk_add_f32 v[16:17], v[24:25], 0 neg_lo:[1,1] neg_hi:[1,1]
	v_pk_add_f32 v[8:9], v[8:9], v[22:23] neg_lo:[0,1] neg_hi:[0,1]
	ds_write_b128 v3, v[8:11]
	v_pk_mov_b32 v[8:9], v[24:25], v[16:17] op_sel:[1,0]
	v_pk_fma_f32 v[12:13], v[38:39], v[46:47], v[12:13] op_sel_hi:[1,0,1] neg_lo:[1,0,0] neg_hi:[1,0,0]
	v_pk_mul_f32 v[8:9], v[18:19], v[8:9] op_sel:[1,0]
	s_nop 0
	v_pk_fma_f32 v[16:17], v[24:25], v[18:19], v[8:9] op_sel_hi:[1,0,1] neg_lo:[1,0,0] neg_hi:[1,0,0]
	v_xor_b32_e32 v8, 0x80000000, v13
	v_mov_b32_e32 v9, v12
	v_pk_mul_f32 v[8:9], v[36:37], v[8:9] op_sel:[1,0]
	ds_write_b128 v7, v[16:19]
	v_pk_fma_f32 v[8:9], v[12:13], v[36:37], v[8:9] op_sel_hi:[1,0,1]
	s_nop 0
	v_pk_add_f32 v[14:15], v[14:15], v[8:9] neg_lo:[0,1] neg_hi:[0,1]
	v_pk_add_f32 v[8:9], v[36:37], 0 neg_lo:[1,1] neg_hi:[1,1]
	ds_write_b128 v7, v[12:15] offset:2048
	v_pk_mov_b32 v[8:9], v[36:37], v[8:9] op_sel:[1,0]
	s_nop 0
	v_pk_mul_f32 v[8:9], v[20:21], v[8:9] op_sel:[1,0]
	s_nop 0
	v_pk_fma_f32 v[22:23], v[36:37], v[20:21], v[8:9] op_sel_hi:[1,0,1] neg_lo:[1,0,0] neg_hi:[1,0,0]
	ds_write_b128 v3, v[20:23] offset:2048
.LBB263_14:
	s_or_b64 exec, exec, s[6:7]
	v_cmp_gt_u32_e32 vcc, 64, v0
	s_waitcnt lgkmcnt(0)
	s_barrier
	s_and_saveexec_b64 s[6:7], vcc
	s_cbranch_execz .LBB263_16
; %bb.15:
	v_lshlrev_b32_e32 v3, 5, v0
	v_add_u32_e32 v7, 0x1000, v3
	ds_read2_b64 v[8:11], v7 offset1:2
	v_add_u32_e32 v45, 0x800, v3
	ds_read2_b64 v[12:15], v45 offset0:1 offset1:3
	s_mov_b64 s[8:9], 0x3f800000
	v_add_u32_e32 v48, 0x1800, v3
	s_waitcnt lgkmcnt(1)
	v_xor_b32_e32 v16, 0x80000000, v11
	v_mov_b32_e32 v17, v10
	s_waitcnt lgkmcnt(0)
	v_pk_mul_f32 v[16:17], v[12:13], v[16:17] op_sel:[1,0]
	ds_read_b64 v[36:37], v3
	v_pk_fma_f32 v[16:17], v[10:11], v[12:13], v[16:17] op_sel_hi:[1,0,1]
	s_waitcnt lgkmcnt(0)
	v_xor_b32_e32 v40, 0x80000000, v37
	v_pk_add_f32 v[24:25], v[16:17], s[8:9] neg_lo:[1,0] neg_hi:[1,0]
	v_mov_b32_e32 v41, v36
	v_mul_f32_e32 v20, v25, v25
	v_fmac_f32_e32 v20, v24, v24
	v_div_scale_f32 v16, s[8:9], v20, v20, 1.0
	v_rcp_f32_e32 v21, v16
	v_fma_f32 v27, v24, 0, -v25
	v_fmac_f32_e32 v24, 0, v25
	v_mov_b32_e32 v25, v27
	v_fma_f32 v17, -v16, v21, 1.0
	v_fmac_f32_e32 v21, v17, v21
	v_div_scale_f32 v17, vcc, 1.0, v20, 1.0
	v_mul_f32_e32 v22, v17, v21
	v_fma_f32 v18, -v16, v22, v17
	v_fmac_f32_e32 v22, v18, v21
	v_fma_f32 v23, -v16, v22, v17
	v_add_u32_e32 v16, 0x2010, v3
	ds_read2_b64 v[16:19], v16 offset1:255
	v_div_fmas_f32 v21, v23, v21, v22
	v_div_fixup_f32 v26, v21, v20, 1.0
	v_pk_mul_f32 v[46:47], v[24:25], v[26:27] op_sel_hi:[1,0]
	s_waitcnt lgkmcnt(0)
	v_pk_mul_f32 v[20:21], v[16:17], v[12:13] op_sel:[1,1] op_sel_hi:[1,0] neg_lo:[0,1]
	s_nop 0
	v_pk_fma_f32 v[20:21], v[12:13], v[16:17], v[20:21] op_sel_hi:[1,0,1]
	s_nop 0
	v_pk_add_f32 v[28:29], v[18:19], v[20:21] neg_lo:[0,1] neg_hi:[0,1]
	v_pk_mul_f32 v[20:21], v[10:11], v[18:19] op_sel:[1,1] op_sel_hi:[1,0] neg_lo:[0,1]
	v_xor_b32_e32 v30, 0x80000000, v29
	v_pk_fma_f32 v[18:19], v[18:19], v[10:11], v[20:21] op_sel_hi:[1,0,1]
	v_mov_b32_e32 v31, v28
	v_pk_add_f32 v[32:33], v[16:17], v[18:19] neg_lo:[0,1] neg_hi:[0,1]
	ds_read2_b64 v[16:19], v48 offset0:1 offset1:3
	ds_read2_b64 v[20:23], v3 offset1:2
	ds_read_b64 v[38:39], v3 offset:10264
	v_pk_mul_f32 v[24:25], v[46:47], v[30:31] op_sel:[1,0]
	v_xor_b32_e32 v34, 0x80000000, v33
	v_mov_b32_e32 v35, v32
	s_waitcnt lgkmcnt(1)
	v_mul_f32_e64 v44, v23, -v13
	v_fmac_f32_e32 v44, v12, v22
	v_mul_f32_e32 v12, v23, v12
	v_fmac_f32_e32 v12, v13, v22
	v_add_u32_e32 v13, 0x1810, v3
	v_pk_fma_f32 v[28:29], v[28:29], v[46:47], v[24:25] op_sel_hi:[1,0,1]
	ds_read2_b64 v[24:27], v13 offset0:1 offset1:254
	v_pk_mul_f32 v[30:31], v[46:47], v[34:35] op_sel:[1,0]
	v_xor_b32_e32 v42, 0x80000000, v19
	v_pk_fma_f32 v[30:31], v[32:33], v[46:47], v[30:31] op_sel_hi:[1,0,1]
	v_mov_b32_e32 v43, v18
	v_pk_mul_f32 v[32:33], v[30:31], v[40:41] op_sel:[1,0]
	v_add_u32_e32 v13, 0x2000, v3
	v_pk_fma_f32 v[32:33], v[36:37], v[30:31], v[32:33] op_sel_hi:[1,0,1]
	s_waitcnt lgkmcnt(0)
	v_pk_add_f32 v[26:27], v[26:27], v[32:33] neg_lo:[0,1] neg_hi:[0,1]
	ds_write2_b64 v13, v[26:27], v[30:31] offset1:2
	v_pk_mul_f32 v[26:27], v[28:29], v[42:43] op_sel:[1,0]
	v_add_u32_e32 v13, 0x2800, v3
	v_pk_fma_f32 v[18:19], v[18:19], v[28:29], v[26:27] op_sel_hi:[1,0,1]
	s_nop 0
	v_pk_add_f32 v[18:19], v[38:39], v[18:19] neg_lo:[0,1] neg_hi:[0,1]
	ds_write2_b64 v13, v[28:29], v[18:19] offset0:1 offset1:3
	v_pk_add_f32 v[18:19], v[46:47], 0 neg_lo:[1,1] neg_hi:[1,1]
	v_mul_f32_e32 v28, v11, v16
	v_pk_mov_b32 v[26:27], v[46:47], v[18:19] op_sel:[1,0]
	v_pk_mov_b32 v[18:19], v[18:19], v[46:47] op_sel:[1,0]
	v_fmac_f32_e32 v28, v17, v10
	v_pk_mul_f32 v[18:19], v[22:23], v[18:19] op_sel:[1,0]
	v_pk_mul_f32 v[12:13], v[26:27], v[12:13] op_sel_hi:[1,0]
	v_pk_fma_f32 v[18:19], v[46:47], v[22:23], v[18:19] op_sel_hi:[1,0,1]
	v_mul_f32_e64 v22, v11, -v17
	v_fmac_f32_e32 v22, v16, v10
	v_pk_mul_f32 v[26:27], v[26:27], v[28:29] op_sel_hi:[1,0]
	v_xor_b32_e32 v10, 0x80000000, v47
	v_pk_fma_f32 v[22:23], v[46:47], v[22:23], v[26:27] op_sel_hi:[1,0,1] neg_lo:[1,0,0] neg_hi:[1,0,0]
	v_mov_b32_e32 v11, v46
	v_pk_mul_f32 v[26:27], v[22:23], v[20:21] op_sel:[1,1] op_sel_hi:[1,0] neg_lo:[0,1]
	v_pk_mul_f32 v[10:11], v[16:17], v[10:11] op_sel:[1,0]
	v_pk_fma_f32 v[26:27], v[20:21], v[22:23], v[26:27] op_sel_hi:[1,0,1]
	v_pk_fma_f32 v[10:11], v[46:47], v[16:17], v[10:11] op_sel_hi:[1,0,1]
	v_pk_add_f32 v[16:17], v[20:21], 0 neg_lo:[1,1] neg_hi:[1,1]
	v_pk_add_f32 v[8:9], v[8:9], v[26:27] neg_lo:[0,1] neg_hi:[0,1]
	ds_write2_b64 v7, v[8:9], v[22:23] offset1:2
	v_pk_mov_b32 v[8:9], v[20:21], v[16:17] op_sel:[1,0]
	v_pk_fma_f32 v[12:13], v[46:47], v[44:45], v[12:13] op_sel_hi:[1,0,1] neg_lo:[1,0,0] neg_hi:[1,0,0]
	v_pk_mul_f32 v[8:9], v[18:19], v[8:9] op_sel:[1,0]
	s_nop 0
	v_pk_fma_f32 v[8:9], v[20:21], v[18:19], v[8:9] op_sel_hi:[1,0,1] neg_lo:[1,0,0] neg_hi:[1,0,0]
	ds_write2_b64 v3, v[8:9], v[18:19] offset1:2
	v_xor_b32_e32 v8, 0x80000000, v13
	v_mov_b32_e32 v9, v12
	v_pk_mul_f32 v[8:9], v[24:25], v[8:9] op_sel:[1,0]
	s_nop 0
	v_pk_fma_f32 v[8:9], v[12:13], v[24:25], v[8:9] op_sel_hi:[1,0,1]
	s_nop 0
	v_pk_add_f32 v[8:9], v[14:15], v[8:9] neg_lo:[0,1] neg_hi:[0,1]
	ds_write2_b64 v45, v[12:13], v[8:9] offset0:1 offset1:3
	v_pk_add_f32 v[8:9], v[24:25], 0 neg_lo:[1,1] neg_hi:[1,1]
	s_nop 0
	v_pk_mov_b32 v[8:9], v[24:25], v[8:9] op_sel:[1,0]
	s_nop 0
	v_pk_mul_f32 v[8:9], v[10:11], v[8:9] op_sel:[1,0]
	s_nop 0
	v_pk_fma_f32 v[8:9], v[24:25], v[10:11], v[8:9] op_sel_hi:[1,0,1] neg_lo:[1,0,0] neg_hi:[1,0,0]
	ds_write2_b64 v48, v[10:11], v[8:9] offset0:1 offset1:3
.LBB263_16:
	s_or_b64 exec, exec, s[6:7]
	v_cmp_gt_u32_e32 vcc, 32, v0
	s_waitcnt lgkmcnt(0)
	s_barrier
	s_and_saveexec_b64 s[6:7], vcc
	s_cbranch_execz .LBB263_18
; %bb.17:
	v_lshlrev_b32_e32 v3, 6, v0
	v_add_u32_e32 v7, 0x1000, v3
	ds_read2_b64 v[8:11], v7 offset1:4
	v_add_u32_e32 v45, 0x800, v3
	ds_read2_b64 v[12:15], v45 offset0:3 offset1:7
	s_mov_b64 s[8:9], 0x3f800000
	v_add_u32_e32 v48, 0x1800, v3
	s_waitcnt lgkmcnt(1)
	v_xor_b32_e32 v16, 0x80000000, v11
	v_mov_b32_e32 v17, v10
	s_waitcnt lgkmcnt(0)
	v_pk_mul_f32 v[16:17], v[12:13], v[16:17] op_sel:[1,0]
	ds_read_b64 v[36:37], v3
	v_pk_fma_f32 v[16:17], v[10:11], v[12:13], v[16:17] op_sel_hi:[1,0,1]
	s_waitcnt lgkmcnt(0)
	v_xor_b32_e32 v40, 0x80000000, v37
	v_pk_add_f32 v[24:25], v[16:17], s[8:9] neg_lo:[1,0] neg_hi:[1,0]
	v_mov_b32_e32 v41, v36
	v_mul_f32_e32 v20, v25, v25
	v_fmac_f32_e32 v20, v24, v24
	v_div_scale_f32 v16, s[8:9], v20, v20, 1.0
	v_rcp_f32_e32 v21, v16
	v_fma_f32 v27, v24, 0, -v25
	v_fmac_f32_e32 v24, 0, v25
	v_mov_b32_e32 v25, v27
	v_fma_f32 v17, -v16, v21, 1.0
	v_fmac_f32_e32 v21, v17, v21
	v_div_scale_f32 v17, vcc, 1.0, v20, 1.0
	v_mul_f32_e32 v22, v17, v21
	v_fma_f32 v18, -v16, v22, v17
	v_fmac_f32_e32 v22, v18, v21
	v_fma_f32 v23, -v16, v22, v17
	v_add_u32_e32 v16, 0x2020, v3
	ds_read2_b64 v[16:19], v16 offset1:255
	v_div_fmas_f32 v21, v23, v21, v22
	v_div_fixup_f32 v26, v21, v20, 1.0
	v_pk_mul_f32 v[46:47], v[24:25], v[26:27] op_sel_hi:[1,0]
	s_waitcnt lgkmcnt(0)
	v_pk_mul_f32 v[20:21], v[16:17], v[12:13] op_sel:[1,1] op_sel_hi:[1,0] neg_lo:[0,1]
	s_nop 0
	v_pk_fma_f32 v[20:21], v[12:13], v[16:17], v[20:21] op_sel_hi:[1,0,1]
	s_nop 0
	v_pk_add_f32 v[28:29], v[18:19], v[20:21] neg_lo:[0,1] neg_hi:[0,1]
	v_pk_mul_f32 v[20:21], v[10:11], v[18:19] op_sel:[1,1] op_sel_hi:[1,0] neg_lo:[0,1]
	v_xor_b32_e32 v30, 0x80000000, v29
	v_pk_fma_f32 v[18:19], v[18:19], v[10:11], v[20:21] op_sel_hi:[1,0,1]
	v_mov_b32_e32 v31, v28
	v_pk_add_f32 v[32:33], v[16:17], v[18:19] neg_lo:[0,1] neg_hi:[0,1]
	ds_read2_b64 v[16:19], v48 offset0:3 offset1:7
	ds_read2_b64 v[20:23], v3 offset1:4
	ds_read_b64 v[38:39], v3 offset:10296
	v_pk_mul_f32 v[24:25], v[46:47], v[30:31] op_sel:[1,0]
	v_xor_b32_e32 v34, 0x80000000, v33
	v_mov_b32_e32 v35, v32
	s_waitcnt lgkmcnt(1)
	v_mul_f32_e64 v44, v23, -v13
	v_fmac_f32_e32 v44, v12, v22
	v_mul_f32_e32 v12, v23, v12
	v_fmac_f32_e32 v12, v13, v22
	v_add_u32_e32 v13, 0x1820, v3
	v_pk_fma_f32 v[28:29], v[28:29], v[46:47], v[24:25] op_sel_hi:[1,0,1]
	ds_read2_b64 v[24:27], v13 offset0:3 offset1:252
	v_pk_mul_f32 v[30:31], v[46:47], v[34:35] op_sel:[1,0]
	v_xor_b32_e32 v42, 0x80000000, v19
	v_pk_fma_f32 v[30:31], v[32:33], v[46:47], v[30:31] op_sel_hi:[1,0,1]
	v_mov_b32_e32 v43, v18
	v_pk_mul_f32 v[32:33], v[30:31], v[40:41] op_sel:[1,0]
	v_add_u32_e32 v13, 0x2000, v3
	v_pk_fma_f32 v[32:33], v[36:37], v[30:31], v[32:33] op_sel_hi:[1,0,1]
	s_waitcnt lgkmcnt(0)
	v_pk_add_f32 v[26:27], v[26:27], v[32:33] neg_lo:[0,1] neg_hi:[0,1]
	ds_write2_b64 v13, v[26:27], v[30:31] offset1:4
	v_pk_mul_f32 v[26:27], v[28:29], v[42:43] op_sel:[1,0]
	v_add_u32_e32 v13, 0x2800, v3
	v_pk_fma_f32 v[18:19], v[18:19], v[28:29], v[26:27] op_sel_hi:[1,0,1]
	s_nop 0
	v_pk_add_f32 v[18:19], v[38:39], v[18:19] neg_lo:[0,1] neg_hi:[0,1]
	ds_write2_b64 v13, v[28:29], v[18:19] offset0:3 offset1:7
	v_pk_add_f32 v[18:19], v[46:47], 0 neg_lo:[1,1] neg_hi:[1,1]
	v_mul_f32_e32 v28, v11, v16
	v_pk_mov_b32 v[26:27], v[46:47], v[18:19] op_sel:[1,0]
	v_pk_mov_b32 v[18:19], v[18:19], v[46:47] op_sel:[1,0]
	v_fmac_f32_e32 v28, v17, v10
	v_pk_mul_f32 v[18:19], v[22:23], v[18:19] op_sel:[1,0]
	v_pk_mul_f32 v[12:13], v[26:27], v[12:13] op_sel_hi:[1,0]
	v_pk_fma_f32 v[18:19], v[46:47], v[22:23], v[18:19] op_sel_hi:[1,0,1]
	v_mul_f32_e64 v22, v11, -v17
	v_fmac_f32_e32 v22, v16, v10
	v_pk_mul_f32 v[26:27], v[26:27], v[28:29] op_sel_hi:[1,0]
	v_xor_b32_e32 v10, 0x80000000, v47
	v_pk_fma_f32 v[22:23], v[46:47], v[22:23], v[26:27] op_sel_hi:[1,0,1] neg_lo:[1,0,0] neg_hi:[1,0,0]
	v_mov_b32_e32 v11, v46
	v_pk_mul_f32 v[26:27], v[22:23], v[20:21] op_sel:[1,1] op_sel_hi:[1,0] neg_lo:[0,1]
	v_pk_mul_f32 v[10:11], v[16:17], v[10:11] op_sel:[1,0]
	v_pk_fma_f32 v[26:27], v[20:21], v[22:23], v[26:27] op_sel_hi:[1,0,1]
	v_pk_fma_f32 v[10:11], v[46:47], v[16:17], v[10:11] op_sel_hi:[1,0,1]
	v_pk_add_f32 v[16:17], v[20:21], 0 neg_lo:[1,1] neg_hi:[1,1]
	v_pk_add_f32 v[8:9], v[8:9], v[26:27] neg_lo:[0,1] neg_hi:[0,1]
	ds_write2_b64 v7, v[8:9], v[22:23] offset1:4
	v_pk_mov_b32 v[8:9], v[20:21], v[16:17] op_sel:[1,0]
	v_pk_fma_f32 v[12:13], v[46:47], v[44:45], v[12:13] op_sel_hi:[1,0,1] neg_lo:[1,0,0] neg_hi:[1,0,0]
	v_pk_mul_f32 v[8:9], v[18:19], v[8:9] op_sel:[1,0]
	s_nop 0
	v_pk_fma_f32 v[8:9], v[20:21], v[18:19], v[8:9] op_sel_hi:[1,0,1] neg_lo:[1,0,0] neg_hi:[1,0,0]
	ds_write2_b64 v3, v[8:9], v[18:19] offset1:4
	v_xor_b32_e32 v8, 0x80000000, v13
	v_mov_b32_e32 v9, v12
	v_pk_mul_f32 v[8:9], v[24:25], v[8:9] op_sel:[1,0]
	s_nop 0
	v_pk_fma_f32 v[8:9], v[12:13], v[24:25], v[8:9] op_sel_hi:[1,0,1]
	s_nop 0
	v_pk_add_f32 v[8:9], v[14:15], v[8:9] neg_lo:[0,1] neg_hi:[0,1]
	ds_write2_b64 v45, v[12:13], v[8:9] offset0:3 offset1:7
	v_pk_add_f32 v[8:9], v[24:25], 0 neg_lo:[1,1] neg_hi:[1,1]
	s_nop 0
	v_pk_mov_b32 v[8:9], v[24:25], v[8:9] op_sel:[1,0]
	s_nop 0
	v_pk_mul_f32 v[8:9], v[10:11], v[8:9] op_sel:[1,0]
	s_nop 0
	v_pk_fma_f32 v[8:9], v[24:25], v[10:11], v[8:9] op_sel_hi:[1,0,1] neg_lo:[1,0,0] neg_hi:[1,0,0]
	ds_write2_b64 v48, v[10:11], v[8:9] offset0:3 offset1:7
.LBB263_18:
	s_or_b64 exec, exec, s[6:7]
	v_cmp_gt_u32_e32 vcc, 16, v0
	s_waitcnt lgkmcnt(0)
	s_barrier
	s_and_saveexec_b64 s[6:7], vcc
	s_cbranch_execz .LBB263_20
; %bb.19:
	v_lshlrev_b32_e32 v3, 7, v0
	v_add_u32_e32 v7, 0x1000, v3
	ds_read2_b64 v[8:11], v7 offset1:8
	v_add_u32_e32 v45, 0x800, v3
	ds_read2_b64 v[12:15], v45 offset0:7 offset1:15
	s_mov_b64 s[8:9], 0x3f800000
	v_add_u32_e32 v48, 0x1800, v3
	s_waitcnt lgkmcnt(1)
	v_xor_b32_e32 v16, 0x80000000, v11
	v_mov_b32_e32 v17, v10
	s_waitcnt lgkmcnt(0)
	v_pk_mul_f32 v[16:17], v[12:13], v[16:17] op_sel:[1,0]
	ds_read_b64 v[36:37], v3
	v_pk_fma_f32 v[16:17], v[10:11], v[12:13], v[16:17] op_sel_hi:[1,0,1]
	s_waitcnt lgkmcnt(0)
	v_xor_b32_e32 v40, 0x80000000, v37
	v_pk_add_f32 v[24:25], v[16:17], s[8:9] neg_lo:[1,0] neg_hi:[1,0]
	v_mov_b32_e32 v41, v36
	v_mul_f32_e32 v20, v25, v25
	v_fmac_f32_e32 v20, v24, v24
	v_div_scale_f32 v16, s[8:9], v20, v20, 1.0
	v_rcp_f32_e32 v21, v16
	v_fma_f32 v27, v24, 0, -v25
	v_fmac_f32_e32 v24, 0, v25
	v_mov_b32_e32 v25, v27
	v_fma_f32 v17, -v16, v21, 1.0
	v_fmac_f32_e32 v21, v17, v21
	v_div_scale_f32 v17, vcc, 1.0, v20, 1.0
	v_mul_f32_e32 v22, v17, v21
	v_fma_f32 v18, -v16, v22, v17
	v_fmac_f32_e32 v22, v18, v21
	v_fma_f32 v23, -v16, v22, v17
	v_add_u32_e32 v16, 0x2040, v3
	ds_read2_b64 v[16:19], v16 offset1:255
	v_div_fmas_f32 v21, v23, v21, v22
	v_div_fixup_f32 v26, v21, v20, 1.0
	v_pk_mul_f32 v[46:47], v[24:25], v[26:27] op_sel_hi:[1,0]
	s_waitcnt lgkmcnt(0)
	v_pk_mul_f32 v[20:21], v[16:17], v[12:13] op_sel:[1,1] op_sel_hi:[1,0] neg_lo:[0,1]
	s_nop 0
	v_pk_fma_f32 v[20:21], v[12:13], v[16:17], v[20:21] op_sel_hi:[1,0,1]
	s_nop 0
	v_pk_add_f32 v[28:29], v[18:19], v[20:21] neg_lo:[0,1] neg_hi:[0,1]
	v_pk_mul_f32 v[20:21], v[10:11], v[18:19] op_sel:[1,1] op_sel_hi:[1,0] neg_lo:[0,1]
	v_xor_b32_e32 v30, 0x80000000, v29
	v_pk_fma_f32 v[18:19], v[18:19], v[10:11], v[20:21] op_sel_hi:[1,0,1]
	v_mov_b32_e32 v31, v28
	v_pk_add_f32 v[32:33], v[16:17], v[18:19] neg_lo:[0,1] neg_hi:[0,1]
	ds_read2_b64 v[16:19], v48 offset0:7 offset1:15
	ds_read2_b64 v[20:23], v3 offset1:8
	ds_read_b64 v[38:39], v3 offset:10360
	v_pk_mul_f32 v[24:25], v[46:47], v[30:31] op_sel:[1,0]
	v_xor_b32_e32 v34, 0x80000000, v33
	v_mov_b32_e32 v35, v32
	s_waitcnt lgkmcnt(1)
	v_mul_f32_e64 v44, v23, -v13
	v_fmac_f32_e32 v44, v12, v22
	v_mul_f32_e32 v12, v23, v12
	v_fmac_f32_e32 v12, v13, v22
	v_add_u32_e32 v13, 0x1840, v3
	v_pk_fma_f32 v[28:29], v[28:29], v[46:47], v[24:25] op_sel_hi:[1,0,1]
	ds_read2_b64 v[24:27], v13 offset0:7 offset1:248
	v_pk_mul_f32 v[30:31], v[46:47], v[34:35] op_sel:[1,0]
	v_xor_b32_e32 v42, 0x80000000, v19
	v_pk_fma_f32 v[30:31], v[32:33], v[46:47], v[30:31] op_sel_hi:[1,0,1]
	v_mov_b32_e32 v43, v18
	v_pk_mul_f32 v[32:33], v[30:31], v[40:41] op_sel:[1,0]
	v_add_u32_e32 v13, 0x2000, v3
	v_pk_fma_f32 v[32:33], v[36:37], v[30:31], v[32:33] op_sel_hi:[1,0,1]
	s_waitcnt lgkmcnt(0)
	v_pk_add_f32 v[26:27], v[26:27], v[32:33] neg_lo:[0,1] neg_hi:[0,1]
	ds_write2_b64 v13, v[26:27], v[30:31] offset1:8
	v_pk_mul_f32 v[26:27], v[28:29], v[42:43] op_sel:[1,0]
	v_add_u32_e32 v13, 0x2800, v3
	v_pk_fma_f32 v[18:19], v[18:19], v[28:29], v[26:27] op_sel_hi:[1,0,1]
	s_nop 0
	v_pk_add_f32 v[18:19], v[38:39], v[18:19] neg_lo:[0,1] neg_hi:[0,1]
	ds_write2_b64 v13, v[28:29], v[18:19] offset0:7 offset1:15
	v_pk_add_f32 v[18:19], v[46:47], 0 neg_lo:[1,1] neg_hi:[1,1]
	v_mul_f32_e32 v28, v11, v16
	v_pk_mov_b32 v[26:27], v[46:47], v[18:19] op_sel:[1,0]
	v_pk_mov_b32 v[18:19], v[18:19], v[46:47] op_sel:[1,0]
	v_fmac_f32_e32 v28, v17, v10
	v_pk_mul_f32 v[18:19], v[22:23], v[18:19] op_sel:[1,0]
	v_pk_mul_f32 v[12:13], v[26:27], v[12:13] op_sel_hi:[1,0]
	v_pk_fma_f32 v[18:19], v[46:47], v[22:23], v[18:19] op_sel_hi:[1,0,1]
	v_mul_f32_e64 v22, v11, -v17
	v_fmac_f32_e32 v22, v16, v10
	v_pk_mul_f32 v[26:27], v[26:27], v[28:29] op_sel_hi:[1,0]
	v_xor_b32_e32 v10, 0x80000000, v47
	v_pk_fma_f32 v[22:23], v[46:47], v[22:23], v[26:27] op_sel_hi:[1,0,1] neg_lo:[1,0,0] neg_hi:[1,0,0]
	v_mov_b32_e32 v11, v46
	v_pk_mul_f32 v[26:27], v[22:23], v[20:21] op_sel:[1,1] op_sel_hi:[1,0] neg_lo:[0,1]
	v_pk_mul_f32 v[10:11], v[16:17], v[10:11] op_sel:[1,0]
	v_pk_fma_f32 v[26:27], v[20:21], v[22:23], v[26:27] op_sel_hi:[1,0,1]
	v_pk_fma_f32 v[10:11], v[46:47], v[16:17], v[10:11] op_sel_hi:[1,0,1]
	v_pk_add_f32 v[16:17], v[20:21], 0 neg_lo:[1,1] neg_hi:[1,1]
	v_pk_add_f32 v[8:9], v[8:9], v[26:27] neg_lo:[0,1] neg_hi:[0,1]
	ds_write2_b64 v7, v[8:9], v[22:23] offset1:8
	v_pk_mov_b32 v[8:9], v[20:21], v[16:17] op_sel:[1,0]
	v_pk_fma_f32 v[12:13], v[46:47], v[44:45], v[12:13] op_sel_hi:[1,0,1] neg_lo:[1,0,0] neg_hi:[1,0,0]
	v_pk_mul_f32 v[8:9], v[18:19], v[8:9] op_sel:[1,0]
	s_nop 0
	v_pk_fma_f32 v[8:9], v[20:21], v[18:19], v[8:9] op_sel_hi:[1,0,1] neg_lo:[1,0,0] neg_hi:[1,0,0]
	ds_write2_b64 v3, v[8:9], v[18:19] offset1:8
	v_xor_b32_e32 v8, 0x80000000, v13
	v_mov_b32_e32 v9, v12
	v_pk_mul_f32 v[8:9], v[24:25], v[8:9] op_sel:[1,0]
	s_nop 0
	v_pk_fma_f32 v[8:9], v[12:13], v[24:25], v[8:9] op_sel_hi:[1,0,1]
	s_nop 0
	v_pk_add_f32 v[8:9], v[14:15], v[8:9] neg_lo:[0,1] neg_hi:[0,1]
	ds_write2_b64 v45, v[12:13], v[8:9] offset0:7 offset1:15
	v_pk_add_f32 v[8:9], v[24:25], 0 neg_lo:[1,1] neg_hi:[1,1]
	s_nop 0
	v_pk_mov_b32 v[8:9], v[24:25], v[8:9] op_sel:[1,0]
	s_nop 0
	v_pk_mul_f32 v[8:9], v[10:11], v[8:9] op_sel:[1,0]
	s_nop 0
	v_pk_fma_f32 v[8:9], v[24:25], v[10:11], v[8:9] op_sel_hi:[1,0,1] neg_lo:[1,0,0] neg_hi:[1,0,0]
	ds_write2_b64 v48, v[10:11], v[8:9] offset0:7 offset1:15
.LBB263_20:
	s_or_b64 exec, exec, s[6:7]
	v_cmp_gt_u32_e32 vcc, 8, v0
	s_waitcnt lgkmcnt(0)
	s_barrier
	s_and_saveexec_b64 s[6:7], vcc
	s_cbranch_execz .LBB263_22
; %bb.21:
	v_lshlrev_b32_e32 v3, 8, v0
	v_add_u32_e32 v7, 0x1000, v3
	ds_read2_b64 v[8:11], v7 offset1:16
	v_add_u32_e32 v45, 0x800, v3
	ds_read2_b64 v[12:15], v45 offset0:15 offset1:31
	s_mov_b64 s[8:9], 0x3f800000
	v_add_u32_e32 v48, 0x1800, v3
	s_waitcnt lgkmcnt(1)
	v_xor_b32_e32 v16, 0x80000000, v11
	v_mov_b32_e32 v17, v10
	s_waitcnt lgkmcnt(0)
	v_pk_mul_f32 v[16:17], v[12:13], v[16:17] op_sel:[1,0]
	ds_read_b64 v[36:37], v3
	v_pk_fma_f32 v[16:17], v[10:11], v[12:13], v[16:17] op_sel_hi:[1,0,1]
	s_waitcnt lgkmcnt(0)
	v_xor_b32_e32 v40, 0x80000000, v37
	v_pk_add_f32 v[24:25], v[16:17], s[8:9] neg_lo:[1,0] neg_hi:[1,0]
	v_mov_b32_e32 v41, v36
	v_mul_f32_e32 v20, v25, v25
	v_fmac_f32_e32 v20, v24, v24
	v_div_scale_f32 v16, s[8:9], v20, v20, 1.0
	v_rcp_f32_e32 v21, v16
	v_fma_f32 v27, v24, 0, -v25
	v_fmac_f32_e32 v24, 0, v25
	v_mov_b32_e32 v25, v27
	v_fma_f32 v17, -v16, v21, 1.0
	v_fmac_f32_e32 v21, v17, v21
	v_div_scale_f32 v17, vcc, 1.0, v20, 1.0
	v_mul_f32_e32 v22, v17, v21
	v_fma_f32 v18, -v16, v22, v17
	v_fmac_f32_e32 v22, v18, v21
	v_fma_f32 v23, -v16, v22, v17
	v_add_u32_e32 v16, 0x2080, v3
	ds_read2_b64 v[16:19], v16 offset1:255
	v_div_fmas_f32 v21, v23, v21, v22
	v_div_fixup_f32 v26, v21, v20, 1.0
	v_pk_mul_f32 v[46:47], v[24:25], v[26:27] op_sel_hi:[1,0]
	s_waitcnt lgkmcnt(0)
	v_pk_mul_f32 v[20:21], v[16:17], v[12:13] op_sel:[1,1] op_sel_hi:[1,0] neg_lo:[0,1]
	s_nop 0
	v_pk_fma_f32 v[20:21], v[12:13], v[16:17], v[20:21] op_sel_hi:[1,0,1]
	s_nop 0
	v_pk_add_f32 v[28:29], v[18:19], v[20:21] neg_lo:[0,1] neg_hi:[0,1]
	v_pk_mul_f32 v[20:21], v[10:11], v[18:19] op_sel:[1,1] op_sel_hi:[1,0] neg_lo:[0,1]
	v_xor_b32_e32 v30, 0x80000000, v29
	v_pk_fma_f32 v[18:19], v[18:19], v[10:11], v[20:21] op_sel_hi:[1,0,1]
	v_mov_b32_e32 v31, v28
	v_pk_add_f32 v[32:33], v[16:17], v[18:19] neg_lo:[0,1] neg_hi:[0,1]
	ds_read2_b64 v[16:19], v48 offset0:15 offset1:31
	ds_read2_b64 v[20:23], v3 offset1:16
	ds_read_b64 v[38:39], v3 offset:10488
	v_pk_mul_f32 v[24:25], v[46:47], v[30:31] op_sel:[1,0]
	v_xor_b32_e32 v34, 0x80000000, v33
	v_mov_b32_e32 v35, v32
	s_waitcnt lgkmcnt(1)
	v_mul_f32_e64 v44, v23, -v13
	v_fmac_f32_e32 v44, v12, v22
	v_mul_f32_e32 v12, v23, v12
	v_fmac_f32_e32 v12, v13, v22
	v_add_u32_e32 v13, 0x1880, v3
	v_pk_fma_f32 v[28:29], v[28:29], v[46:47], v[24:25] op_sel_hi:[1,0,1]
	ds_read2_b64 v[24:27], v13 offset0:15 offset1:240
	v_pk_mul_f32 v[30:31], v[46:47], v[34:35] op_sel:[1,0]
	v_xor_b32_e32 v42, 0x80000000, v19
	v_pk_fma_f32 v[30:31], v[32:33], v[46:47], v[30:31] op_sel_hi:[1,0,1]
	v_mov_b32_e32 v43, v18
	v_pk_mul_f32 v[32:33], v[30:31], v[40:41] op_sel:[1,0]
	v_add_u32_e32 v13, 0x2000, v3
	v_pk_fma_f32 v[32:33], v[36:37], v[30:31], v[32:33] op_sel_hi:[1,0,1]
	s_waitcnt lgkmcnt(0)
	v_pk_add_f32 v[26:27], v[26:27], v[32:33] neg_lo:[0,1] neg_hi:[0,1]
	ds_write2_b64 v13, v[26:27], v[30:31] offset1:16
	v_pk_mul_f32 v[26:27], v[28:29], v[42:43] op_sel:[1,0]
	v_add_u32_e32 v13, 0x2800, v3
	v_pk_fma_f32 v[18:19], v[18:19], v[28:29], v[26:27] op_sel_hi:[1,0,1]
	s_nop 0
	v_pk_add_f32 v[18:19], v[38:39], v[18:19] neg_lo:[0,1] neg_hi:[0,1]
	ds_write2_b64 v13, v[28:29], v[18:19] offset0:15 offset1:31
	v_pk_add_f32 v[18:19], v[46:47], 0 neg_lo:[1,1] neg_hi:[1,1]
	v_mul_f32_e32 v28, v11, v16
	v_pk_mov_b32 v[26:27], v[46:47], v[18:19] op_sel:[1,0]
	v_pk_mov_b32 v[18:19], v[18:19], v[46:47] op_sel:[1,0]
	v_fmac_f32_e32 v28, v17, v10
	v_pk_mul_f32 v[18:19], v[22:23], v[18:19] op_sel:[1,0]
	v_pk_mul_f32 v[12:13], v[26:27], v[12:13] op_sel_hi:[1,0]
	v_pk_fma_f32 v[18:19], v[46:47], v[22:23], v[18:19] op_sel_hi:[1,0,1]
	v_mul_f32_e64 v22, v11, -v17
	v_fmac_f32_e32 v22, v16, v10
	v_pk_mul_f32 v[26:27], v[26:27], v[28:29] op_sel_hi:[1,0]
	v_xor_b32_e32 v10, 0x80000000, v47
	v_pk_fma_f32 v[22:23], v[46:47], v[22:23], v[26:27] op_sel_hi:[1,0,1] neg_lo:[1,0,0] neg_hi:[1,0,0]
	v_mov_b32_e32 v11, v46
	v_pk_mul_f32 v[26:27], v[22:23], v[20:21] op_sel:[1,1] op_sel_hi:[1,0] neg_lo:[0,1]
	v_pk_mul_f32 v[10:11], v[16:17], v[10:11] op_sel:[1,0]
	v_pk_fma_f32 v[26:27], v[20:21], v[22:23], v[26:27] op_sel_hi:[1,0,1]
	v_pk_fma_f32 v[10:11], v[46:47], v[16:17], v[10:11] op_sel_hi:[1,0,1]
	v_pk_add_f32 v[16:17], v[20:21], 0 neg_lo:[1,1] neg_hi:[1,1]
	v_pk_add_f32 v[8:9], v[8:9], v[26:27] neg_lo:[0,1] neg_hi:[0,1]
	ds_write2_b64 v7, v[8:9], v[22:23] offset1:16
	v_pk_mov_b32 v[8:9], v[20:21], v[16:17] op_sel:[1,0]
	v_pk_fma_f32 v[12:13], v[46:47], v[44:45], v[12:13] op_sel_hi:[1,0,1] neg_lo:[1,0,0] neg_hi:[1,0,0]
	v_pk_mul_f32 v[8:9], v[18:19], v[8:9] op_sel:[1,0]
	s_nop 0
	v_pk_fma_f32 v[8:9], v[20:21], v[18:19], v[8:9] op_sel_hi:[1,0,1] neg_lo:[1,0,0] neg_hi:[1,0,0]
	ds_write2_b64 v3, v[8:9], v[18:19] offset1:16
	v_xor_b32_e32 v8, 0x80000000, v13
	v_mov_b32_e32 v9, v12
	v_pk_mul_f32 v[8:9], v[24:25], v[8:9] op_sel:[1,0]
	s_nop 0
	v_pk_fma_f32 v[8:9], v[12:13], v[24:25], v[8:9] op_sel_hi:[1,0,1]
	s_nop 0
	v_pk_add_f32 v[8:9], v[14:15], v[8:9] neg_lo:[0,1] neg_hi:[0,1]
	ds_write2_b64 v45, v[12:13], v[8:9] offset0:15 offset1:31
	v_pk_add_f32 v[8:9], v[24:25], 0 neg_lo:[1,1] neg_hi:[1,1]
	s_nop 0
	v_pk_mov_b32 v[8:9], v[24:25], v[8:9] op_sel:[1,0]
	s_nop 0
	v_pk_mul_f32 v[8:9], v[10:11], v[8:9] op_sel:[1,0]
	s_nop 0
	v_pk_fma_f32 v[8:9], v[24:25], v[10:11], v[8:9] op_sel_hi:[1,0,1] neg_lo:[1,0,0] neg_hi:[1,0,0]
	ds_write2_b64 v48, v[10:11], v[8:9] offset0:15 offset1:31
.LBB263_22:
	s_or_b64 exec, exec, s[6:7]
	v_cmp_gt_u32_e32 vcc, 4, v0
	s_waitcnt lgkmcnt(0)
	s_barrier
	s_and_saveexec_b64 s[6:7], vcc
	s_cbranch_execz .LBB263_24
; %bb.23:
	v_lshlrev_b32_e32 v3, 9, v0
	v_add_u32_e32 v7, 0x1000, v3
	ds_read2_b64 v[8:11], v7 offset1:32
	v_add_u32_e32 v45, 0x800, v3
	ds_read2_b64 v[12:15], v45 offset0:31 offset1:63
	s_mov_b64 s[8:9], 0x3f800000
	v_add_u32_e32 v48, 0x1800, v3
	s_waitcnt lgkmcnt(1)
	v_xor_b32_e32 v16, 0x80000000, v11
	v_mov_b32_e32 v17, v10
	s_waitcnt lgkmcnt(0)
	v_pk_mul_f32 v[16:17], v[12:13], v[16:17] op_sel:[1,0]
	ds_read_b64 v[36:37], v3
	v_pk_fma_f32 v[16:17], v[10:11], v[12:13], v[16:17] op_sel_hi:[1,0,1]
	s_waitcnt lgkmcnt(0)
	v_xor_b32_e32 v40, 0x80000000, v37
	v_pk_add_f32 v[24:25], v[16:17], s[8:9] neg_lo:[1,0] neg_hi:[1,0]
	v_mov_b32_e32 v41, v36
	v_mul_f32_e32 v20, v25, v25
	v_fmac_f32_e32 v20, v24, v24
	v_div_scale_f32 v16, s[8:9], v20, v20, 1.0
	v_rcp_f32_e32 v21, v16
	v_fma_f32 v27, v24, 0, -v25
	v_fmac_f32_e32 v24, 0, v25
	v_mov_b32_e32 v25, v27
	v_fma_f32 v17, -v16, v21, 1.0
	v_fmac_f32_e32 v21, v17, v21
	v_div_scale_f32 v17, vcc, 1.0, v20, 1.0
	v_mul_f32_e32 v22, v17, v21
	v_fma_f32 v18, -v16, v22, v17
	v_fmac_f32_e32 v22, v18, v21
	v_fma_f32 v23, -v16, v22, v17
	v_add_u32_e32 v16, 0x2100, v3
	ds_read2_b64 v[16:19], v16 offset1:255
	v_div_fmas_f32 v21, v23, v21, v22
	v_div_fixup_f32 v26, v21, v20, 1.0
	v_pk_mul_f32 v[46:47], v[24:25], v[26:27] op_sel_hi:[1,0]
	s_waitcnt lgkmcnt(0)
	v_pk_mul_f32 v[20:21], v[16:17], v[12:13] op_sel:[1,1] op_sel_hi:[1,0] neg_lo:[0,1]
	s_nop 0
	v_pk_fma_f32 v[20:21], v[12:13], v[16:17], v[20:21] op_sel_hi:[1,0,1]
	s_nop 0
	v_pk_add_f32 v[28:29], v[18:19], v[20:21] neg_lo:[0,1] neg_hi:[0,1]
	v_pk_mul_f32 v[20:21], v[10:11], v[18:19] op_sel:[1,1] op_sel_hi:[1,0] neg_lo:[0,1]
	v_xor_b32_e32 v30, 0x80000000, v29
	v_pk_fma_f32 v[18:19], v[18:19], v[10:11], v[20:21] op_sel_hi:[1,0,1]
	v_mov_b32_e32 v31, v28
	v_pk_add_f32 v[32:33], v[16:17], v[18:19] neg_lo:[0,1] neg_hi:[0,1]
	ds_read2_b64 v[16:19], v48 offset0:31 offset1:63
	ds_read2_b64 v[20:23], v3 offset1:32
	ds_read_b64 v[38:39], v3 offset:10744
	v_pk_mul_f32 v[24:25], v[46:47], v[30:31] op_sel:[1,0]
	v_xor_b32_e32 v34, 0x80000000, v33
	v_mov_b32_e32 v35, v32
	s_waitcnt lgkmcnt(1)
	v_mul_f32_e64 v44, v23, -v13
	v_fmac_f32_e32 v44, v12, v22
	v_mul_f32_e32 v12, v23, v12
	v_fmac_f32_e32 v12, v13, v22
	v_add_u32_e32 v13, 0x1900, v3
	v_pk_fma_f32 v[28:29], v[28:29], v[46:47], v[24:25] op_sel_hi:[1,0,1]
	ds_read2_b64 v[24:27], v13 offset0:31 offset1:224
	v_pk_mul_f32 v[30:31], v[46:47], v[34:35] op_sel:[1,0]
	v_xor_b32_e32 v42, 0x80000000, v19
	v_pk_fma_f32 v[30:31], v[32:33], v[46:47], v[30:31] op_sel_hi:[1,0,1]
	v_mov_b32_e32 v43, v18
	v_pk_mul_f32 v[32:33], v[30:31], v[40:41] op_sel:[1,0]
	v_add_u32_e32 v13, 0x2000, v3
	v_pk_fma_f32 v[32:33], v[36:37], v[30:31], v[32:33] op_sel_hi:[1,0,1]
	s_waitcnt lgkmcnt(0)
	v_pk_add_f32 v[26:27], v[26:27], v[32:33] neg_lo:[0,1] neg_hi:[0,1]
	ds_write2_b64 v13, v[26:27], v[30:31] offset1:32
	v_pk_mul_f32 v[26:27], v[28:29], v[42:43] op_sel:[1,0]
	v_add_u32_e32 v13, 0x2800, v3
	v_pk_fma_f32 v[18:19], v[18:19], v[28:29], v[26:27] op_sel_hi:[1,0,1]
	s_nop 0
	v_pk_add_f32 v[18:19], v[38:39], v[18:19] neg_lo:[0,1] neg_hi:[0,1]
	ds_write2_b64 v13, v[28:29], v[18:19] offset0:31 offset1:63
	v_pk_add_f32 v[18:19], v[46:47], 0 neg_lo:[1,1] neg_hi:[1,1]
	v_mul_f32_e32 v28, v11, v16
	v_pk_mov_b32 v[26:27], v[46:47], v[18:19] op_sel:[1,0]
	v_pk_mov_b32 v[18:19], v[18:19], v[46:47] op_sel:[1,0]
	v_fmac_f32_e32 v28, v17, v10
	v_pk_mul_f32 v[18:19], v[22:23], v[18:19] op_sel:[1,0]
	v_pk_mul_f32 v[12:13], v[26:27], v[12:13] op_sel_hi:[1,0]
	v_pk_fma_f32 v[18:19], v[46:47], v[22:23], v[18:19] op_sel_hi:[1,0,1]
	v_mul_f32_e64 v22, v11, -v17
	v_fmac_f32_e32 v22, v16, v10
	v_pk_mul_f32 v[26:27], v[26:27], v[28:29] op_sel_hi:[1,0]
	v_xor_b32_e32 v10, 0x80000000, v47
	v_pk_fma_f32 v[22:23], v[46:47], v[22:23], v[26:27] op_sel_hi:[1,0,1] neg_lo:[1,0,0] neg_hi:[1,0,0]
	v_mov_b32_e32 v11, v46
	v_pk_mul_f32 v[26:27], v[22:23], v[20:21] op_sel:[1,1] op_sel_hi:[1,0] neg_lo:[0,1]
	v_pk_mul_f32 v[10:11], v[16:17], v[10:11] op_sel:[1,0]
	v_pk_fma_f32 v[26:27], v[20:21], v[22:23], v[26:27] op_sel_hi:[1,0,1]
	v_pk_fma_f32 v[10:11], v[46:47], v[16:17], v[10:11] op_sel_hi:[1,0,1]
	v_pk_add_f32 v[16:17], v[20:21], 0 neg_lo:[1,1] neg_hi:[1,1]
	v_pk_add_f32 v[8:9], v[8:9], v[26:27] neg_lo:[0,1] neg_hi:[0,1]
	ds_write2_b64 v7, v[8:9], v[22:23] offset1:32
	v_pk_mov_b32 v[8:9], v[20:21], v[16:17] op_sel:[1,0]
	v_pk_fma_f32 v[12:13], v[46:47], v[44:45], v[12:13] op_sel_hi:[1,0,1] neg_lo:[1,0,0] neg_hi:[1,0,0]
	v_pk_mul_f32 v[8:9], v[18:19], v[8:9] op_sel:[1,0]
	s_nop 0
	v_pk_fma_f32 v[8:9], v[20:21], v[18:19], v[8:9] op_sel_hi:[1,0,1] neg_lo:[1,0,0] neg_hi:[1,0,0]
	ds_write2_b64 v3, v[8:9], v[18:19] offset1:32
	v_xor_b32_e32 v8, 0x80000000, v13
	v_mov_b32_e32 v9, v12
	v_pk_mul_f32 v[8:9], v[24:25], v[8:9] op_sel:[1,0]
	s_nop 0
	v_pk_fma_f32 v[8:9], v[12:13], v[24:25], v[8:9] op_sel_hi:[1,0,1]
	s_nop 0
	v_pk_add_f32 v[8:9], v[14:15], v[8:9] neg_lo:[0,1] neg_hi:[0,1]
	ds_write2_b64 v45, v[12:13], v[8:9] offset0:31 offset1:63
	v_pk_add_f32 v[8:9], v[24:25], 0 neg_lo:[1,1] neg_hi:[1,1]
	s_nop 0
	v_pk_mov_b32 v[8:9], v[24:25], v[8:9] op_sel:[1,0]
	s_nop 0
	v_pk_mul_f32 v[8:9], v[10:11], v[8:9] op_sel:[1,0]
	s_nop 0
	v_pk_fma_f32 v[8:9], v[24:25], v[10:11], v[8:9] op_sel_hi:[1,0,1] neg_lo:[1,0,0] neg_hi:[1,0,0]
	ds_write2_b64 v48, v[10:11], v[8:9] offset0:31 offset1:63
.LBB263_24:
	s_or_b64 exec, exec, s[6:7]
	v_cmp_gt_u32_e32 vcc, 2, v0
	s_waitcnt lgkmcnt(0)
	s_barrier
	s_and_saveexec_b64 s[6:7], vcc
	s_cbranch_execz .LBB263_26
; %bb.25:
	v_lshlrev_b32_e32 v3, 10, v0
	ds_read2st64_b64 v[8:11], v3 offset0:8 offset1:9
	v_add_u32_e32 v7, 0x1f8, v3
	ds_read2st64_b64 v[12:15], v7 offset0:4 offset1:5
	ds_read_b64 v[28:29], v3 offset:11256
	s_mov_b64 s[8:9], 0x3f800000
	ds_read2st64_b64 v[16:19], v7 offset0:12 offset1:13
	s_waitcnt lgkmcnt(3)
	v_xor_b32_e32 v20, 0x80000000, v11
	v_mov_b32_e32 v21, v10
	s_waitcnt lgkmcnt(2)
	v_pk_mul_f32 v[20:21], v[12:13], v[20:21] op_sel:[1,0]
	s_waitcnt lgkmcnt(0)
	v_xor_b32_e32 v42, 0x80000000, v19
	v_pk_fma_f32 v[20:21], v[10:11], v[12:13], v[20:21] op_sel_hi:[1,0,1]
	v_mov_b32_e32 v43, v18
	v_pk_add_f32 v[24:25], v[20:21], s[8:9] neg_lo:[1,0] neg_hi:[1,0]
	s_nop 0
	v_mul_f32_e32 v26, v25, v25
	v_fmac_f32_e32 v26, v24, v24
	v_div_scale_f32 v20, s[8:9], v26, v26, 1.0
	v_rcp_f32_e32 v27, v20
	s_nop 0
	v_fma_f32 v21, -v20, v27, 1.0
	v_fmac_f32_e32 v27, v21, v27
	v_div_scale_f32 v21, vcc, 1.0, v26, 1.0
	v_mul_f32_e32 v30, v21, v27
	v_fma_f32 v22, -v20, v30, v21
	v_fmac_f32_e32 v30, v22, v27
	v_fma_f32 v31, -v20, v30, v21
	v_add_u32_e32 v20, 0x2200, v3
	ds_read2_b64 v[20:23], v20 offset1:255
	v_div_fmas_f32 v27, v31, v27, v30
	v_div_fixup_f32 v26, v27, v26, 1.0
	v_fma_f32 v27, v24, 0, -v25
	v_fmac_f32_e32 v24, 0, v25
	s_waitcnt lgkmcnt(0)
	v_pk_mul_f32 v[30:31], v[20:21], v[12:13] op_sel:[1,1] op_sel_hi:[1,0] neg_lo:[0,1]
	v_pk_mul_f32 v[34:35], v[10:11], v[22:23] op_sel:[1,1] op_sel_hi:[1,0] neg_lo:[0,1]
	v_pk_fma_f32 v[30:31], v[12:13], v[20:21], v[30:31] op_sel_hi:[1,0,1]
	v_mov_b32_e32 v25, v27
	v_pk_add_f32 v[30:31], v[22:23], v[30:31] neg_lo:[0,1] neg_hi:[0,1]
	v_pk_fma_f32 v[22:23], v[22:23], v[10:11], v[34:35] op_sel_hi:[1,0,1]
	ds_read_b64 v[34:35], v3
	v_pk_add_f32 v[36:37], v[20:21], v[22:23] neg_lo:[0,1] neg_hi:[0,1]
	ds_read2st64_b64 v[20:23], v3 offset1:1
	v_xor_b32_e32 v32, 0x80000000, v31
	v_mov_b32_e32 v33, v30
	v_pk_mul_f32 v[46:47], v[24:25], v[26:27] op_sel_hi:[1,0]
	v_xor_b32_e32 v38, 0x80000000, v37
	s_waitcnt lgkmcnt(0)
	v_mul_f32_e64 v44, v23, -v13
	v_fmac_f32_e32 v44, v12, v22
	v_mul_f32_e32 v12, v23, v12
	v_fmac_f32_e32 v12, v13, v22
	v_pk_mul_f32 v[24:25], v[46:47], v[32:33] op_sel:[1,0]
	v_add_u32_e32 v13, 0x1a00, v3
	v_mov_b32_e32 v39, v36
	v_pk_fma_f32 v[30:31], v[30:31], v[46:47], v[24:25] op_sel_hi:[1,0,1]
	ds_read2_b64 v[24:27], v13 offset0:63 offset1:192
	v_pk_mul_f32 v[32:33], v[46:47], v[38:39] op_sel:[1,0]
	v_xor_b32_e32 v40, 0x80000000, v35
	v_mov_b32_e32 v41, v34
	v_pk_fma_f32 v[32:33], v[36:37], v[46:47], v[32:33] op_sel_hi:[1,0,1]
	s_nop 0
	v_pk_mul_f32 v[36:37], v[32:33], v[40:41] op_sel:[1,0]
	s_nop 0
	v_pk_fma_f32 v[34:35], v[34:35], v[32:33], v[36:37] op_sel_hi:[1,0,1]
	s_waitcnt lgkmcnt(0)
	v_pk_add_f32 v[26:27], v[26:27], v[34:35] neg_lo:[0,1] neg_hi:[0,1]
	ds_write2st64_b64 v3, v[26:27], v[32:33] offset0:16 offset1:17
	v_pk_mul_f32 v[26:27], v[30:31], v[42:43] op_sel:[1,0]
	s_nop 0
	v_pk_fma_f32 v[18:19], v[18:19], v[30:31], v[26:27] op_sel_hi:[1,0,1]
	s_nop 0
	v_pk_add_f32 v[18:19], v[28:29], v[18:19] neg_lo:[0,1] neg_hi:[0,1]
	ds_write2st64_b64 v7, v[30:31], v[18:19] offset0:20 offset1:21
	v_pk_add_f32 v[18:19], v[46:47], 0 neg_lo:[1,1] neg_hi:[1,1]
	v_mul_f32_e32 v28, v11, v16
	v_pk_mov_b32 v[26:27], v[46:47], v[18:19] op_sel:[1,0]
	v_pk_mov_b32 v[18:19], v[18:19], v[46:47] op_sel:[1,0]
	v_fmac_f32_e32 v28, v17, v10
	v_pk_mul_f32 v[18:19], v[22:23], v[18:19] op_sel:[1,0]
	v_pk_mul_f32 v[12:13], v[26:27], v[12:13] op_sel_hi:[1,0]
	v_pk_fma_f32 v[18:19], v[46:47], v[22:23], v[18:19] op_sel_hi:[1,0,1]
	v_mul_f32_e64 v22, v11, -v17
	v_fmac_f32_e32 v22, v16, v10
	v_pk_mul_f32 v[26:27], v[26:27], v[28:29] op_sel_hi:[1,0]
	v_xor_b32_e32 v10, 0x80000000, v47
	v_pk_fma_f32 v[22:23], v[46:47], v[22:23], v[26:27] op_sel_hi:[1,0,1] neg_lo:[1,0,0] neg_hi:[1,0,0]
	v_mov_b32_e32 v11, v46
	v_pk_mul_f32 v[26:27], v[22:23], v[20:21] op_sel:[1,1] op_sel_hi:[1,0] neg_lo:[0,1]
	v_pk_mul_f32 v[10:11], v[16:17], v[10:11] op_sel:[1,0]
	v_pk_fma_f32 v[26:27], v[20:21], v[22:23], v[26:27] op_sel_hi:[1,0,1]
	v_pk_fma_f32 v[10:11], v[46:47], v[16:17], v[10:11] op_sel_hi:[1,0,1]
	v_pk_add_f32 v[16:17], v[20:21], 0 neg_lo:[1,1] neg_hi:[1,1]
	v_pk_add_f32 v[8:9], v[8:9], v[26:27] neg_lo:[0,1] neg_hi:[0,1]
	ds_write2st64_b64 v3, v[8:9], v[22:23] offset0:8 offset1:9
	v_pk_mov_b32 v[8:9], v[20:21], v[16:17] op_sel:[1,0]
	v_pk_fma_f32 v[12:13], v[46:47], v[44:45], v[12:13] op_sel_hi:[1,0,1] neg_lo:[1,0,0] neg_hi:[1,0,0]
	v_pk_mul_f32 v[8:9], v[18:19], v[8:9] op_sel:[1,0]
	s_nop 0
	v_pk_fma_f32 v[8:9], v[20:21], v[18:19], v[8:9] op_sel_hi:[1,0,1] neg_lo:[1,0,0] neg_hi:[1,0,0]
	ds_write2st64_b64 v3, v[8:9], v[18:19] offset1:1
	v_xor_b32_e32 v8, 0x80000000, v13
	v_mov_b32_e32 v9, v12
	v_pk_mul_f32 v[8:9], v[24:25], v[8:9] op_sel:[1,0]
	s_nop 0
	v_pk_fma_f32 v[8:9], v[12:13], v[24:25], v[8:9] op_sel_hi:[1,0,1]
	s_nop 0
	v_pk_add_f32 v[8:9], v[14:15], v[8:9] neg_lo:[0,1] neg_hi:[0,1]
	ds_write2st64_b64 v7, v[12:13], v[8:9] offset0:4 offset1:5
	v_pk_add_f32 v[8:9], v[24:25], 0 neg_lo:[1,1] neg_hi:[1,1]
	s_nop 0
	v_pk_mov_b32 v[8:9], v[24:25], v[8:9] op_sel:[1,0]
	s_nop 0
	v_pk_mul_f32 v[8:9], v[10:11], v[8:9] op_sel:[1,0]
	s_nop 0
	v_pk_fma_f32 v[8:9], v[24:25], v[10:11], v[8:9] op_sel_hi:[1,0,1] neg_lo:[1,0,0] neg_hi:[1,0,0]
	ds_write2st64_b64 v7, v[10:11], v[8:9] offset0:12 offset1:13
.LBB263_26:
	s_or_b64 exec, exec, s[6:7]
	s_mov_b32 s11, 0
	v_cmp_eq_u32_e64 s[6:7], 0, v0
	s_waitcnt lgkmcnt(0)
	s_barrier
	s_and_saveexec_b64 s[8:9], s[6:7]
	s_cbranch_execz .LBB263_28
; %bb.27:
	v_mov_b32_e32 v3, 0
	s_movk_i32 s10, 0x1f8
	ds_read2st64_b64 v[8:11], v3 offset0:8 offset1:10
	v_add_u32_e64 v7, s10, 0
	ds_read2st64_b64 v[12:15], v7 offset0:5 offset1:7
	s_mov_b32 s10, 1.0
	s_waitcnt lgkmcnt(1)
	v_xor_b32_e32 v16, 0x80000000, v11
	v_mov_b32_e32 v17, v10
	s_waitcnt lgkmcnt(0)
	v_pk_mul_f32 v[16:17], v[12:13], v[16:17] op_sel:[1,0]
	s_nop 0
	v_pk_fma_f32 v[16:17], v[10:11], v[12:13], v[16:17] op_sel_hi:[1,0,1]
	s_nop 0
	v_pk_add_f32 v[26:27], v[16:17], s[10:11] neg_lo:[1,0] neg_hi:[1,0]
	s_nop 0
	v_mul_f32_e32 v0, v27, v27
	v_fmac_f32_e32 v0, v26, v26
	v_div_scale_f32 v16, s[10:11], v0, v0, 1.0
	v_rcp_f32_e32 v20, v16
	s_movk_i32 s10, 0x2400
	v_add_u32_e64 v39, s10, 0
	v_fma_f32 v40, v26, 0, -v27
	v_fma_f32 v17, -v16, v20, 1.0
	v_fmac_f32_e32 v20, v17, v20
	v_div_scale_f32 v17, vcc, 1.0, v0, 1.0
	v_mul_f32_e32 v21, v17, v20
	v_fma_f32 v18, -v16, v21, v17
	v_fmac_f32_e32 v21, v18, v20
	v_fma_f32 v22, -v16, v21, v17
	ds_read2_b64 v[16:19], v39 offset1:255
	v_div_fmas_f32 v20, v22, v20, v21
	v_div_fixup_f32 v0, v20, v0, 1.0
	v_fmac_f32_e32 v26, 0, v27
	v_mov_b32_e32 v27, v40
	s_waitcnt lgkmcnt(0)
	v_pk_mul_f32 v[20:21], v[16:17], v[12:13] op_sel:[1,1] op_sel_hi:[1,0] neg_lo:[0,1]
	v_pk_mul_f32 v[40:41], v[26:27], v[0:1] op_sel_hi:[1,0]
	v_pk_fma_f32 v[20:21], v[12:13], v[16:17], v[20:21] op_sel_hi:[1,0,1]
	s_movk_i32 s10, 0x1400
	v_pk_add_f32 v[28:29], v[18:19], v[20:21] neg_lo:[0,1] neg_hi:[0,1]
	v_pk_mul_f32 v[20:21], v[10:11], v[18:19] op_sel:[1,1] op_sel_hi:[1,0] neg_lo:[0,1]
	v_xor_b32_e32 v30, 0x80000000, v29
	v_pk_fma_f32 v[22:23], v[18:19], v[10:11], v[20:21] op_sel_hi:[1,0,1]
	ds_read2st64_b64 v[18:21], v3 offset1:2
	v_mov_b32_e32 v31, v28
	v_pk_add_f32 v[16:17], v[16:17], v[22:23] neg_lo:[0,1] neg_hi:[0,1]
	v_pk_mul_f32 v[26:27], v[40:41], v[30:31] op_sel:[1,0]
	v_xor_b32_e32 v32, 0x80000000, v17
	v_mov_b32_e32 v33, v16
	ds_read2st64_b64 v[22:25], v7 offset0:13 offset1:15
	v_pk_fma_f32 v[30:31], v[28:29], v[40:41], v[26:27] op_sel_hi:[1,0,1]
	v_pk_mul_f32 v[26:27], v[40:41], v[32:33] op_sel:[1,0]
	v_mov_b32_e32 v7, 0x1ff8
	v_pk_fma_f32 v[16:17], v[16:17], v[40:41], v[26:27] op_sel_hi:[1,0,1]
	ds_read2_b64 v[26:29], v7 offset1:1
	s_waitcnt lgkmcnt(2)
	v_xor_b32_e32 v34, 0x80000000, v19
	v_mov_b32_e32 v35, v18
	v_pk_mul_f32 v[32:33], v[16:17], v[34:35] op_sel:[1,0]
	ds_read_b64 v[34:35], v3 offset:12280
	s_waitcnt lgkmcnt(2)
	v_xor_b32_e32 v36, 0x80000000, v25
	v_mov_b32_e32 v37, v24
	ds_write2_b64 v39, v[16:17], v[30:31] offset1:255
	v_pk_fma_f32 v[16:17], v[18:19], v[16:17], v[32:33] op_sel_hi:[1,0,1]
	v_mul_f32_e64 v38, v21, -v13
	s_waitcnt lgkmcnt(2)
	v_pk_add_f32 v[16:17], v[28:29], v[16:17] neg_lo:[0,1] neg_hi:[0,1]
	v_pk_mul_f32 v[28:29], v[30:31], v[36:37] op_sel:[1,0]
	v_fmac_f32_e32 v38, v12, v20
	v_pk_fma_f32 v[24:25], v[24:25], v[30:31], v[28:29] op_sel_hi:[1,0,1]
	v_mul_f32_e32 v12, v21, v12
	s_waitcnt lgkmcnt(1)
	v_pk_add_f32 v[24:25], v[34:35], v[24:25] neg_lo:[0,1] neg_hi:[0,1]
	ds_write_b64 v3, v[24:25] offset:12280
	v_xor_b32_e32 v24, 0x80000000, v41
	v_mov_b32_e32 v25, v40
	v_pk_mul_f32 v[30:31], v[20:21], v[24:25] op_sel:[1,0]
	v_fmac_f32_e32 v12, v13, v20
	v_pk_fma_f32 v[20:21], v[40:41], v[20:21], v[30:31] op_sel_hi:[1,0,1]
	v_mul_f32_e32 v30, v11, v22
	v_xor_b32_e32 v29, 0x80000000, v40
	v_mov_b32_e32 v28, v41
	v_mul_f32_e64 v0, v11, -v23
	v_fmac_f32_e32 v30, v23, v10
	v_fmac_f32_e32 v0, v22, v10
	v_pk_mul_f32 v[10:11], v[28:29], v[30:31] op_sel_hi:[1,0]
	v_pk_mul_f32 v[24:25], v[22:23], v[24:25] op_sel:[1,0]
	v_pk_fma_f32 v[10:11], v[40:41], v[0:1], v[10:11] op_sel_hi:[1,0,1] neg_lo:[1,0,0] neg_hi:[1,0,0]
	v_pk_mul_f32 v[12:13], v[28:29], v[12:13] op_sel_hi:[1,0]
	v_pk_fma_f32 v[22:23], v[40:41], v[22:23], v[24:25] op_sel_hi:[1,0,1]
	v_add_u32_e64 v0, s10, 0
	v_pk_mul_f32 v[28:29], v[10:11], v[18:19] op_sel:[1,1] op_sel_hi:[1,0] neg_lo:[0,1]
	ds_write2_b64 v0, v[10:11], v[22:23] offset1:255
	v_xor_b32_e32 v25, 0x80000000, v18
	v_pk_fma_f32 v[10:11], v[18:19], v[10:11], v[28:29] op_sel_hi:[1,0,1]
	v_mov_b32_e32 v24, v19
	v_pk_add_f32 v[8:9], v[8:9], v[10:11] neg_lo:[0,1] neg_hi:[0,1]
	v_pk_mul_f32 v[10:11], v[20:21], v[24:25] op_sel:[1,0]
	v_pk_fma_f32 v[12:13], v[40:41], v[38:39], v[12:13] op_sel_hi:[1,0,1] neg_lo:[1,0,0] neg_hi:[1,0,0]
	v_pk_fma_f32 v[10:11], v[18:19], v[20:21], v[10:11] op_sel_hi:[1,0,1] neg_lo:[1,0,0] neg_hi:[1,0,0]
	ds_write2st64_b64 v3, v[10:11], v[20:21] offset1:2
	v_xor_b32_e32 v10, 0x80000000, v13
	v_mov_b32_e32 v11, v12
	v_pk_mul_f32 v[10:11], v[26:27], v[10:11] op_sel:[1,0]
	v_mov_b32_e32 v0, 0xff8
	v_pk_fma_f32 v[10:11], v[12:13], v[26:27], v[10:11] op_sel_hi:[1,0,1]
	ds_write_b64 v3, v[12:13] offset:3064
	v_pk_add_f32 v[10:11], v[14:15], v[10:11] neg_lo:[0,1] neg_hi:[0,1]
	ds_write2_b64 v0, v[10:11], v[8:9] offset1:1
	v_xor_b32_e32 v9, 0x80000000, v26
	v_mov_b32_e32 v8, v27
	v_pk_mul_f32 v[8:9], v[22:23], v[8:9] op_sel:[1,0]
	s_nop 0
	v_pk_fma_f32 v[8:9], v[26:27], v[22:23], v[8:9] op_sel_hi:[1,0,1] neg_lo:[1,0,0] neg_hi:[1,0,0]
	ds_write2_b64 v7, v[8:9], v[16:17] offset1:1
.LBB263_28:
	s_or_b64 exec, exec, s[8:9]
	s_load_dwordx2 s[14:15], s[0:1], 0x48
	s_load_dwordx4 s[8:11], s[0:1], 0x38
	s_waitcnt lgkmcnt(0)
	s_barrier
	s_and_saveexec_b64 s[16:17], s[4:5]
	s_cbranch_execnz .LBB263_31
; %bb.29:
	s_or_b64 exec, exec, s[16:17]
	s_and_saveexec_b64 s[4:5], s[6:7]
	s_cbranch_execnz .LBB263_35
.LBB263_30:
	s_endpgm
.LBB263_31:
	s_cmp_eq_u32 s3, 0
	s_cbranch_scc1 .LBB263_39
; %bb.32:
	s_mulk_i32 s19, 0xff
	s_cbranch_execnz .LBB263_34
.LBB263_33:
	s_load_dwordx4 s[20:23], s[0:1], 0x28
	ds_read2st64_b64 v[6:9], v6 offset1:4
	v_ashrrev_i32_e32 v3, 31, v2
	v_lshlrev_b64 v[12:13], 3, v[2:3]
	v_add_u32_e32 v10, s18, v2
	s_waitcnt lgkmcnt(0)
	v_lshl_add_u64 v[2:3], s[20:21], 0, v[12:13]
	global_store_dwordx2 v[2:3], v[6:7], off
	ds_read2st64_b64 v[0:3], v1 offset1:4
	v_mov_b32_e32 v11, 0
	v_lshlrev_b64 v[6:7], 3, v[10:11]
	v_lshl_add_u64 v[10:11], s[20:21], 0, v[6:7]
	global_store_dwordx2 v[10:11], v[8:9], off
	v_lshl_add_u64 v[8:9], s[22:23], 0, v[12:13]
	s_waitcnt lgkmcnt(0)
	global_store_dwordx2 v[8:9], v[0:1], off
	v_lshl_add_u64 v[0:1], s[22:23], 0, v[6:7]
	s_mov_b32 s19, s18
	global_store_dwordx2 v[0:1], v[2:3], off
.LBB263_34:
	ds_read2st64_b64 v[0:3], v5 offset1:4
	v_ashrrev_i32_e32 v5, 31, v4
	v_add_u32_e32 v6, s19, v4
	v_mov_b32_e32 v7, 0
	v_lshl_add_u64 v[4:5], v[4:5], 3, s[12:13]
	s_waitcnt lgkmcnt(0)
	global_store_dwordx2 v[4:5], v[0:1], off
	v_lshl_add_u64 v[0:1], v[6:7], 3, s[12:13]
	global_store_dwordx2 v[0:1], v[2:3], off
	s_or_b64 exec, exec, s[16:17]
	s_and_saveexec_b64 s[4:5], s[6:7]
	s_cbranch_execz .LBB263_30
.LBB263_35:
	s_cmp_eq_u32 s3, 0
	s_cbranch_scc1 .LBB263_40
; %bb.36:
	s_load_dword s6, s[0:1], 0x50
	s_cbranch_execnz .LBB263_38
.LBB263_37:
	s_waitcnt lgkmcnt(0)
	s_load_dword s6, s[0:1], 0x50
	v_mov_b32_e32 v0, 0xff8
	s_mov_b32 s4, s3
	s_ashr_i32 s3, s2, 31
	ds_read2_b64 v[6:9], v0 offset1:1
	s_lshl_b64 s[12:13], s[2:3], 3
	v_mov_b32_e32 v4, 0
	s_mov_b32 s3, s4
	s_add_u32 s4, s10, s12
	ds_read_b64 v[2:3], v4 offset:8184
	s_addc_u32 s5, s11, s13
	s_waitcnt lgkmcnt(0)
	s_add_i32 s0, s6, s2
	s_mov_b32 s1, 0
	s_lshl_b64 s[0:1], s[0:1], 3
	global_store_dwordx2 v4, v[8:9], s[4:5]
	s_add_u32 s4, s10, s0
	ds_read_b64 v[0:1], v4
	s_addc_u32 s5, s11, s1
	global_store_dwordx2 v4, v[2:3], s[4:5]
	s_add_u32 s4, s14, s12
	s_addc_u32 s5, s15, s13
	s_add_u32 s0, s14, s0
	s_addc_u32 s1, s15, s1
	s_waitcnt lgkmcnt(0)
	global_store_dwordx2 v4, v[0:1], s[4:5]
	global_store_dwordx2 v4, v[6:7], s[0:1]
.LBB263_38:
	s_waitcnt lgkmcnt(0)
	s_mul_i32 s0, s6, s3
	s_lshl_b32 s0, s0, 1
	s_add_i32 s0, s0, s2
	s_mov_b32 s1, 0
	v_mov_b32_e32 v4, 0
	s_lshl_b64 s[2:3], s[0:1], 3
	ds_read_b64 v[0:1], v4 offset:8192
	ds_read_b64 v[2:3], v4 offset:12280
	s_add_u32 s2, s8, s2
	s_addc_u32 s3, s9, s3
	s_add_i32 s0, s0, s6
	s_lshl_b64 s[0:1], s[0:1], 3
	s_add_u32 s0, s8, s0
	s_addc_u32 s1, s9, s1
	s_waitcnt lgkmcnt(1)
	global_store_dwordx2 v4, v[0:1], s[2:3]
	s_waitcnt lgkmcnt(0)
	global_store_dwordx2 v4, v[2:3], s[0:1]
	s_endpgm
.LBB263_39:
                                        ; implicit-def: $sgpr19
	s_branch .LBB263_33
.LBB263_40:
                                        ; implicit-def: $sgpr6
	s_branch .LBB263_37
	.section	.rodata,"a",@progbits
	.p2align	6, 0x0
	.amdhsa_kernel _ZN9rocsparseL29gtsv_spike_block_level_kernelILj256ELj256E21rocsparse_complex_numIfEEEviiiPT1_PKS3_S6_S4_S4_S4_S4_S4_
		.amdhsa_group_segment_fixed_size 12288
		.amdhsa_private_segment_fixed_size 0
		.amdhsa_kernarg_size 336
		.amdhsa_user_sgpr_count 2
		.amdhsa_user_sgpr_dispatch_ptr 0
		.amdhsa_user_sgpr_queue_ptr 0
		.amdhsa_user_sgpr_kernarg_segment_ptr 1
		.amdhsa_user_sgpr_dispatch_id 0
		.amdhsa_user_sgpr_kernarg_preload_length 0
		.amdhsa_user_sgpr_kernarg_preload_offset 0
		.amdhsa_user_sgpr_private_segment_size 0
		.amdhsa_uses_dynamic_stack 0
		.amdhsa_enable_private_segment 0
		.amdhsa_system_sgpr_workgroup_id_x 1
		.amdhsa_system_sgpr_workgroup_id_y 1
		.amdhsa_system_sgpr_workgroup_id_z 0
		.amdhsa_system_sgpr_workgroup_info 0
		.amdhsa_system_vgpr_workitem_id 0
		.amdhsa_next_free_vgpr 50
		.amdhsa_next_free_sgpr 24
		.amdhsa_accum_offset 52
		.amdhsa_reserve_vcc 1
		.amdhsa_float_round_mode_32 0
		.amdhsa_float_round_mode_16_64 0
		.amdhsa_float_denorm_mode_32 3
		.amdhsa_float_denorm_mode_16_64 3
		.amdhsa_dx10_clamp 1
		.amdhsa_ieee_mode 1
		.amdhsa_fp16_overflow 0
		.amdhsa_tg_split 0
		.amdhsa_exception_fp_ieee_invalid_op 0
		.amdhsa_exception_fp_denorm_src 0
		.amdhsa_exception_fp_ieee_div_zero 0
		.amdhsa_exception_fp_ieee_overflow 0
		.amdhsa_exception_fp_ieee_underflow 0
		.amdhsa_exception_fp_ieee_inexact 0
		.amdhsa_exception_int_div_zero 0
	.end_amdhsa_kernel
	.section	.text._ZN9rocsparseL29gtsv_spike_block_level_kernelILj256ELj256E21rocsparse_complex_numIfEEEviiiPT1_PKS3_S6_S4_S4_S4_S4_S4_,"axG",@progbits,_ZN9rocsparseL29gtsv_spike_block_level_kernelILj256ELj256E21rocsparse_complex_numIfEEEviiiPT1_PKS3_S6_S4_S4_S4_S4_S4_,comdat
.Lfunc_end263:
	.size	_ZN9rocsparseL29gtsv_spike_block_level_kernelILj256ELj256E21rocsparse_complex_numIfEEEviiiPT1_PKS3_S6_S4_S4_S4_S4_S4_, .Lfunc_end263-_ZN9rocsparseL29gtsv_spike_block_level_kernelILj256ELj256E21rocsparse_complex_numIfEEEviiiPT1_PKS3_S6_S4_S4_S4_S4_S4_
                                        ; -- End function
	.set _ZN9rocsparseL29gtsv_spike_block_level_kernelILj256ELj256E21rocsparse_complex_numIfEEEviiiPT1_PKS3_S6_S4_S4_S4_S4_S4_.num_vgpr, 50
	.set _ZN9rocsparseL29gtsv_spike_block_level_kernelILj256ELj256E21rocsparse_complex_numIfEEEviiiPT1_PKS3_S6_S4_S4_S4_S4_S4_.num_agpr, 0
	.set _ZN9rocsparseL29gtsv_spike_block_level_kernelILj256ELj256E21rocsparse_complex_numIfEEEviiiPT1_PKS3_S6_S4_S4_S4_S4_S4_.numbered_sgpr, 24
	.set _ZN9rocsparseL29gtsv_spike_block_level_kernelILj256ELj256E21rocsparse_complex_numIfEEEviiiPT1_PKS3_S6_S4_S4_S4_S4_S4_.num_named_barrier, 0
	.set _ZN9rocsparseL29gtsv_spike_block_level_kernelILj256ELj256E21rocsparse_complex_numIfEEEviiiPT1_PKS3_S6_S4_S4_S4_S4_S4_.private_seg_size, 0
	.set _ZN9rocsparseL29gtsv_spike_block_level_kernelILj256ELj256E21rocsparse_complex_numIfEEEviiiPT1_PKS3_S6_S4_S4_S4_S4_S4_.uses_vcc, 1
	.set _ZN9rocsparseL29gtsv_spike_block_level_kernelILj256ELj256E21rocsparse_complex_numIfEEEviiiPT1_PKS3_S6_S4_S4_S4_S4_S4_.uses_flat_scratch, 0
	.set _ZN9rocsparseL29gtsv_spike_block_level_kernelILj256ELj256E21rocsparse_complex_numIfEEEviiiPT1_PKS3_S6_S4_S4_S4_S4_S4_.has_dyn_sized_stack, 0
	.set _ZN9rocsparseL29gtsv_spike_block_level_kernelILj256ELj256E21rocsparse_complex_numIfEEEviiiPT1_PKS3_S6_S4_S4_S4_S4_S4_.has_recursion, 0
	.set _ZN9rocsparseL29gtsv_spike_block_level_kernelILj256ELj256E21rocsparse_complex_numIfEEEviiiPT1_PKS3_S6_S4_S4_S4_S4_S4_.has_indirect_call, 0
	.section	.AMDGPU.csdata,"",@progbits
; Kernel info:
; codeLenInByte = 7640
; TotalNumSgprs: 30
; NumVgprs: 50
; NumAgprs: 0
; TotalNumVgprs: 50
; ScratchSize: 0
; MemoryBound: 0
; FloatMode: 240
; IeeeMode: 1
; LDSByteSize: 12288 bytes/workgroup (compile time only)
; SGPRBlocks: 3
; VGPRBlocks: 6
; NumSGPRsForWavesPerEU: 30
; NumVGPRsForWavesPerEU: 50
; AccumOffset: 52
; Occupancy: 8
; WaveLimiterHint : 0
; COMPUTE_PGM_RSRC2:SCRATCH_EN: 0
; COMPUTE_PGM_RSRC2:USER_SGPR: 2
; COMPUTE_PGM_RSRC2:TRAP_HANDLER: 0
; COMPUTE_PGM_RSRC2:TGID_X_EN: 1
; COMPUTE_PGM_RSRC2:TGID_Y_EN: 1
; COMPUTE_PGM_RSRC2:TGID_Z_EN: 0
; COMPUTE_PGM_RSRC2:TIDIG_COMP_CNT: 0
; COMPUTE_PGM_RSRC3_GFX90A:ACCUM_OFFSET: 12
; COMPUTE_PGM_RSRC3_GFX90A:TG_SPLIT: 0
	.section	.text._ZN9rocsparseL33gtsv_solve_spike_propagate_kernelILj256ELj256E21rocsparse_complex_numIfEEEviiiPT1_PKS3_S6_S6_,"axG",@progbits,_ZN9rocsparseL33gtsv_solve_spike_propagate_kernelILj256ELj256E21rocsparse_complex_numIfEEEviiiPT1_PKS3_S6_S6_,comdat
	.globl	_ZN9rocsparseL33gtsv_solve_spike_propagate_kernelILj256ELj256E21rocsparse_complex_numIfEEEviiiPT1_PKS3_S6_S6_ ; -- Begin function _ZN9rocsparseL33gtsv_solve_spike_propagate_kernelILj256ELj256E21rocsparse_complex_numIfEEEviiiPT1_PKS3_S6_S6_
	.p2align	8
	.type	_ZN9rocsparseL33gtsv_solve_spike_propagate_kernelILj256ELj256E21rocsparse_complex_numIfEEEviiiPT1_PKS3_S6_S6_,@function
_ZN9rocsparseL33gtsv_solve_spike_propagate_kernelILj256ELj256E21rocsparse_complex_numIfEEEviiiPT1_PKS3_S6_S6_: ; @_ZN9rocsparseL33gtsv_solve_spike_propagate_kernelILj256ELj256E21rocsparse_complex_numIfEEEviiiPT1_PKS3_S6_S6_
; %bb.0:
	s_load_dword s8, s[0:1], 0x0
	v_lshl_or_b32 v2, s2, 8, v0
	v_lshlrev_b32_e32 v1, 3, v0
	s_waitcnt lgkmcnt(0)
	s_lshr_b32 s14, s8, 8
	v_cmp_gt_i32_e32 vcc, s14, v2
	v_cmp_le_i32_e64 s[4:5], s14, v2
	s_and_saveexec_b64 s[6:7], s[4:5]
	s_xor_b64 s[6:7], exec, s[6:7]
; %bb.1:
	v_mov_b32_e32 v4, 0
	v_mov_b32_e32 v5, v4
	ds_write_b64 v1, v[4:5] offset:8208
; %bb.2:
	s_or_saveexec_b64 s[6:7], s[6:7]
	v_mov_b32_e32 v4, 0
	v_ashrrev_i32_e32 v3, 31, v2
	s_mulk_i32 s14, 0xff
	v_mov_b32_e32 v5, 0
	s_xor_b64 exec, exec, s[6:7]
	s_cbranch_execz .LBB264_4
; %bb.3:
	s_load_dwordx2 s[10:11], s[0:1], 0x18
	v_add_u32_e32 v4, s14, v2
	v_mov_b32_e32 v5, 0
	s_waitcnt lgkmcnt(0)
	v_lshl_add_u64 v[6:7], v[2:3], 3, s[10:11]
	v_lshl_add_u64 v[8:9], v[4:5], 3, s[10:11]
	global_load_dwordx2 v[10:11], v[6:7], off
	global_load_dwordx2 v[4:5], v[8:9], off
	s_waitcnt vmcnt(1)
	ds_write_b64 v1, v[10:11] offset:8208
.LBB264_4:
	s_or_b64 exec, exec, s[6:7]
	s_load_dwordx2 s[6:7], s[0:1], 0x10
	s_waitcnt vmcnt(0)
	ds_write_b64 v1, v[4:5] offset:10256
	s_and_saveexec_b64 s[10:11], s[4:5]
	s_xor_b64 s[4:5], exec, s[10:11]
; %bb.5:
	s_mov_b32 s10, 0
	s_mov_b32 s11, s10
	v_mov_b64_e32 v[4:5], s[10:11]
	v_add_u32_e32 v3, 16, v1
	ds_write2st64_b64 v3, v[4:5], v[4:5] offset0:8 offset1:12
; %bb.6:
	s_or_saveexec_b64 s[4:5], s[4:5]
	v_mov_b32_e32 v4, 0
	s_mul_i32 s8, s8, s3
	v_mov_b32_e32 v6, 0
	v_mov_b32_e32 v7, 0
	s_xor_b64 exec, exec, s[4:5]
	s_cbranch_execz .LBB264_8
; %bb.7:
	s_load_dwordx2 s[10:11], s[0:1], 0x20
	v_add_u32_e32 v6, s14, v2
	v_mov_b32_e32 v7, 0
	s_waitcnt lgkmcnt(0)
	v_lshl_add_u64 v[10:11], v[6:7], 3, s[10:11]
	v_add_u32_e32 v6, s8, v6
	v_lshl_add_u64 v[8:9], v[2:3], 3, s[10:11]
	v_lshl_add_u64 v[6:7], v[6:7], 3, s[6:7]
	global_load_dwordx2 v[12:13], v[8:9], off
	global_load_dwordx2 v[14:15], v[10:11], off
	v_add_u32_e32 v3, 16, v1
	global_load_dwordx2 v[6:7], v[6:7], off
	s_waitcnt vmcnt(1)
	ds_write2st64_b64 v3, v[12:13], v[14:15] offset0:8 offset1:12
.LBB264_8:
	s_or_b64 exec, exec, s[4:5]
	v_add_u32_e32 v2, s8, v2
	v_mov_b32_e32 v5, 0
	s_waitcnt vmcnt(0)
	ds_write_b64 v1, v[6:7] offset:8
	s_and_saveexec_b64 s[4:5], vcc
	s_cbranch_execz .LBB264_10
; %bb.9:
	v_ashrrev_i32_e32 v3, 31, v2
	s_waitcnt lgkmcnt(0)
	v_lshl_add_u64 v[4:5], v[2:3], 3, s[6:7]
	global_load_dwordx2 v[4:5], v[4:5], off
.LBB264_10:
	s_or_b64 exec, exec, s[4:5]
	s_mov_b32 s12, 0
	v_cmp_eq_u32_e64 s[4:5], 0, v0
	s_waitcnt vmcnt(0)
	ds_write_b64 v1, v[4:5] offset:2056
	s_waitcnt lgkmcnt(0)
	s_barrier
	s_and_saveexec_b64 s[8:9], s[4:5]
	s_cbranch_execz .LBB264_16
; %bb.11:
	s_load_dword s15, s[0:1], 0x30
	s_load_dwordx2 s[10:11], s[0:1], 0x28
	s_cmp_lt_i32 s2, 1
	s_mov_b32 s13, 0
	s_waitcnt lgkmcnt(0)
	s_mul_i32 s3, s3, s15
	s_cbranch_scc1 .LBB264_13
; %bb.12:
	s_lshl_b32 s0, s3, 1
	s_add_i32 s1, s2, s15
	s_add_i32 s0, s1, s0
	s_add_i32 s0, s0, -1
	s_mov_b32 s1, 0
	s_lshl_b64 s[0:1], s[0:1], 3
	s_add_u32 s0, s10, s0
	s_addc_u32 s1, s11, s1
	s_load_dwordx2 s[12:13], s[0:1], 0x0
.LBB264_13:
	s_add_i32 s0, s15, -1
	s_waitcnt lgkmcnt(0)
	v_mov_b32_e32 v4, s12
	v_mov_b32_e32 v5, s13
	;; [unrolled: 1-line block ×3, first 2 shown]
	s_mov_b32 s1, 0
	s_cmp_ge_u32 s2, s0
	s_mov_b32 s12, 0
	s_mov_b32 s13, 0
	ds_write_b64 v3, v[4:5]
	s_cbranch_scc1 .LBB264_15
; %bb.14:
	s_lshl_b32 s0, s3, 1
	s_add_i32 s0, s2, s0
	s_add_i32 s12, s0, 1
	s_lshl_b64 s[12:13], s[12:13], 3
	s_add_u32 s16, s10, s12
	s_addc_u32 s17, s11, s13
	s_load_dwordx2 s[12:13], s[16:17], 0x0
.LBB264_15:
	s_lshl_b32 s0, s3, 1
	s_add_i32 s0, s0, s2
	s_lshl_b64 s[2:3], s[0:1], 3
	s_add_u32 s2, s10, s2
	s_addc_u32 s3, s11, s3
	s_add_i32 s0, s0, s15
	s_lshl_b64 s[0:1], s[0:1], 3
	s_add_u32 s0, s10, s0
	s_addc_u32 s1, s11, s1
	s_load_dwordx2 s[10:11], s[0:1], 0x0
	s_load_dwordx2 s[16:17], s[2:3], 0x0
	s_waitcnt lgkmcnt(0)
	v_mov_b32_e32 v4, s12
	v_mov_b32_e32 v5, s13
	ds_write_b64 v3, v[4:5] offset:4104
	v_mov_b32_e32 v4, s10
	v_mov_b32_e32 v5, s11
	;; [unrolled: 1-line block ×4, first 2 shown]
	ds_write_b128 v3, v[4:7] offset:2048
.LBB264_16:
	s_or_b64 exec, exec, s[8:9]
	s_waitcnt lgkmcnt(0)
	s_barrier
	s_and_saveexec_b64 s[0:1], s[4:5]
	s_cbranch_execz .LBB264_18
; %bb.17:
	s_movk_i32 s2, 0x1410
	v_add_u32_e64 v3, s2, 0
	ds_read2_b64 v[4:7], v3 offset1:255
	v_add_u32_e64 v8, 8, 0
	s_movk_i32 s2, 0x2410
	v_mov_b32_e32 v3, 0
	ds_read2st64_b64 v[8:11], v8 offset0:6 offset1:8
	ds_read2st64_b64 v[12:15], v3 offset1:2
	v_add_u32_e64 v16, s2, 0
	ds_read2_b64 v[16:19], v16 offset1:255
	s_waitcnt lgkmcnt(3)
	v_xor_b32_e32 v20, 0x80000000, v7
	v_mov_b32_e32 v21, v6
	s_waitcnt lgkmcnt(2)
	v_pk_mul_f32 v[20:21], v[10:11], v[20:21] op_sel:[1,0]
	s_nop 0
	v_pk_fma_f32 v[6:7], v[6:7], v[10:11], v[20:21] op_sel_hi:[1,0,1]
	s_waitcnt lgkmcnt(1)
	v_pk_add_f32 v[6:7], v[14:15], v[6:7] neg_lo:[0,1] neg_hi:[0,1]
	s_waitcnt lgkmcnt(0)
	v_xor_b32_e32 v14, 0x80000000, v19
	v_mov_b32_e32 v15, v18
	v_pk_mul_f32 v[14:15], v[12:13], v[14:15] op_sel:[1,0]
	s_nop 0
	v_pk_fma_f32 v[14:15], v[18:19], v[12:13], v[14:15] op_sel_hi:[1,0,1]
	s_nop 0
	v_pk_add_f32 v[6:7], v[6:7], v[14:15] neg_lo:[0,1] neg_hi:[0,1]
	ds_write_b64 v3, v[6:7] offset:1024
	v_xor_b32_e32 v6, 0x80000000, v5
	v_mov_b32_e32 v7, v4
	v_pk_mul_f32 v[6:7], v[10:11], v[6:7] op_sel:[1,0]
	s_nop 0
	v_pk_fma_f32 v[4:5], v[4:5], v[10:11], v[6:7] op_sel_hi:[1,0,1]
	v_xor_b32_e32 v6, 0x80000000, v17
	v_mov_b32_e32 v7, v16
	v_pk_mul_f32 v[6:7], v[12:13], v[6:7] op_sel:[1,0]
	v_pk_add_f32 v[4:5], v[8:9], v[4:5] neg_lo:[0,1] neg_hi:[0,1]
	v_pk_fma_f32 v[6:7], v[16:17], v[12:13], v[6:7] op_sel_hi:[1,0,1]
	s_nop 0
	v_pk_add_f32 v[4:5], v[4:5], v[6:7] neg_lo:[0,1] neg_hi:[0,1]
	ds_write_b64 v3, v[4:5] offset:3080
.LBB264_18:
	s_or_b64 exec, exec, s[0:1]
	v_cmp_gt_u32_e64 s[0:1], 2, v0
	s_waitcnt lgkmcnt(0)
	s_barrier
	s_and_saveexec_b64 s[2:3], s[0:1]
	s_cbranch_execz .LBB264_20
; %bb.19:
	v_lshlrev_b32_e32 v3, 10, v0
	v_add_u32_e32 v4, 0x1210, v3
	ds_read2_b64 v[4:7], v4 offset1:255
	v_add_u32_e32 v12, 8, v3
	ds_read2st64_b64 v[8:11], v3 offset1:1
	ds_read2st64_b64 v[12:15], v12 offset0:5 offset1:6
	v_add_u32_e32 v16, 0x2210, v3
	ds_read2_b64 v[16:19], v16 offset1:255
	s_waitcnt lgkmcnt(3)
	v_xor_b32_e32 v20, 0x80000000, v7
	v_mov_b32_e32 v21, v6
	s_waitcnt lgkmcnt(1)
	v_pk_mul_f32 v[20:21], v[14:15], v[20:21] op_sel:[1,0]
	s_nop 0
	v_pk_fma_f32 v[6:7], v[6:7], v[14:15], v[20:21] op_sel_hi:[1,0,1]
	s_nop 0
	v_pk_add_f32 v[6:7], v[10:11], v[6:7] neg_lo:[0,1] neg_hi:[0,1]
	s_waitcnt lgkmcnt(0)
	v_xor_b32_e32 v10, 0x80000000, v19
	v_mov_b32_e32 v11, v18
	v_pk_mul_f32 v[10:11], v[8:9], v[10:11] op_sel:[1,0]
	s_nop 0
	v_pk_fma_f32 v[10:11], v[18:19], v[8:9], v[10:11] op_sel_hi:[1,0,1]
	s_nop 0
	v_pk_add_f32 v[6:7], v[6:7], v[10:11] neg_lo:[0,1] neg_hi:[0,1]
	ds_write_b64 v3, v[6:7] offset:512
	v_xor_b32_e32 v6, 0x80000000, v5
	v_mov_b32_e32 v7, v4
	v_pk_mul_f32 v[6:7], v[14:15], v[6:7] op_sel:[1,0]
	s_nop 0
	v_pk_fma_f32 v[4:5], v[4:5], v[14:15], v[6:7] op_sel_hi:[1,0,1]
	v_xor_b32_e32 v6, 0x80000000, v17
	v_mov_b32_e32 v7, v16
	v_pk_mul_f32 v[6:7], v[8:9], v[6:7] op_sel:[1,0]
	v_pk_add_f32 v[4:5], v[12:13], v[4:5] neg_lo:[0,1] neg_hi:[0,1]
	v_pk_fma_f32 v[6:7], v[16:17], v[8:9], v[6:7] op_sel_hi:[1,0,1]
	s_nop 0
	v_pk_add_f32 v[4:5], v[4:5], v[6:7] neg_lo:[0,1] neg_hi:[0,1]
	ds_write_b64 v3, v[4:5] offset:2568
.LBB264_20:
	s_or_b64 exec, exec, s[2:3]
	v_cmp_gt_u32_e64 s[0:1], 4, v0
	s_waitcnt lgkmcnt(0)
	s_barrier
	s_and_saveexec_b64 s[2:3], s[0:1]
	s_cbranch_execz .LBB264_22
; %bb.21:
	v_lshlrev_b32_e32 v3, 9, v0
	v_add_u32_e32 v4, 0x1110, v3
	ds_read2_b64 v[4:7], v4 offset1:255
	v_add_u32_e32 v12, 0x800, v3
	ds_read2_b64 v[8:11], v3 offset1:32
	ds_read2_b64 v[12:15], v12 offset0:33 offset1:65
	v_add_u32_e32 v16, 0x2110, v3
	ds_read2_b64 v[16:19], v16 offset1:255
	s_waitcnt lgkmcnt(3)
	v_xor_b32_e32 v20, 0x80000000, v7
	v_mov_b32_e32 v21, v6
	s_waitcnt lgkmcnt(1)
	v_pk_mul_f32 v[20:21], v[14:15], v[20:21] op_sel:[1,0]
	s_nop 0
	v_pk_fma_f32 v[6:7], v[6:7], v[14:15], v[20:21] op_sel_hi:[1,0,1]
	s_nop 0
	v_pk_add_f32 v[6:7], v[10:11], v[6:7] neg_lo:[0,1] neg_hi:[0,1]
	s_waitcnt lgkmcnt(0)
	v_xor_b32_e32 v10, 0x80000000, v19
	v_mov_b32_e32 v11, v18
	v_pk_mul_f32 v[10:11], v[8:9], v[10:11] op_sel:[1,0]
	s_nop 0
	v_pk_fma_f32 v[10:11], v[18:19], v[8:9], v[10:11] op_sel_hi:[1,0,1]
	s_nop 0
	v_pk_add_f32 v[6:7], v[6:7], v[10:11] neg_lo:[0,1] neg_hi:[0,1]
	ds_write_b64 v3, v[6:7] offset:256
	v_xor_b32_e32 v6, 0x80000000, v5
	v_mov_b32_e32 v7, v4
	v_pk_mul_f32 v[6:7], v[14:15], v[6:7] op_sel:[1,0]
	s_nop 0
	v_pk_fma_f32 v[4:5], v[4:5], v[14:15], v[6:7] op_sel_hi:[1,0,1]
	v_xor_b32_e32 v6, 0x80000000, v17
	v_mov_b32_e32 v7, v16
	v_pk_mul_f32 v[6:7], v[8:9], v[6:7] op_sel:[1,0]
	v_pk_add_f32 v[4:5], v[12:13], v[4:5] neg_lo:[0,1] neg_hi:[0,1]
	v_pk_fma_f32 v[6:7], v[16:17], v[8:9], v[6:7] op_sel_hi:[1,0,1]
	s_nop 0
	v_pk_add_f32 v[4:5], v[4:5], v[6:7] neg_lo:[0,1] neg_hi:[0,1]
	ds_write_b64 v3, v[4:5] offset:2312
.LBB264_22:
	s_or_b64 exec, exec, s[2:3]
	v_cmp_gt_u32_e64 s[0:1], 8, v0
	s_waitcnt lgkmcnt(0)
	s_barrier
	s_and_saveexec_b64 s[2:3], s[0:1]
	s_cbranch_execz .LBB264_24
; %bb.23:
	v_lshlrev_b32_e32 v3, 8, v0
	v_add_u32_e32 v4, 0x1090, v3
	ds_read2_b64 v[4:7], v4 offset1:255
	v_add_u32_e32 v12, 0x800, v3
	ds_read2_b64 v[8:11], v3 offset1:16
	ds_read2_b64 v[12:15], v12 offset0:17 offset1:33
	v_add_u32_e32 v16, 0x2090, v3
	ds_read2_b64 v[16:19], v16 offset1:255
	s_waitcnt lgkmcnt(3)
	v_xor_b32_e32 v20, 0x80000000, v7
	v_mov_b32_e32 v21, v6
	s_waitcnt lgkmcnt(1)
	v_pk_mul_f32 v[20:21], v[14:15], v[20:21] op_sel:[1,0]
	s_nop 0
	v_pk_fma_f32 v[6:7], v[6:7], v[14:15], v[20:21] op_sel_hi:[1,0,1]
	s_nop 0
	v_pk_add_f32 v[6:7], v[10:11], v[6:7] neg_lo:[0,1] neg_hi:[0,1]
	s_waitcnt lgkmcnt(0)
	v_xor_b32_e32 v10, 0x80000000, v19
	v_mov_b32_e32 v11, v18
	v_pk_mul_f32 v[10:11], v[8:9], v[10:11] op_sel:[1,0]
	s_nop 0
	v_pk_fma_f32 v[10:11], v[18:19], v[8:9], v[10:11] op_sel_hi:[1,0,1]
	s_nop 0
	v_pk_add_f32 v[6:7], v[6:7], v[10:11] neg_lo:[0,1] neg_hi:[0,1]
	ds_write_b64 v3, v[6:7] offset:128
	v_xor_b32_e32 v6, 0x80000000, v5
	v_mov_b32_e32 v7, v4
	v_pk_mul_f32 v[6:7], v[14:15], v[6:7] op_sel:[1,0]
	s_nop 0
	v_pk_fma_f32 v[4:5], v[4:5], v[14:15], v[6:7] op_sel_hi:[1,0,1]
	v_xor_b32_e32 v6, 0x80000000, v17
	v_mov_b32_e32 v7, v16
	v_pk_mul_f32 v[6:7], v[8:9], v[6:7] op_sel:[1,0]
	v_pk_add_f32 v[4:5], v[12:13], v[4:5] neg_lo:[0,1] neg_hi:[0,1]
	v_pk_fma_f32 v[6:7], v[16:17], v[8:9], v[6:7] op_sel_hi:[1,0,1]
	s_nop 0
	v_pk_add_f32 v[4:5], v[4:5], v[6:7] neg_lo:[0,1] neg_hi:[0,1]
	ds_write_b64 v3, v[4:5] offset:2184
.LBB264_24:
	s_or_b64 exec, exec, s[2:3]
	v_cmp_gt_u32_e64 s[0:1], 16, v0
	s_waitcnt lgkmcnt(0)
	s_barrier
	s_and_saveexec_b64 s[2:3], s[0:1]
	s_cbranch_execz .LBB264_26
; %bb.25:
	v_lshlrev_b32_e32 v3, 7, v0
	v_add_u32_e32 v4, 0x1050, v3
	ds_read2_b64 v[4:7], v4 offset1:255
	v_add_u32_e32 v12, 0x800, v3
	ds_read2_b64 v[8:11], v3 offset1:8
	ds_read2_b64 v[12:15], v12 offset0:9 offset1:17
	v_add_u32_e32 v16, 0x2050, v3
	ds_read2_b64 v[16:19], v16 offset1:255
	s_waitcnt lgkmcnt(3)
	v_xor_b32_e32 v20, 0x80000000, v7
	v_mov_b32_e32 v21, v6
	s_waitcnt lgkmcnt(1)
	v_pk_mul_f32 v[20:21], v[14:15], v[20:21] op_sel:[1,0]
	s_nop 0
	v_pk_fma_f32 v[6:7], v[6:7], v[14:15], v[20:21] op_sel_hi:[1,0,1]
	s_nop 0
	v_pk_add_f32 v[6:7], v[10:11], v[6:7] neg_lo:[0,1] neg_hi:[0,1]
	s_waitcnt lgkmcnt(0)
	v_xor_b32_e32 v10, 0x80000000, v19
	v_mov_b32_e32 v11, v18
	v_pk_mul_f32 v[10:11], v[8:9], v[10:11] op_sel:[1,0]
	s_nop 0
	v_pk_fma_f32 v[10:11], v[18:19], v[8:9], v[10:11] op_sel_hi:[1,0,1]
	s_nop 0
	v_pk_add_f32 v[6:7], v[6:7], v[10:11] neg_lo:[0,1] neg_hi:[0,1]
	ds_write_b64 v3, v[6:7] offset:64
	v_xor_b32_e32 v6, 0x80000000, v5
	v_mov_b32_e32 v7, v4
	v_pk_mul_f32 v[6:7], v[14:15], v[6:7] op_sel:[1,0]
	s_nop 0
	v_pk_fma_f32 v[4:5], v[4:5], v[14:15], v[6:7] op_sel_hi:[1,0,1]
	v_xor_b32_e32 v6, 0x80000000, v17
	v_mov_b32_e32 v7, v16
	v_pk_mul_f32 v[6:7], v[8:9], v[6:7] op_sel:[1,0]
	v_pk_add_f32 v[4:5], v[12:13], v[4:5] neg_lo:[0,1] neg_hi:[0,1]
	v_pk_fma_f32 v[6:7], v[16:17], v[8:9], v[6:7] op_sel_hi:[1,0,1]
	s_nop 0
	v_pk_add_f32 v[4:5], v[4:5], v[6:7] neg_lo:[0,1] neg_hi:[0,1]
	ds_write_b64 v3, v[4:5] offset:2120
.LBB264_26:
	s_or_b64 exec, exec, s[2:3]
	v_cmp_gt_u32_e64 s[0:1], 32, v0
	s_waitcnt lgkmcnt(0)
	s_barrier
	s_and_saveexec_b64 s[2:3], s[0:1]
	s_cbranch_execz .LBB264_28
; %bb.27:
	v_lshlrev_b32_e32 v3, 6, v0
	v_add_u32_e32 v4, 0x1030, v3
	ds_read2_b64 v[4:7], v4 offset1:255
	v_add_u32_e32 v12, 0x800, v3
	ds_read2_b64 v[8:11], v3 offset1:4
	ds_read2_b64 v[12:15], v12 offset0:5 offset1:9
	v_add_u32_e32 v16, 0x2030, v3
	ds_read2_b64 v[16:19], v16 offset1:255
	s_waitcnt lgkmcnt(3)
	v_xor_b32_e32 v20, 0x80000000, v7
	v_mov_b32_e32 v21, v6
	s_waitcnt lgkmcnt(1)
	v_pk_mul_f32 v[20:21], v[14:15], v[20:21] op_sel:[1,0]
	s_nop 0
	v_pk_fma_f32 v[6:7], v[6:7], v[14:15], v[20:21] op_sel_hi:[1,0,1]
	s_nop 0
	v_pk_add_f32 v[6:7], v[10:11], v[6:7] neg_lo:[0,1] neg_hi:[0,1]
	s_waitcnt lgkmcnt(0)
	v_xor_b32_e32 v10, 0x80000000, v19
	v_mov_b32_e32 v11, v18
	v_pk_mul_f32 v[10:11], v[8:9], v[10:11] op_sel:[1,0]
	s_nop 0
	v_pk_fma_f32 v[10:11], v[18:19], v[8:9], v[10:11] op_sel_hi:[1,0,1]
	s_nop 0
	v_pk_add_f32 v[6:7], v[6:7], v[10:11] neg_lo:[0,1] neg_hi:[0,1]
	ds_write_b64 v3, v[6:7] offset:32
	v_xor_b32_e32 v6, 0x80000000, v5
	v_mov_b32_e32 v7, v4
	v_pk_mul_f32 v[6:7], v[14:15], v[6:7] op_sel:[1,0]
	s_nop 0
	v_pk_fma_f32 v[4:5], v[4:5], v[14:15], v[6:7] op_sel_hi:[1,0,1]
	v_xor_b32_e32 v6, 0x80000000, v17
	v_mov_b32_e32 v7, v16
	v_pk_mul_f32 v[6:7], v[8:9], v[6:7] op_sel:[1,0]
	v_pk_add_f32 v[4:5], v[12:13], v[4:5] neg_lo:[0,1] neg_hi:[0,1]
	v_pk_fma_f32 v[6:7], v[16:17], v[8:9], v[6:7] op_sel_hi:[1,0,1]
	s_nop 0
	v_pk_add_f32 v[4:5], v[4:5], v[6:7] neg_lo:[0,1] neg_hi:[0,1]
	ds_write_b64 v3, v[4:5] offset:2088
.LBB264_28:
	s_or_b64 exec, exec, s[2:3]
	v_cmp_gt_u32_e64 s[0:1], 64, v0
	s_waitcnt lgkmcnt(0)
	s_barrier
	s_and_saveexec_b64 s[2:3], s[0:1]
	s_cbranch_execz .LBB264_30
; %bb.29:
	v_lshlrev_b32_e32 v3, 5, v0
	v_add_u32_e32 v4, 0x1020, v3
	ds_read2_b64 v[4:7], v4 offset1:255
	v_add_u32_e32 v12, 0x800, v3
	ds_read2_b64 v[8:11], v3 offset1:2
	ds_read2_b64 v[12:15], v12 offset0:3 offset1:5
	v_add_u32_e32 v16, 0x2020, v3
	ds_read2_b64 v[16:19], v16 offset1:255
	s_waitcnt lgkmcnt(3)
	v_xor_b32_e32 v20, 0x80000000, v7
	v_mov_b32_e32 v21, v6
	s_waitcnt lgkmcnt(1)
	v_pk_mul_f32 v[20:21], v[14:15], v[20:21] op_sel:[1,0]
	s_nop 0
	v_pk_fma_f32 v[6:7], v[6:7], v[14:15], v[20:21] op_sel_hi:[1,0,1]
	s_nop 0
	v_pk_add_f32 v[6:7], v[10:11], v[6:7] neg_lo:[0,1] neg_hi:[0,1]
	s_waitcnt lgkmcnt(0)
	v_xor_b32_e32 v10, 0x80000000, v19
	v_mov_b32_e32 v11, v18
	v_pk_mul_f32 v[10:11], v[8:9], v[10:11] op_sel:[1,0]
	s_nop 0
	v_pk_fma_f32 v[10:11], v[18:19], v[8:9], v[10:11] op_sel_hi:[1,0,1]
	s_nop 0
	v_pk_add_f32 v[6:7], v[6:7], v[10:11] neg_lo:[0,1] neg_hi:[0,1]
	ds_write_b64 v3, v[6:7] offset:16
	v_xor_b32_e32 v6, 0x80000000, v5
	v_mov_b32_e32 v7, v4
	v_pk_mul_f32 v[6:7], v[14:15], v[6:7] op_sel:[1,0]
	s_nop 0
	v_pk_fma_f32 v[4:5], v[4:5], v[14:15], v[6:7] op_sel_hi:[1,0,1]
	v_xor_b32_e32 v6, 0x80000000, v17
	v_mov_b32_e32 v7, v16
	v_pk_mul_f32 v[6:7], v[8:9], v[6:7] op_sel:[1,0]
	v_pk_add_f32 v[4:5], v[12:13], v[4:5] neg_lo:[0,1] neg_hi:[0,1]
	v_pk_fma_f32 v[6:7], v[16:17], v[8:9], v[6:7] op_sel_hi:[1,0,1]
	s_nop 0
	v_pk_add_f32 v[4:5], v[4:5], v[6:7] neg_lo:[0,1] neg_hi:[0,1]
	ds_write_b64 v3, v[4:5] offset:2072
.LBB264_30:
	s_or_b64 exec, exec, s[2:3]
	s_movk_i32 s0, 0x80
	v_cmp_gt_u32_e64 s[0:1], s0, v0
	s_waitcnt lgkmcnt(0)
	s_barrier
	s_and_saveexec_b64 s[2:3], s[0:1]
	s_cbranch_execz .LBB264_32
; %bb.31:
	v_lshlrev_b32_e32 v3, 4, v0
	v_add_u32_e32 v0, 0x1018, v3
	ds_read_b128 v[4:7], v3 offset:2064
	ds_read2_b64 v[8:11], v0 offset1:255
	ds_read_b128 v[12:15], v3
	v_add_u32_e32 v16, 0x2018, v3
	ds_read2_b64 v[16:19], v16 offset1:255
	s_waitcnt lgkmcnt(3)
	v_mov_b32_e32 v0, v7
	s_waitcnt lgkmcnt(2)
	v_xor_b32_e32 v20, 0x80000000, v11
	v_mov_b32_e32 v21, v10
	v_pk_mul_f32 v[20:21], v[0:1], v[20:21] op_sel_hi:[0,1]
	v_pk_fma_f32 v[10:11], v[10:11], v[6:7], v[20:21] op_sel_hi:[1,0,1]
	s_waitcnt lgkmcnt(1)
	v_pk_add_f32 v[10:11], v[14:15], v[10:11] neg_lo:[0,1] neg_hi:[0,1]
	s_waitcnt lgkmcnt(0)
	v_xor_b32_e32 v14, 0x80000000, v19
	v_mov_b32_e32 v15, v18
	v_pk_mul_f32 v[14:15], v[12:13], v[14:15] op_sel:[1,0]
	s_nop 0
	v_pk_fma_f32 v[14:15], v[18:19], v[12:13], v[14:15] op_sel_hi:[1,0,1]
	s_nop 0
	v_pk_add_f32 v[10:11], v[10:11], v[14:15] neg_lo:[0,1] neg_hi:[0,1]
	ds_write_b64 v3, v[10:11] offset:8
	v_xor_b32_e32 v10, 0x80000000, v9
	v_mov_b32_e32 v11, v8
	v_pk_mul_f32 v[10:11], v[0:1], v[10:11] op_sel_hi:[0,1]
	v_pk_fma_f32 v[6:7], v[8:9], v[6:7], v[10:11] op_sel_hi:[1,0,1]
	s_nop 0
	v_pk_add_f32 v[4:5], v[4:5], v[6:7] neg_lo:[0,1] neg_hi:[0,1]
	v_xor_b32_e32 v6, 0x80000000, v17
	v_mov_b32_e32 v7, v16
	v_pk_mul_f32 v[6:7], v[12:13], v[6:7] op_sel:[1,0]
	s_nop 0
	v_pk_fma_f32 v[6:7], v[16:17], v[12:13], v[6:7] op_sel_hi:[1,0,1]
	s_nop 0
	v_pk_add_f32 v[4:5], v[4:5], v[6:7] neg_lo:[0,1] neg_hi:[0,1]
	ds_write_b64 v3, v[4:5] offset:2064
.LBB264_32:
	s_or_b64 exec, exec, s[2:3]
	s_waitcnt lgkmcnt(0)
	s_barrier
	s_and_saveexec_b64 s[0:1], vcc
	s_cbranch_execz .LBB264_34
; %bb.33:
	v_add_u32_e32 v0, 8, v1
	ds_read2st64_b64 v[4:7], v0 offset1:4
	v_ashrrev_i32_e32 v3, 31, v2
	v_add_u32_e32 v0, s14, v2
	v_mov_b32_e32 v1, 0
	v_lshl_add_u64 v[2:3], v[2:3], 3, s[6:7]
	v_lshl_add_u64 v[0:1], v[0:1], 3, s[6:7]
	s_waitcnt lgkmcnt(0)
	global_store_dwordx2 v[2:3], v[6:7], off
	global_store_dwordx2 v[0:1], v[4:5], off
.LBB264_34:
	s_endpgm
	.section	.rodata,"a",@progbits
	.p2align	6, 0x0
	.amdhsa_kernel _ZN9rocsparseL33gtsv_solve_spike_propagate_kernelILj256ELj256E21rocsparse_complex_numIfEEEviiiPT1_PKS3_S6_S6_
		.amdhsa_group_segment_fixed_size 12304
		.amdhsa_private_segment_fixed_size 0
		.amdhsa_kernarg_size 304
		.amdhsa_user_sgpr_count 2
		.amdhsa_user_sgpr_dispatch_ptr 0
		.amdhsa_user_sgpr_queue_ptr 0
		.amdhsa_user_sgpr_kernarg_segment_ptr 1
		.amdhsa_user_sgpr_dispatch_id 0
		.amdhsa_user_sgpr_kernarg_preload_length 0
		.amdhsa_user_sgpr_kernarg_preload_offset 0
		.amdhsa_user_sgpr_private_segment_size 0
		.amdhsa_uses_dynamic_stack 0
		.amdhsa_enable_private_segment 0
		.amdhsa_system_sgpr_workgroup_id_x 1
		.amdhsa_system_sgpr_workgroup_id_y 1
		.amdhsa_system_sgpr_workgroup_id_z 0
		.amdhsa_system_sgpr_workgroup_info 0
		.amdhsa_system_vgpr_workitem_id 0
		.amdhsa_next_free_vgpr 22
		.amdhsa_next_free_sgpr 18
		.amdhsa_accum_offset 24
		.amdhsa_reserve_vcc 1
		.amdhsa_float_round_mode_32 0
		.amdhsa_float_round_mode_16_64 0
		.amdhsa_float_denorm_mode_32 3
		.amdhsa_float_denorm_mode_16_64 3
		.amdhsa_dx10_clamp 1
		.amdhsa_ieee_mode 1
		.amdhsa_fp16_overflow 0
		.amdhsa_tg_split 0
		.amdhsa_exception_fp_ieee_invalid_op 0
		.amdhsa_exception_fp_denorm_src 0
		.amdhsa_exception_fp_ieee_div_zero 0
		.amdhsa_exception_fp_ieee_overflow 0
		.amdhsa_exception_fp_ieee_underflow 0
		.amdhsa_exception_fp_ieee_inexact 0
		.amdhsa_exception_int_div_zero 0
	.end_amdhsa_kernel
	.section	.text._ZN9rocsparseL33gtsv_solve_spike_propagate_kernelILj256ELj256E21rocsparse_complex_numIfEEEviiiPT1_PKS3_S6_S6_,"axG",@progbits,_ZN9rocsparseL33gtsv_solve_spike_propagate_kernelILj256ELj256E21rocsparse_complex_numIfEEEviiiPT1_PKS3_S6_S6_,comdat
.Lfunc_end264:
	.size	_ZN9rocsparseL33gtsv_solve_spike_propagate_kernelILj256ELj256E21rocsparse_complex_numIfEEEviiiPT1_PKS3_S6_S6_, .Lfunc_end264-_ZN9rocsparseL33gtsv_solve_spike_propagate_kernelILj256ELj256E21rocsparse_complex_numIfEEEviiiPT1_PKS3_S6_S6_
                                        ; -- End function
	.set _ZN9rocsparseL33gtsv_solve_spike_propagate_kernelILj256ELj256E21rocsparse_complex_numIfEEEviiiPT1_PKS3_S6_S6_.num_vgpr, 22
	.set _ZN9rocsparseL33gtsv_solve_spike_propagate_kernelILj256ELj256E21rocsparse_complex_numIfEEEviiiPT1_PKS3_S6_S6_.num_agpr, 0
	.set _ZN9rocsparseL33gtsv_solve_spike_propagate_kernelILj256ELj256E21rocsparse_complex_numIfEEEviiiPT1_PKS3_S6_S6_.numbered_sgpr, 18
	.set _ZN9rocsparseL33gtsv_solve_spike_propagate_kernelILj256ELj256E21rocsparse_complex_numIfEEEviiiPT1_PKS3_S6_S6_.num_named_barrier, 0
	.set _ZN9rocsparseL33gtsv_solve_spike_propagate_kernelILj256ELj256E21rocsparse_complex_numIfEEEviiiPT1_PKS3_S6_S6_.private_seg_size, 0
	.set _ZN9rocsparseL33gtsv_solve_spike_propagate_kernelILj256ELj256E21rocsparse_complex_numIfEEEviiiPT1_PKS3_S6_S6_.uses_vcc, 1
	.set _ZN9rocsparseL33gtsv_solve_spike_propagate_kernelILj256ELj256E21rocsparse_complex_numIfEEEviiiPT1_PKS3_S6_S6_.uses_flat_scratch, 0
	.set _ZN9rocsparseL33gtsv_solve_spike_propagate_kernelILj256ELj256E21rocsparse_complex_numIfEEEviiiPT1_PKS3_S6_S6_.has_dyn_sized_stack, 0
	.set _ZN9rocsparseL33gtsv_solve_spike_propagate_kernelILj256ELj256E21rocsparse_complex_numIfEEEviiiPT1_PKS3_S6_S6_.has_recursion, 0
	.set _ZN9rocsparseL33gtsv_solve_spike_propagate_kernelILj256ELj256E21rocsparse_complex_numIfEEEviiiPT1_PKS3_S6_S6_.has_indirect_call, 0
	.section	.AMDGPU.csdata,"",@progbits
; Kernel info:
; codeLenInByte = 3032
; TotalNumSgprs: 24
; NumVgprs: 22
; NumAgprs: 0
; TotalNumVgprs: 22
; ScratchSize: 0
; MemoryBound: 0
; FloatMode: 240
; IeeeMode: 1
; LDSByteSize: 12304 bytes/workgroup (compile time only)
; SGPRBlocks: 2
; VGPRBlocks: 2
; NumSGPRsForWavesPerEU: 24
; NumVGPRsForWavesPerEU: 22
; AccumOffset: 24
; Occupancy: 8
; WaveLimiterHint : 0
; COMPUTE_PGM_RSRC2:SCRATCH_EN: 0
; COMPUTE_PGM_RSRC2:USER_SGPR: 2
; COMPUTE_PGM_RSRC2:TRAP_HANDLER: 0
; COMPUTE_PGM_RSRC2:TGID_X_EN: 1
; COMPUTE_PGM_RSRC2:TGID_Y_EN: 1
; COMPUTE_PGM_RSRC2:TGID_Z_EN: 0
; COMPUTE_PGM_RSRC2:TIDIG_COMP_CNT: 0
; COMPUTE_PGM_RSRC3_GFX90A:ACCUM_OFFSET: 5
; COMPUTE_PGM_RSRC3_GFX90A:TG_SPLIT: 0
	.section	.text._ZN9rocsparseL39gtsv_spike_backward_substitution_kernelILj256ELj256E21rocsparse_complex_numIfEEEviiiPT1_PKS3_S6_,"axG",@progbits,_ZN9rocsparseL39gtsv_spike_backward_substitution_kernelILj256ELj256E21rocsparse_complex_numIfEEEviiiPT1_PKS3_S6_,comdat
	.globl	_ZN9rocsparseL39gtsv_spike_backward_substitution_kernelILj256ELj256E21rocsparse_complex_numIfEEEviiiPT1_PKS3_S6_ ; -- Begin function _ZN9rocsparseL39gtsv_spike_backward_substitution_kernelILj256ELj256E21rocsparse_complex_numIfEEEviiiPT1_PKS3_S6_
	.p2align	8
	.type	_ZN9rocsparseL39gtsv_spike_backward_substitution_kernelILj256ELj256E21rocsparse_complex_numIfEEEviiiPT1_PKS3_S6_,@function
_ZN9rocsparseL39gtsv_spike_backward_substitution_kernelILj256ELj256E21rocsparse_complex_numIfEEEviiiPT1_PKS3_S6_: ; @_ZN9rocsparseL39gtsv_spike_backward_substitution_kernelILj256ELj256E21rocsparse_complex_numIfEEEviiiPT1_PKS3_S6_
; %bb.0:
	s_load_dword s6, s[0:1], 0x0
	s_lshl_b32 s10, s2, 8
	v_or_b32_e32 v10, s10, v0
	s_waitcnt lgkmcnt(0)
	s_lshr_b32 s11, s6, 8
	v_cmp_gt_i32_e32 vcc, s11, v10
	s_and_saveexec_b64 s[4:5], vcc
	s_cbranch_execz .LBB265_7
; %bb.1:
	s_load_dwordx2 s[8:9], s[0:1], 0x10
	v_cmp_lt_i32_e32 vcc, 0, v10
	v_mov_b32_e32 v2, 0
	s_mul_i32 s2, s6, s3
	v_mov_b32_e32 v4, 0
	s_and_saveexec_b64 s[4:5], vcc
	s_cbranch_execz .LBB265_3
; %bb.2:
	s_mul_i32 s7, s11, 0xff
	s_mul_i32 s3, s6, s3
	s_add_i32 s7, s7, s3
	v_add3_u32 v2, v10, s7, -1
	v_mov_b32_e32 v3, 0
	s_waitcnt lgkmcnt(0)
	v_lshl_add_u64 v[2:3], v[2:3], 3, s[8:9]
	global_load_dwordx2 v[2:3], v[2:3], off
	s_waitcnt vmcnt(0)
	v_mov_b32_e32 v4, v3
.LBB265_3:
	s_or_b64 exec, exec, s[4:5]
	v_add_u32_e32 v1, 0x100, v10
	v_cmp_le_u32_e32 vcc, s6, v1
	s_and_saveexec_b64 s[4:5], vcc
	s_xor_b64 s[4:5], exec, s[4:5]
	s_or_saveexec_b64 s[4:5], s[4:5]
	v_mov_b32_e32 v6, 0
	v_mov_b32_e32 v12, s2
	;; [unrolled: 1-line block ×3, first 2 shown]
	s_xor_b64 exec, exec, s[4:5]
	s_cbranch_execz .LBB265_5
; %bb.4:
	s_ashr_i32 s3, s2, 31
	v_ashrrev_i32_e32 v11, 31, v10
	v_lshl_add_u64 v[6:7], v[10:11], 0, s[2:3]
	s_waitcnt lgkmcnt(0)
	v_lshl_add_u64 v[6:7], v[6:7], 3, s[8:9]
	global_load_dwordx2 v[6:7], v[6:7], off offset:8
	v_mov_b32_e32 v12, s2
	s_waitcnt vmcnt(0)
	v_mov_b32_e32 v8, v7
.LBB265_5:
	s_or_b64 exec, exec, s[4:5]
	s_load_dwordx4 s[4:7], s[0:1], 0x18
	s_lshl_b32 s0, s11, 1
	s_add_i32 s10, s10, s11
	v_mov_b32_e32 v7, v6
	v_mov_b32_e32 v3, v2
	v_mov_b32_e32 v5, v4
	v_mov_b32_e32 v9, v8
	v_add_u32_e32 v10, s0, v10
	v_add_u32_e32 v0, s10, v0
	s_movk_i32 s1, 0xfe
.LBB265_6:                              ; =>This Inner Loop Header: Depth=1
	v_ashrrev_i32_e32 v1, 31, v0
	v_lshlrev_b64 v[16:17], 3, v[0:1]
	v_add_u32_e32 v14, v12, v0
	s_waitcnt lgkmcnt(0)
	v_lshl_add_u64 v[18:19], s[4:5], 0, v[16:17]
	v_ashrrev_i32_e32 v15, 31, v14
	v_lshl_add_u64 v[16:17], s[6:7], 0, v[16:17]
	global_load_dwordx2 v[20:21], v[18:19], off
	global_load_dwordx2 v[22:23], v[16:17], off
	v_lshl_add_u64 v[14:15], v[14:15], 3, s[8:9]
	global_load_dwordx2 v[16:17], v[14:15], off
	v_ashrrev_i32_e32 v11, 31, v10
	v_lshlrev_b64 v[24:25], 3, v[10:11]
	v_lshl_add_u64 v[26:27], s[4:5], 0, v[24:25]
	v_lshl_add_u64 v[24:25], s[6:7], 0, v[24:25]
	global_load_dwordx2 v[28:29], v[26:27], off
	global_load_dwordx2 v[30:31], v[24:25], off
	v_add_u32_e32 v18, v12, v10
	v_ashrrev_i32_e32 v19, 31, v18
	v_lshl_add_u64 v[18:19], v[18:19], 3, s[8:9]
	s_add_i32 s1, s1, -2
	v_add_u32_e32 v10, s0, v10
	v_add_u32_e32 v0, s0, v0
	s_cmp_lg_u32 s1, 0
	s_waitcnt vmcnt(4)
	v_xor_b32_e32 v24, 0x80000000, v21
	v_mov_b32_e32 v25, v20
	s_waitcnt vmcnt(3)
	v_xor_b32_e32 v26, 0x80000000, v23
	v_mov_b32_e32 v27, v22
	v_pk_mul_f32 v[24:25], v[4:5], v[24:25]
	v_pk_mul_f32 v[26:27], v[8:9], v[26:27]
	v_pk_fma_f32 v[20:21], v[20:21], v[2:3], v[24:25]
	v_pk_fma_f32 v[22:23], v[22:23], v[6:7], v[26:27]
	s_waitcnt vmcnt(2)
	v_pk_add_f32 v[16:17], v[16:17], v[20:21] neg_lo:[0,1] neg_hi:[0,1]
	s_waitcnt vmcnt(0)
	v_xor_b32_e32 v20, 0x80000000, v31
	v_pk_add_f32 v[16:17], v[16:17], v[22:23] neg_lo:[0,1] neg_hi:[0,1]
	global_store_dwordx2 v[14:15], v[16:17], off
	global_load_dwordx2 v[14:15], v[18:19], off
	v_xor_b32_e32 v16, 0x80000000, v29
	v_mov_b32_e32 v17, v28
	v_mov_b32_e32 v21, v30
	v_pk_mul_f32 v[16:17], v[4:5], v[16:17]
	v_pk_mul_f32 v[20:21], v[8:9], v[20:21]
	v_pk_fma_f32 v[16:17], v[28:29], v[2:3], v[16:17]
	v_pk_fma_f32 v[20:21], v[30:31], v[6:7], v[20:21]
	s_waitcnt vmcnt(0)
	v_pk_add_f32 v[14:15], v[14:15], v[16:17] neg_lo:[0,1] neg_hi:[0,1]
	s_nop 0
	v_pk_add_f32 v[14:15], v[14:15], v[20:21] neg_lo:[0,1] neg_hi:[0,1]
	global_store_dwordx2 v[18:19], v[14:15], off
	s_cbranch_scc1 .LBB265_6
.LBB265_7:
	s_endpgm
	.section	.rodata,"a",@progbits
	.p2align	6, 0x0
	.amdhsa_kernel _ZN9rocsparseL39gtsv_spike_backward_substitution_kernelILj256ELj256E21rocsparse_complex_numIfEEEviiiPT1_PKS3_S6_
		.amdhsa_group_segment_fixed_size 0
		.amdhsa_private_segment_fixed_size 0
		.amdhsa_kernarg_size 40
		.amdhsa_user_sgpr_count 2
		.amdhsa_user_sgpr_dispatch_ptr 0
		.amdhsa_user_sgpr_queue_ptr 0
		.amdhsa_user_sgpr_kernarg_segment_ptr 1
		.amdhsa_user_sgpr_dispatch_id 0
		.amdhsa_user_sgpr_kernarg_preload_length 0
		.amdhsa_user_sgpr_kernarg_preload_offset 0
		.amdhsa_user_sgpr_private_segment_size 0
		.amdhsa_uses_dynamic_stack 0
		.amdhsa_enable_private_segment 0
		.amdhsa_system_sgpr_workgroup_id_x 1
		.amdhsa_system_sgpr_workgroup_id_y 1
		.amdhsa_system_sgpr_workgroup_id_z 0
		.amdhsa_system_sgpr_workgroup_info 0
		.amdhsa_system_vgpr_workitem_id 0
		.amdhsa_next_free_vgpr 32
		.amdhsa_next_free_sgpr 12
		.amdhsa_accum_offset 32
		.amdhsa_reserve_vcc 1
		.amdhsa_float_round_mode_32 0
		.amdhsa_float_round_mode_16_64 0
		.amdhsa_float_denorm_mode_32 3
		.amdhsa_float_denorm_mode_16_64 3
		.amdhsa_dx10_clamp 1
		.amdhsa_ieee_mode 1
		.amdhsa_fp16_overflow 0
		.amdhsa_tg_split 0
		.amdhsa_exception_fp_ieee_invalid_op 0
		.amdhsa_exception_fp_denorm_src 0
		.amdhsa_exception_fp_ieee_div_zero 0
		.amdhsa_exception_fp_ieee_overflow 0
		.amdhsa_exception_fp_ieee_underflow 0
		.amdhsa_exception_fp_ieee_inexact 0
		.amdhsa_exception_int_div_zero 0
	.end_amdhsa_kernel
	.section	.text._ZN9rocsparseL39gtsv_spike_backward_substitution_kernelILj256ELj256E21rocsparse_complex_numIfEEEviiiPT1_PKS3_S6_,"axG",@progbits,_ZN9rocsparseL39gtsv_spike_backward_substitution_kernelILj256ELj256E21rocsparse_complex_numIfEEEviiiPT1_PKS3_S6_,comdat
.Lfunc_end265:
	.size	_ZN9rocsparseL39gtsv_spike_backward_substitution_kernelILj256ELj256E21rocsparse_complex_numIfEEEviiiPT1_PKS3_S6_, .Lfunc_end265-_ZN9rocsparseL39gtsv_spike_backward_substitution_kernelILj256ELj256E21rocsparse_complex_numIfEEEviiiPT1_PKS3_S6_
                                        ; -- End function
	.set _ZN9rocsparseL39gtsv_spike_backward_substitution_kernelILj256ELj256E21rocsparse_complex_numIfEEEviiiPT1_PKS3_S6_.num_vgpr, 32
	.set _ZN9rocsparseL39gtsv_spike_backward_substitution_kernelILj256ELj256E21rocsparse_complex_numIfEEEviiiPT1_PKS3_S6_.num_agpr, 0
	.set _ZN9rocsparseL39gtsv_spike_backward_substitution_kernelILj256ELj256E21rocsparse_complex_numIfEEEviiiPT1_PKS3_S6_.numbered_sgpr, 12
	.set _ZN9rocsparseL39gtsv_spike_backward_substitution_kernelILj256ELj256E21rocsparse_complex_numIfEEEviiiPT1_PKS3_S6_.num_named_barrier, 0
	.set _ZN9rocsparseL39gtsv_spike_backward_substitution_kernelILj256ELj256E21rocsparse_complex_numIfEEEviiiPT1_PKS3_S6_.private_seg_size, 0
	.set _ZN9rocsparseL39gtsv_spike_backward_substitution_kernelILj256ELj256E21rocsparse_complex_numIfEEEviiiPT1_PKS3_S6_.uses_vcc, 1
	.set _ZN9rocsparseL39gtsv_spike_backward_substitution_kernelILj256ELj256E21rocsparse_complex_numIfEEEviiiPT1_PKS3_S6_.uses_flat_scratch, 0
	.set _ZN9rocsparseL39gtsv_spike_backward_substitution_kernelILj256ELj256E21rocsparse_complex_numIfEEEviiiPT1_PKS3_S6_.has_dyn_sized_stack, 0
	.set _ZN9rocsparseL39gtsv_spike_backward_substitution_kernelILj256ELj256E21rocsparse_complex_numIfEEEviiiPT1_PKS3_S6_.has_recursion, 0
	.set _ZN9rocsparseL39gtsv_spike_backward_substitution_kernelILj256ELj256E21rocsparse_complex_numIfEEEviiiPT1_PKS3_S6_.has_indirect_call, 0
	.section	.AMDGPU.csdata,"",@progbits
; Kernel info:
; codeLenInByte = 616
; TotalNumSgprs: 18
; NumVgprs: 32
; NumAgprs: 0
; TotalNumVgprs: 32
; ScratchSize: 0
; MemoryBound: 0
; FloatMode: 240
; IeeeMode: 1
; LDSByteSize: 0 bytes/workgroup (compile time only)
; SGPRBlocks: 2
; VGPRBlocks: 3
; NumSGPRsForWavesPerEU: 18
; NumVGPRsForWavesPerEU: 32
; AccumOffset: 32
; Occupancy: 8
; WaveLimiterHint : 0
; COMPUTE_PGM_RSRC2:SCRATCH_EN: 0
; COMPUTE_PGM_RSRC2:USER_SGPR: 2
; COMPUTE_PGM_RSRC2:TRAP_HANDLER: 0
; COMPUTE_PGM_RSRC2:TGID_X_EN: 1
; COMPUTE_PGM_RSRC2:TGID_Y_EN: 1
; COMPUTE_PGM_RSRC2:TGID_Z_EN: 0
; COMPUTE_PGM_RSRC2:TIDIG_COMP_CNT: 0
; COMPUTE_PGM_RSRC3_GFX90A:ACCUM_OFFSET: 7
; COMPUTE_PGM_RSRC3_GFX90A:TG_SPLIT: 0
	.section	.text._ZN9rocsparseL32gtsv_transpose_back_array_kernelILj256ELj256E21rocsparse_complex_numIfEEEviiiPKT1_PS3_,"axG",@progbits,_ZN9rocsparseL32gtsv_transpose_back_array_kernelILj256ELj256E21rocsparse_complex_numIfEEEviiiPKT1_PS3_,comdat
	.globl	_ZN9rocsparseL32gtsv_transpose_back_array_kernelILj256ELj256E21rocsparse_complex_numIfEEEviiiPKT1_PS3_ ; -- Begin function _ZN9rocsparseL32gtsv_transpose_back_array_kernelILj256ELj256E21rocsparse_complex_numIfEEEviiiPKT1_PS3_
	.p2align	8
	.type	_ZN9rocsparseL32gtsv_transpose_back_array_kernelILj256ELj256E21rocsparse_complex_numIfEEEviiiPKT1_PS3_,@function
_ZN9rocsparseL32gtsv_transpose_back_array_kernelILj256ELj256E21rocsparse_complex_numIfEEEviiiPKT1_PS3_: ; @_ZN9rocsparseL32gtsv_transpose_back_array_kernelILj256ELj256E21rocsparse_complex_numIfEEEviiiPKT1_PS3_
; %bb.0:
	s_load_dwordx4 s[4:7], s[0:1], 0x0
	v_lshl_or_b32 v0, s2, 8, v0
	v_lshlrev_b32_e32 v2, 8, v0
	s_waitcnt lgkmcnt(0)
	v_cvt_f32_u32_e32 v1, s5
	s_sub_i32 s2, 0, s5
	v_rcp_iflag_f32_e32 v1, v1
	s_nop 0
	v_mul_f32_e32 v1, 0x4f7ffffe, v1
	v_cvt_u32_f32_e32 v1, v1
	v_mul_lo_u32 v3, s2, v1
	v_mul_hi_u32 v3, v1, v3
	v_add_u32_e32 v1, v1, v3
	v_mul_hi_u32 v1, v2, v1
	v_mul_lo_u32 v3, v1, s5
	v_sub_u32_e32 v3, v2, v3
	v_add_u32_e32 v4, 1, v1
	v_cmp_le_u32_e32 vcc, s5, v3
	s_nop 1
	v_cndmask_b32_e32 v1, v1, v4, vcc
	v_subrev_u32_e32 v4, s5, v3
	v_cndmask_b32_e32 v3, v3, v4, vcc
	v_add_u32_e32 v4, 1, v1
	v_cmp_le_u32_e32 vcc, s5, v3
	s_nop 1
	v_cndmask_b32_e32 v1, v1, v4, vcc
	v_mul_lo_u32 v3, v1, s5
	v_sub_u32_e32 v2, v2, v3
	v_add_u32_e32 v1, v1, v2
	v_cmp_gt_i32_e32 vcc, s4, v1
	s_and_saveexec_b64 s[8:9], vcc
	s_cbranch_execz .LBB266_2
; %bb.1:
	s_load_dwordx4 s[8:11], s[0:1], 0x10
	s_mul_i32 s0, s5, s3
	v_add_u32_e32 v2, s0, v0
	v_ashrrev_i32_e32 v3, 31, v2
	s_mul_i32 s0, s6, s3
	s_waitcnt lgkmcnt(0)
	v_lshl_add_u64 v[2:3], v[2:3], 3, s[8:9]
	global_load_dwordx2 v[2:3], v[2:3], off
	v_add_u32_e32 v0, s0, v1
	v_ashrrev_i32_e32 v1, 31, v0
	v_lshl_add_u64 v[0:1], v[0:1], 3, s[10:11]
	s_waitcnt vmcnt(0)
	global_store_dwordx2 v[0:1], v[2:3], off
.LBB266_2:
	s_endpgm
	.section	.rodata,"a",@progbits
	.p2align	6, 0x0
	.amdhsa_kernel _ZN9rocsparseL32gtsv_transpose_back_array_kernelILj256ELj256E21rocsparse_complex_numIfEEEviiiPKT1_PS3_
		.amdhsa_group_segment_fixed_size 0
		.amdhsa_private_segment_fixed_size 0
		.amdhsa_kernarg_size 32
		.amdhsa_user_sgpr_count 2
		.amdhsa_user_sgpr_dispatch_ptr 0
		.amdhsa_user_sgpr_queue_ptr 0
		.amdhsa_user_sgpr_kernarg_segment_ptr 1
		.amdhsa_user_sgpr_dispatch_id 0
		.amdhsa_user_sgpr_kernarg_preload_length 0
		.amdhsa_user_sgpr_kernarg_preload_offset 0
		.amdhsa_user_sgpr_private_segment_size 0
		.amdhsa_uses_dynamic_stack 0
		.amdhsa_enable_private_segment 0
		.amdhsa_system_sgpr_workgroup_id_x 1
		.amdhsa_system_sgpr_workgroup_id_y 1
		.amdhsa_system_sgpr_workgroup_id_z 0
		.amdhsa_system_sgpr_workgroup_info 0
		.amdhsa_system_vgpr_workitem_id 0
		.amdhsa_next_free_vgpr 5
		.amdhsa_next_free_sgpr 12
		.amdhsa_accum_offset 8
		.amdhsa_reserve_vcc 1
		.amdhsa_float_round_mode_32 0
		.amdhsa_float_round_mode_16_64 0
		.amdhsa_float_denorm_mode_32 3
		.amdhsa_float_denorm_mode_16_64 3
		.amdhsa_dx10_clamp 1
		.amdhsa_ieee_mode 1
		.amdhsa_fp16_overflow 0
		.amdhsa_tg_split 0
		.amdhsa_exception_fp_ieee_invalid_op 0
		.amdhsa_exception_fp_denorm_src 0
		.amdhsa_exception_fp_ieee_div_zero 0
		.amdhsa_exception_fp_ieee_overflow 0
		.amdhsa_exception_fp_ieee_underflow 0
		.amdhsa_exception_fp_ieee_inexact 0
		.amdhsa_exception_int_div_zero 0
	.end_amdhsa_kernel
	.section	.text._ZN9rocsparseL32gtsv_transpose_back_array_kernelILj256ELj256E21rocsparse_complex_numIfEEEviiiPKT1_PS3_,"axG",@progbits,_ZN9rocsparseL32gtsv_transpose_back_array_kernelILj256ELj256E21rocsparse_complex_numIfEEEviiiPKT1_PS3_,comdat
.Lfunc_end266:
	.size	_ZN9rocsparseL32gtsv_transpose_back_array_kernelILj256ELj256E21rocsparse_complex_numIfEEEviiiPKT1_PS3_, .Lfunc_end266-_ZN9rocsparseL32gtsv_transpose_back_array_kernelILj256ELj256E21rocsparse_complex_numIfEEEviiiPKT1_PS3_
                                        ; -- End function
	.set _ZN9rocsparseL32gtsv_transpose_back_array_kernelILj256ELj256E21rocsparse_complex_numIfEEEviiiPKT1_PS3_.num_vgpr, 5
	.set _ZN9rocsparseL32gtsv_transpose_back_array_kernelILj256ELj256E21rocsparse_complex_numIfEEEviiiPKT1_PS3_.num_agpr, 0
	.set _ZN9rocsparseL32gtsv_transpose_back_array_kernelILj256ELj256E21rocsparse_complex_numIfEEEviiiPKT1_PS3_.numbered_sgpr, 12
	.set _ZN9rocsparseL32gtsv_transpose_back_array_kernelILj256ELj256E21rocsparse_complex_numIfEEEviiiPKT1_PS3_.num_named_barrier, 0
	.set _ZN9rocsparseL32gtsv_transpose_back_array_kernelILj256ELj256E21rocsparse_complex_numIfEEEviiiPKT1_PS3_.private_seg_size, 0
	.set _ZN9rocsparseL32gtsv_transpose_back_array_kernelILj256ELj256E21rocsparse_complex_numIfEEEviiiPKT1_PS3_.uses_vcc, 1
	.set _ZN9rocsparseL32gtsv_transpose_back_array_kernelILj256ELj256E21rocsparse_complex_numIfEEEviiiPKT1_PS3_.uses_flat_scratch, 0
	.set _ZN9rocsparseL32gtsv_transpose_back_array_kernelILj256ELj256E21rocsparse_complex_numIfEEEviiiPKT1_PS3_.has_dyn_sized_stack, 0
	.set _ZN9rocsparseL32gtsv_transpose_back_array_kernelILj256ELj256E21rocsparse_complex_numIfEEEviiiPKT1_PS3_.has_recursion, 0
	.set _ZN9rocsparseL32gtsv_transpose_back_array_kernelILj256ELj256E21rocsparse_complex_numIfEEEviiiPKT1_PS3_.has_indirect_call, 0
	.section	.AMDGPU.csdata,"",@progbits
; Kernel info:
; codeLenInByte = 236
; TotalNumSgprs: 18
; NumVgprs: 5
; NumAgprs: 0
; TotalNumVgprs: 5
; ScratchSize: 0
; MemoryBound: 0
; FloatMode: 240
; IeeeMode: 1
; LDSByteSize: 0 bytes/workgroup (compile time only)
; SGPRBlocks: 2
; VGPRBlocks: 0
; NumSGPRsForWavesPerEU: 18
; NumVGPRsForWavesPerEU: 5
; AccumOffset: 8
; Occupancy: 8
; WaveLimiterHint : 0
; COMPUTE_PGM_RSRC2:SCRATCH_EN: 0
; COMPUTE_PGM_RSRC2:USER_SGPR: 2
; COMPUTE_PGM_RSRC2:TRAP_HANDLER: 0
; COMPUTE_PGM_RSRC2:TGID_X_EN: 1
; COMPUTE_PGM_RSRC2:TGID_Y_EN: 1
; COMPUTE_PGM_RSRC2:TGID_Z_EN: 0
; COMPUTE_PGM_RSRC2:TIDIG_COMP_CNT: 0
; COMPUTE_PGM_RSRC3_GFX90A:ACCUM_OFFSET: 1
; COMPUTE_PGM_RSRC3_GFX90A:TG_SPLIT: 0
	.section	.text._ZN9rocsparseL42gtsv_transpose_and_pad_array_shared_kernelILj256ELj2E21rocsparse_complex_numIdEEEviiiPKT1_PS3_S3_,"axG",@progbits,_ZN9rocsparseL42gtsv_transpose_and_pad_array_shared_kernelILj256ELj2E21rocsparse_complex_numIdEEEviiiPKT1_PS3_S3_,comdat
	.globl	_ZN9rocsparseL42gtsv_transpose_and_pad_array_shared_kernelILj256ELj2E21rocsparse_complex_numIdEEEviiiPKT1_PS3_S3_ ; -- Begin function _ZN9rocsparseL42gtsv_transpose_and_pad_array_shared_kernelILj256ELj2E21rocsparse_complex_numIdEEEviiiPKT1_PS3_S3_
	.p2align	8
	.type	_ZN9rocsparseL42gtsv_transpose_and_pad_array_shared_kernelILj256ELj2E21rocsparse_complex_numIdEEEviiiPKT1_PS3_S3_,@function
_ZN9rocsparseL42gtsv_transpose_and_pad_array_shared_kernelILj256ELj2E21rocsparse_complex_numIdEEEviiiPKT1_PS3_S3_: ; @_ZN9rocsparseL42gtsv_transpose_and_pad_array_shared_kernelILj256ELj2E21rocsparse_complex_numIdEEEviiiPKT1_PS3_S3_
; %bb.0:
	s_load_dwordx4 s[4:7], s[0:1], 0x0
	v_lshl_or_b32 v2, s2, 8, v0
	v_lshlrev_b32_e32 v1, 4, v0
	s_waitcnt lgkmcnt(0)
	v_cmp_le_i32_e32 vcc, s4, v2
	s_and_saveexec_b64 s[8:9], vcc
	s_xor_b64 s[8:9], exec, s[8:9]
	s_cbranch_execz .LBB267_2
; %bb.1:
	s_load_dwordx4 s[12:15], s[0:1], 0x20
	s_waitcnt lgkmcnt(0)
	v_mov_b64_e32 v[2:3], s[12:13]
	v_mov_b64_e32 v[4:5], s[14:15]
	ds_write_b128 v1, v[2:5]
                                        ; implicit-def: $vgpr2
                                        ; implicit-def: $vgpr1
.LBB267_2:
	s_andn2_saveexec_b64 s[8:9], s[8:9]
	s_cbranch_execz .LBB267_4
; %bb.3:
	s_load_dwordx2 s[10:11], s[0:1], 0x10
	s_mul_i32 s4, s6, s3
	v_add_u32_e32 v2, s4, v2
	v_ashrrev_i32_e32 v3, 31, v2
	s_waitcnt lgkmcnt(0)
	v_lshl_add_u64 v[2:3], v[2:3], 4, s[10:11]
	global_load_dwordx4 v[2:5], v[2:3], off
	s_waitcnt vmcnt(0)
	ds_write2_b64 v1, v[2:3], v[4:5] offset1:1
.LBB267_4:
	s_or_b64 exec, exec, s[8:9]
	v_and_b32_e32 v3, 0x7f, v0
	v_lshrrev_b32_e32 v2, 7, v0
	s_lshr_b32 s4, s5, 1
	v_lshl_or_b32 v0, s2, 7, v3
	v_mad_u64_u32 v[0:1], s[6:7], s4, v2, v[0:1]
	v_cmp_gt_i32_e32 vcc, s5, v0
	s_waitcnt lgkmcnt(0)
	s_barrier
	s_and_saveexec_b64 s[6:7], vcc
	s_cbranch_execz .LBB267_6
; %bb.5:
	v_lshlrev_b32_e32 v1, 4, v2
	s_load_dwordx2 s[0:1], s[0:1], 0x18
	v_lshl_or_b32 v1, v3, 5, v1
	ds_read2_b64 v[2:5], v1 offset1:1
	s_mul_i32 s2, s5, s3
	v_add_u32_e32 v0, s2, v0
	v_ashrrev_i32_e32 v1, 31, v0
	s_waitcnt lgkmcnt(0)
	v_lshl_add_u64 v[0:1], v[0:1], 4, s[0:1]
	global_store_dwordx4 v[0:1], v[2:5], off
.LBB267_6:
	s_endpgm
	.section	.rodata,"a",@progbits
	.p2align	6, 0x0
	.amdhsa_kernel _ZN9rocsparseL42gtsv_transpose_and_pad_array_shared_kernelILj256ELj2E21rocsparse_complex_numIdEEEviiiPKT1_PS3_S3_
		.amdhsa_group_segment_fixed_size 4096
		.amdhsa_private_segment_fixed_size 0
		.amdhsa_kernarg_size 48
		.amdhsa_user_sgpr_count 2
		.amdhsa_user_sgpr_dispatch_ptr 0
		.amdhsa_user_sgpr_queue_ptr 0
		.amdhsa_user_sgpr_kernarg_segment_ptr 1
		.amdhsa_user_sgpr_dispatch_id 0
		.amdhsa_user_sgpr_kernarg_preload_length 0
		.amdhsa_user_sgpr_kernarg_preload_offset 0
		.amdhsa_user_sgpr_private_segment_size 0
		.amdhsa_uses_dynamic_stack 0
		.amdhsa_enable_private_segment 0
		.amdhsa_system_sgpr_workgroup_id_x 1
		.amdhsa_system_sgpr_workgroup_id_y 1
		.amdhsa_system_sgpr_workgroup_id_z 0
		.amdhsa_system_sgpr_workgroup_info 0
		.amdhsa_system_vgpr_workitem_id 0
		.amdhsa_next_free_vgpr 6
		.amdhsa_next_free_sgpr 16
		.amdhsa_accum_offset 8
		.amdhsa_reserve_vcc 1
		.amdhsa_float_round_mode_32 0
		.amdhsa_float_round_mode_16_64 0
		.amdhsa_float_denorm_mode_32 3
		.amdhsa_float_denorm_mode_16_64 3
		.amdhsa_dx10_clamp 1
		.amdhsa_ieee_mode 1
		.amdhsa_fp16_overflow 0
		.amdhsa_tg_split 0
		.amdhsa_exception_fp_ieee_invalid_op 0
		.amdhsa_exception_fp_denorm_src 0
		.amdhsa_exception_fp_ieee_div_zero 0
		.amdhsa_exception_fp_ieee_overflow 0
		.amdhsa_exception_fp_ieee_underflow 0
		.amdhsa_exception_fp_ieee_inexact 0
		.amdhsa_exception_int_div_zero 0
	.end_amdhsa_kernel
	.section	.text._ZN9rocsparseL42gtsv_transpose_and_pad_array_shared_kernelILj256ELj2E21rocsparse_complex_numIdEEEviiiPKT1_PS3_S3_,"axG",@progbits,_ZN9rocsparseL42gtsv_transpose_and_pad_array_shared_kernelILj256ELj2E21rocsparse_complex_numIdEEEviiiPKT1_PS3_S3_,comdat
.Lfunc_end267:
	.size	_ZN9rocsparseL42gtsv_transpose_and_pad_array_shared_kernelILj256ELj2E21rocsparse_complex_numIdEEEviiiPKT1_PS3_S3_, .Lfunc_end267-_ZN9rocsparseL42gtsv_transpose_and_pad_array_shared_kernelILj256ELj2E21rocsparse_complex_numIdEEEviiiPKT1_PS3_S3_
                                        ; -- End function
	.set _ZN9rocsparseL42gtsv_transpose_and_pad_array_shared_kernelILj256ELj2E21rocsparse_complex_numIdEEEviiiPKT1_PS3_S3_.num_vgpr, 6
	.set _ZN9rocsparseL42gtsv_transpose_and_pad_array_shared_kernelILj256ELj2E21rocsparse_complex_numIdEEEviiiPKT1_PS3_S3_.num_agpr, 0
	.set _ZN9rocsparseL42gtsv_transpose_and_pad_array_shared_kernelILj256ELj2E21rocsparse_complex_numIdEEEviiiPKT1_PS3_S3_.numbered_sgpr, 16
	.set _ZN9rocsparseL42gtsv_transpose_and_pad_array_shared_kernelILj256ELj2E21rocsparse_complex_numIdEEEviiiPKT1_PS3_S3_.num_named_barrier, 0
	.set _ZN9rocsparseL42gtsv_transpose_and_pad_array_shared_kernelILj256ELj2E21rocsparse_complex_numIdEEEviiiPKT1_PS3_S3_.private_seg_size, 0
	.set _ZN9rocsparseL42gtsv_transpose_and_pad_array_shared_kernelILj256ELj2E21rocsparse_complex_numIdEEEviiiPKT1_PS3_S3_.uses_vcc, 1
	.set _ZN9rocsparseL42gtsv_transpose_and_pad_array_shared_kernelILj256ELj2E21rocsparse_complex_numIdEEEviiiPKT1_PS3_S3_.uses_flat_scratch, 0
	.set _ZN9rocsparseL42gtsv_transpose_and_pad_array_shared_kernelILj256ELj2E21rocsparse_complex_numIdEEEviiiPKT1_PS3_S3_.has_dyn_sized_stack, 0
	.set _ZN9rocsparseL42gtsv_transpose_and_pad_array_shared_kernelILj256ELj2E21rocsparse_complex_numIdEEEviiiPKT1_PS3_S3_.has_recursion, 0
	.set _ZN9rocsparseL42gtsv_transpose_and_pad_array_shared_kernelILj256ELj2E21rocsparse_complex_numIdEEEviiiPKT1_PS3_S3_.has_indirect_call, 0
	.section	.AMDGPU.csdata,"",@progbits
; Kernel info:
; codeLenInByte = 248
; TotalNumSgprs: 22
; NumVgprs: 6
; NumAgprs: 0
; TotalNumVgprs: 6
; ScratchSize: 0
; MemoryBound: 0
; FloatMode: 240
; IeeeMode: 1
; LDSByteSize: 4096 bytes/workgroup (compile time only)
; SGPRBlocks: 2
; VGPRBlocks: 0
; NumSGPRsForWavesPerEU: 22
; NumVGPRsForWavesPerEU: 6
; AccumOffset: 8
; Occupancy: 8
; WaveLimiterHint : 0
; COMPUTE_PGM_RSRC2:SCRATCH_EN: 0
; COMPUTE_PGM_RSRC2:USER_SGPR: 2
; COMPUTE_PGM_RSRC2:TRAP_HANDLER: 0
; COMPUTE_PGM_RSRC2:TGID_X_EN: 1
; COMPUTE_PGM_RSRC2:TGID_Y_EN: 1
; COMPUTE_PGM_RSRC2:TGID_Z_EN: 0
; COMPUTE_PGM_RSRC2:TIDIG_COMP_CNT: 0
; COMPUTE_PGM_RSRC3_GFX90A:ACCUM_OFFSET: 1
; COMPUTE_PGM_RSRC3_GFX90A:TG_SPLIT: 0
	.section	.text._ZN9rocsparseL18gtsv_LBM_wv_kernelILj256ELj2E21rocsparse_complex_numIdEEEviiiPKT1_S5_S5_PS3_S6_S6_Pi,"axG",@progbits,_ZN9rocsparseL18gtsv_LBM_wv_kernelILj256ELj2E21rocsparse_complex_numIdEEEviiiPKT1_S5_S5_PS3_S6_S6_Pi,comdat
	.globl	_ZN9rocsparseL18gtsv_LBM_wv_kernelILj256ELj2E21rocsparse_complex_numIdEEEviiiPKT1_S5_S5_PS3_S6_S6_Pi ; -- Begin function _ZN9rocsparseL18gtsv_LBM_wv_kernelILj256ELj2E21rocsparse_complex_numIdEEEviiiPKT1_S5_S5_PS3_S6_S6_Pi
	.p2align	8
	.type	_ZN9rocsparseL18gtsv_LBM_wv_kernelILj256ELj2E21rocsparse_complex_numIdEEEviiiPKT1_S5_S5_PS3_S6_S6_Pi,@function
_ZN9rocsparseL18gtsv_LBM_wv_kernelILj256ELj2E21rocsparse_complex_numIdEEEviiiPKT1_S5_S5_PS3_S6_S6_Pi: ; @_ZN9rocsparseL18gtsv_LBM_wv_kernelILj256ELj2E21rocsparse_complex_numIdEEEviiiPKT1_S5_S5_PS3_S6_S6_Pi
; %bb.0:
	s_load_dword s27, s[0:1], 0x0
	v_lshl_or_b32 v36, s2, 8, v0
	s_waitcnt lgkmcnt(0)
	s_lshr_b32 s26, s27, 1
	v_cmp_gt_i32_e32 vcc, s26, v36
	s_and_saveexec_b64 s[2:3], vcc
	s_cbranch_execz .LBB268_62
; %bb.1:
	s_load_dwordx2 s[14:15], s[0:1], 0x10
	s_load_dwordx8 s[4:11], s[0:1], 0x20
	v_ashrrev_i32_e32 v37, 31, v36
	v_add_u32_e32 v38, s26, v36
	v_lshlrev_b64 v[8:9], 4, v[36:37]
	v_mov_b32_e32 v39, 0
	s_waitcnt lgkmcnt(0)
	v_lshl_add_u64 v[0:1], s[14:15], 0, v[8:9]
	v_lshlrev_b64 v[10:11], 4, v[38:39]
	global_load_dwordx4 v[0:3], v[0:1], off
	v_lshl_add_u64 v[4:5], s[4:5], 0, v[10:11]
	global_load_dwordx4 v[4:7], v[4:5], off
	s_load_dwordx2 s[12:13], s[0:1], 0x40
	s_cmp_lt_i32 s27, 1
	v_lshl_add_u64 v[40:41], s[6:7], 0, v[8:9]
	v_mov_b32_e32 v42, v39
	v_lshl_add_u64 v[8:9], s[8:9], 0, v[10:11]
	s_waitcnt vmcnt(1)
	global_store_dwordx4 v[40:41], v[0:3], off
	s_waitcnt vmcnt(1)
	global_store_dwordx4 v[8:9], v[4:7], off
	s_cbranch_scc1 .LBB268_55
; %bb.2:
	s_load_dwordx2 s[16:17], s[0:1], 0x18
	s_mov_b32 s20, 0
	s_mov_b32 s22, 0x372fe950
	s_and_b32 s28, s27, 0x7ffffffe
	v_mov_b32_e32 v42, 0
	s_waitcnt lgkmcnt(0)
	v_lshl_add_u64 v[0:1], v[36:37], 4, s[16:17]
	global_load_dwordx4 v[0:3], v[0:1], off
	s_mov_b64 s[18:19], 0
	s_brev_b32 s21, 8
	v_mov_b32_e32 v37, 0x260
	s_mov_b32 s23, 0x3fe3c6ef
	v_mov_b32_e32 v39, 2
	v_mov_b32_e32 v56, 1
	v_mov_b32_e32 v57, 0x100
	v_mov_b32_e32 v58, 0xffffff80
	s_branch .LBB268_5
.LBB268_3:                              ;   in Loop: Header=BB268_5 Depth=1
	s_or_b64 exec, exec, s[24:25]
	v_mul_f64 v[4:5], v[2:3], -v[48:49]
	v_mul_f64 v[2:3], v[2:3], v[46:47]
	v_fmac_f64_e32 v[4:5], v[46:47], v[0:1]
	v_fmac_f64_e32 v[2:3], v[48:49], v[0:1]
	v_add_f64 v[16:17], v[8:9], -v[4:5]
	v_add_f64 v[18:19], v[10:11], -v[2:3]
	v_mov_b32_e32 v20, s26
.LBB268_4:                              ;   in Loop: Header=BB268_5 Depth=1
	s_or_b64 exec, exec, s[2:3]
	v_add_u32_e32 v42, v20, v42
	v_cmp_le_i32_e32 vcc, s27, v42
	s_or_b64 s[18:19], vcc, s[18:19]
	v_mov_b64_e32 v[2:3], v[18:19]
	v_mov_b64_e32 v[0:1], v[16:17]
	s_andn2_b64 exec, exec, s[18:19]
	s_cbranch_execz .LBB268_54
.LBB268_5:                              ; =>This Inner Loop Header: Depth=1
	v_add_u32_e32 v44, v42, v36
	v_ashrrev_i32_e32 v45, 31, v44
	v_lshl_add_u64 v[4:5], v[44:45], 4, s[4:5]
	global_load_dwordx4 v[12:15], v[4:5], off
	v_cmp_gt_u32_e64 s[0:1], s26, v42
	v_mov_b64_e32 v[8:9], 0
	v_mov_b64_e32 v[4:5], 0
	;; [unrolled: 1-line block ×3, first 2 shown]
	s_and_saveexec_b64 s[2:3], s[0:1]
	s_cbranch_execz .LBB268_7
; %bb.6:                                ;   in Loop: Header=BB268_5 Depth=1
	v_add_u32_e32 v4, v38, v42
	v_ashrrev_i32_e32 v5, 31, v4
	v_lshl_add_u64 v[4:5], v[4:5], 4, s[14:15]
	global_load_dwordx4 v[4:7], v[4:5], off
.LBB268_7:                              ;   in Loop: Header=BB268_5 Depth=1
	s_or_b64 exec, exec, s[2:3]
	v_mov_b64_e32 v[10:11], 0
	s_and_saveexec_b64 s[2:3], s[0:1]
	s_cbranch_execz .LBB268_9
; %bb.8:                                ;   in Loop: Header=BB268_5 Depth=1
	v_add_u32_e32 v8, v38, v42
	v_ashrrev_i32_e32 v9, 31, v8
	v_lshl_add_u64 v[8:9], v[8:9], 4, s[16:17]
	global_load_dwordx4 v[8:11], v[8:9], off
.LBB268_9:                              ;   in Loop: Header=BB268_5 Depth=1
	s_or_b64 exec, exec, s[2:3]
	v_mov_b64_e32 v[16:17], 0
	v_mov_b64_e32 v[18:19], 0
	s_and_saveexec_b64 s[2:3], s[0:1]
	s_cbranch_execz .LBB268_11
; %bb.10:                               ;   in Loop: Header=BB268_5 Depth=1
	v_add_u32_e32 v16, v38, v42
	v_ashrrev_i32_e32 v17, 31, v16
	v_lshl_add_u64 v[16:17], v[16:17], 4, s[4:5]
	global_load_dwordx4 v[16:19], v[16:17], off
.LBB268_11:                             ;   in Loop: Header=BB268_5 Depth=1
	s_or_b64 exec, exec, s[2:3]
	s_waitcnt vmcnt(0)
	v_xor_b32_e32 v20, 0x80000000, v5
	v_cmp_gt_f64_e32 vcc, 0, v[4:5]
	v_mov_b32_e32 v22, v4
	v_mov_b32_e32 v24, v6
	v_cndmask_b32_e32 v23, v5, v20, vcc
	v_xor_b32_e32 v20, 0x80000000, v7
	v_cmp_gt_f64_e32 vcc, 0, v[6:7]
	s_nop 1
	v_cndmask_b32_e32 v25, v7, v20, vcc
	v_cmp_ngt_f64_e32 vcc, v[22:23], v[24:25]
                                        ; implicit-def: $vgpr20_vgpr21
	s_and_saveexec_b64 s[2:3], vcc
	s_xor_b64 s[2:3], exec, s[2:3]
	s_cbranch_execz .LBB268_15
; %bb.12:                               ;   in Loop: Header=BB268_5 Depth=1
	v_mov_b64_e32 v[20:21], 0
	v_cmp_neq_f64_e32 vcc, 0, v[6:7]
	s_and_saveexec_b64 s[24:25], vcc
	s_cbranch_execz .LBB268_14
; %bb.13:                               ;   in Loop: Header=BB268_5 Depth=1
	v_div_scale_f64 v[20:21], s[30:31], v[24:25], v[24:25], v[22:23]
	v_rcp_f64_e32 v[26:27], v[20:21]
	v_div_scale_f64 v[28:29], vcc, v[22:23], v[24:25], v[22:23]
	v_fma_f64 v[30:31], -v[20:21], v[26:27], 1.0
	v_fmac_f64_e32 v[26:27], v[26:27], v[30:31]
	v_fma_f64 v[30:31], -v[20:21], v[26:27], 1.0
	v_fmac_f64_e32 v[26:27], v[26:27], v[30:31]
	v_mul_f64 v[30:31], v[28:29], v[26:27]
	v_fma_f64 v[20:21], -v[20:21], v[30:31], v[28:29]
	v_div_fmas_f64 v[20:21], v[20:21], v[26:27], v[30:31]
	v_div_fixup_f64 v[20:21], v[20:21], v[24:25], v[22:23]
	v_fma_f64 v[20:21], v[20:21], v[20:21], 1.0
	v_cmp_gt_f64_e32 vcc, s[20:21], v[20:21]
	s_nop 1
	v_cndmask_b32_e32 v22, 0, v57, vcc
	v_ldexp_f64 v[20:21], v[20:21], v22
	v_rsq_f64_e32 v[22:23], v[20:21]
	s_nop 0
	v_mul_f64 v[26:27], v[20:21], v[22:23]
	v_mul_f64 v[22:23], v[22:23], 0.5
	v_fma_f64 v[28:29], -v[22:23], v[26:27], 0.5
	v_fmac_f64_e32 v[26:27], v[26:27], v[28:29]
	v_fma_f64 v[30:31], -v[26:27], v[26:27], v[20:21]
	v_fmac_f64_e32 v[22:23], v[22:23], v[28:29]
	v_fmac_f64_e32 v[26:27], v[30:31], v[22:23]
	v_fma_f64 v[28:29], -v[26:27], v[26:27], v[20:21]
	v_fmac_f64_e32 v[26:27], v[28:29], v[22:23]
	v_cndmask_b32_e32 v22, 0, v58, vcc
	v_ldexp_f64 v[22:23], v[26:27], v22
	v_cmp_class_f64_e32 vcc, v[20:21], v37
	s_nop 1
	v_cndmask_b32_e32 v21, v23, v21, vcc
	v_cndmask_b32_e32 v20, v22, v20, vcc
	v_mul_f64 v[20:21], v[24:25], v[20:21]
.LBB268_14:                             ;   in Loop: Header=BB268_5 Depth=1
	s_or_b64 exec, exec, s[24:25]
                                        ; implicit-def: $vgpr22_vgpr23
                                        ; implicit-def: $vgpr24_vgpr25
.LBB268_15:                             ;   in Loop: Header=BB268_5 Depth=1
	s_andn2_saveexec_b64 s[2:3], s[2:3]
	s_cbranch_execz .LBB268_17
; %bb.16:                               ;   in Loop: Header=BB268_5 Depth=1
	v_div_scale_f64 v[20:21], s[24:25], v[22:23], v[22:23], v[24:25]
	v_rcp_f64_e32 v[26:27], v[20:21]
	v_div_scale_f64 v[28:29], vcc, v[24:25], v[22:23], v[24:25]
	v_fma_f64 v[30:31], -v[20:21], v[26:27], 1.0
	v_fmac_f64_e32 v[26:27], v[26:27], v[30:31]
	v_fma_f64 v[30:31], -v[20:21], v[26:27], 1.0
	v_fmac_f64_e32 v[26:27], v[26:27], v[30:31]
	v_mul_f64 v[30:31], v[28:29], v[26:27]
	v_fma_f64 v[20:21], -v[20:21], v[30:31], v[28:29]
	v_div_fmas_f64 v[20:21], v[20:21], v[26:27], v[30:31]
	v_div_fixup_f64 v[20:21], v[20:21], v[22:23], v[24:25]
	v_fma_f64 v[20:21], v[20:21], v[20:21], 1.0
	v_cmp_gt_f64_e32 vcc, s[20:21], v[20:21]
	s_nop 1
	v_cndmask_b32_e32 v24, 0, v57, vcc
	v_ldexp_f64 v[20:21], v[20:21], v24
	v_rsq_f64_e32 v[24:25], v[20:21]
	s_nop 0
	v_mul_f64 v[26:27], v[20:21], v[24:25]
	v_mul_f64 v[24:25], v[24:25], 0.5
	v_fma_f64 v[28:29], -v[24:25], v[26:27], 0.5
	v_fmac_f64_e32 v[26:27], v[26:27], v[28:29]
	v_fma_f64 v[30:31], -v[26:27], v[26:27], v[20:21]
	v_fmac_f64_e32 v[24:25], v[24:25], v[28:29]
	v_fmac_f64_e32 v[26:27], v[30:31], v[24:25]
	v_fma_f64 v[28:29], -v[26:27], v[26:27], v[20:21]
	v_fmac_f64_e32 v[26:27], v[28:29], v[24:25]
	v_cndmask_b32_e32 v24, 0, v58, vcc
	v_ldexp_f64 v[24:25], v[26:27], v24
	v_cmp_class_f64_e32 vcc, v[20:21], v37
	s_nop 1
	v_cndmask_b32_e32 v21, v25, v21, vcc
	v_cndmask_b32_e32 v20, v24, v20, vcc
	v_mul_f64 v[20:21], v[22:23], v[20:21]
.LBB268_17:                             ;   in Loop: Header=BB268_5 Depth=1
	s_or_b64 exec, exec, s[2:3]
	v_xor_b32_e32 v22, 0x80000000, v9
	v_cmp_gt_f64_e32 vcc, 0, v[8:9]
	v_mov_b32_e32 v24, v8
	v_mov_b32_e32 v26, v10
	v_cndmask_b32_e32 v25, v9, v22, vcc
	v_xor_b32_e32 v22, 0x80000000, v11
	v_cmp_gt_f64_e32 vcc, 0, v[10:11]
	s_nop 1
	v_cndmask_b32_e32 v27, v11, v22, vcc
	v_cmp_ngt_f64_e32 vcc, v[24:25], v[26:27]
                                        ; implicit-def: $vgpr22_vgpr23
	s_and_saveexec_b64 s[2:3], vcc
	s_xor_b64 s[2:3], exec, s[2:3]
	s_cbranch_execz .LBB268_21
; %bb.18:                               ;   in Loop: Header=BB268_5 Depth=1
	v_mov_b64_e32 v[22:23], 0
	v_cmp_neq_f64_e32 vcc, 0, v[10:11]
	s_and_saveexec_b64 s[24:25], vcc
	s_cbranch_execz .LBB268_20
; %bb.19:                               ;   in Loop: Header=BB268_5 Depth=1
	v_div_scale_f64 v[22:23], s[30:31], v[26:27], v[26:27], v[24:25]
	v_rcp_f64_e32 v[28:29], v[22:23]
	v_div_scale_f64 v[30:31], vcc, v[24:25], v[26:27], v[24:25]
	v_fma_f64 v[32:33], -v[22:23], v[28:29], 1.0
	v_fmac_f64_e32 v[28:29], v[28:29], v[32:33]
	v_fma_f64 v[32:33], -v[22:23], v[28:29], 1.0
	v_fmac_f64_e32 v[28:29], v[28:29], v[32:33]
	v_mul_f64 v[32:33], v[30:31], v[28:29]
	v_fma_f64 v[22:23], -v[22:23], v[32:33], v[30:31]
	v_div_fmas_f64 v[22:23], v[22:23], v[28:29], v[32:33]
	v_div_fixup_f64 v[22:23], v[22:23], v[26:27], v[24:25]
	v_fma_f64 v[22:23], v[22:23], v[22:23], 1.0
	v_cmp_gt_f64_e32 vcc, s[20:21], v[22:23]
	s_nop 1
	v_cndmask_b32_e32 v24, 0, v57, vcc
	v_ldexp_f64 v[22:23], v[22:23], v24
	v_rsq_f64_e32 v[24:25], v[22:23]
	s_nop 0
	v_mul_f64 v[28:29], v[22:23], v[24:25]
	v_mul_f64 v[24:25], v[24:25], 0.5
	v_fma_f64 v[30:31], -v[24:25], v[28:29], 0.5
	v_fmac_f64_e32 v[28:29], v[28:29], v[30:31]
	v_fma_f64 v[32:33], -v[28:29], v[28:29], v[22:23]
	v_fmac_f64_e32 v[24:25], v[24:25], v[30:31]
	v_fmac_f64_e32 v[28:29], v[32:33], v[24:25]
	v_fma_f64 v[30:31], -v[28:29], v[28:29], v[22:23]
	v_fmac_f64_e32 v[28:29], v[30:31], v[24:25]
	v_cndmask_b32_e32 v24, 0, v58, vcc
	v_ldexp_f64 v[24:25], v[28:29], v24
	v_cmp_class_f64_e32 vcc, v[22:23], v37
	s_nop 1
	v_cndmask_b32_e32 v23, v25, v23, vcc
	v_cndmask_b32_e32 v22, v24, v22, vcc
	v_mul_f64 v[22:23], v[26:27], v[22:23]
.LBB268_20:                             ;   in Loop: Header=BB268_5 Depth=1
	s_or_b64 exec, exec, s[24:25]
                                        ; implicit-def: $vgpr24_vgpr25
                                        ; implicit-def: $vgpr26_vgpr27
.LBB268_21:                             ;   in Loop: Header=BB268_5 Depth=1
	s_andn2_saveexec_b64 s[2:3], s[2:3]
	s_cbranch_execz .LBB268_23
; %bb.22:                               ;   in Loop: Header=BB268_5 Depth=1
	v_div_scale_f64 v[22:23], s[24:25], v[24:25], v[24:25], v[26:27]
	v_rcp_f64_e32 v[28:29], v[22:23]
	v_div_scale_f64 v[30:31], vcc, v[26:27], v[24:25], v[26:27]
	v_fma_f64 v[32:33], -v[22:23], v[28:29], 1.0
	v_fmac_f64_e32 v[28:29], v[28:29], v[32:33]
	v_fma_f64 v[32:33], -v[22:23], v[28:29], 1.0
	v_fmac_f64_e32 v[28:29], v[28:29], v[32:33]
	v_mul_f64 v[32:33], v[30:31], v[28:29]
	v_fma_f64 v[22:23], -v[22:23], v[32:33], v[30:31]
	v_div_fmas_f64 v[22:23], v[22:23], v[28:29], v[32:33]
	v_div_fixup_f64 v[22:23], v[22:23], v[24:25], v[26:27]
	v_fma_f64 v[22:23], v[22:23], v[22:23], 1.0
	v_cmp_gt_f64_e32 vcc, s[20:21], v[22:23]
	s_nop 1
	v_cndmask_b32_e32 v26, 0, v57, vcc
	v_ldexp_f64 v[22:23], v[22:23], v26
	v_rsq_f64_e32 v[26:27], v[22:23]
	s_nop 0
	v_mul_f64 v[28:29], v[22:23], v[26:27]
	v_mul_f64 v[26:27], v[26:27], 0.5
	v_fma_f64 v[30:31], -v[26:27], v[28:29], 0.5
	v_fmac_f64_e32 v[28:29], v[28:29], v[30:31]
	v_fma_f64 v[32:33], -v[28:29], v[28:29], v[22:23]
	v_fmac_f64_e32 v[26:27], v[26:27], v[30:31]
	v_fmac_f64_e32 v[28:29], v[32:33], v[26:27]
	v_fma_f64 v[30:31], -v[28:29], v[28:29], v[22:23]
	v_fmac_f64_e32 v[28:29], v[30:31], v[26:27]
	v_cndmask_b32_e32 v26, 0, v58, vcc
	v_ldexp_f64 v[26:27], v[28:29], v26
	v_cmp_class_f64_e32 vcc, v[22:23], v37
	s_nop 1
	v_cndmask_b32_e32 v23, v27, v23, vcc
	v_cndmask_b32_e32 v22, v26, v22, vcc
	v_mul_f64 v[22:23], v[24:25], v[22:23]
.LBB268_23:                             ;   in Loop: Header=BB268_5 Depth=1
	s_or_b64 exec, exec, s[2:3]
	v_xor_b32_e32 v24, 0x80000000, v13
	v_cmp_gt_f64_e32 vcc, 0, v[12:13]
	v_mov_b32_e32 v26, v12
	v_mov_b32_e32 v28, v14
	v_cndmask_b32_e32 v27, v13, v24, vcc
	v_xor_b32_e32 v24, 0x80000000, v15
	v_cmp_gt_f64_e32 vcc, 0, v[14:15]
	s_nop 1
	v_cndmask_b32_e32 v29, v15, v24, vcc
	v_cmp_ngt_f64_e32 vcc, v[26:27], v[28:29]
                                        ; implicit-def: $vgpr24_vgpr25
	s_and_saveexec_b64 s[2:3], vcc
	s_xor_b64 s[2:3], exec, s[2:3]
	s_cbranch_execz .LBB268_27
; %bb.24:                               ;   in Loop: Header=BB268_5 Depth=1
	v_mov_b64_e32 v[24:25], 0
	v_cmp_neq_f64_e32 vcc, 0, v[14:15]
	s_and_saveexec_b64 s[24:25], vcc
	s_cbranch_execz .LBB268_26
; %bb.25:                               ;   in Loop: Header=BB268_5 Depth=1
	v_div_scale_f64 v[24:25], s[30:31], v[28:29], v[28:29], v[26:27]
	v_rcp_f64_e32 v[30:31], v[24:25]
	v_div_scale_f64 v[32:33], vcc, v[26:27], v[28:29], v[26:27]
	v_fma_f64 v[34:35], -v[24:25], v[30:31], 1.0
	v_fmac_f64_e32 v[30:31], v[30:31], v[34:35]
	v_fma_f64 v[34:35], -v[24:25], v[30:31], 1.0
	v_fmac_f64_e32 v[30:31], v[30:31], v[34:35]
	v_mul_f64 v[34:35], v[32:33], v[30:31]
	v_fma_f64 v[24:25], -v[24:25], v[34:35], v[32:33]
	v_div_fmas_f64 v[24:25], v[24:25], v[30:31], v[34:35]
	v_div_fixup_f64 v[24:25], v[24:25], v[28:29], v[26:27]
	v_fma_f64 v[24:25], v[24:25], v[24:25], 1.0
	v_cmp_gt_f64_e32 vcc, s[20:21], v[24:25]
	s_nop 1
	v_cndmask_b32_e32 v26, 0, v57, vcc
	v_ldexp_f64 v[24:25], v[24:25], v26
	v_rsq_f64_e32 v[26:27], v[24:25]
	s_nop 0
	v_mul_f64 v[30:31], v[24:25], v[26:27]
	v_mul_f64 v[26:27], v[26:27], 0.5
	v_fma_f64 v[32:33], -v[26:27], v[30:31], 0.5
	v_fmac_f64_e32 v[30:31], v[30:31], v[32:33]
	v_fma_f64 v[34:35], -v[30:31], v[30:31], v[24:25]
	v_fmac_f64_e32 v[26:27], v[26:27], v[32:33]
	v_fmac_f64_e32 v[30:31], v[34:35], v[26:27]
	v_fma_f64 v[32:33], -v[30:31], v[30:31], v[24:25]
	v_fmac_f64_e32 v[30:31], v[32:33], v[26:27]
	v_cndmask_b32_e32 v26, 0, v58, vcc
	v_ldexp_f64 v[26:27], v[30:31], v26
	v_cmp_class_f64_e32 vcc, v[24:25], v37
	s_nop 1
	v_cndmask_b32_e32 v25, v27, v25, vcc
	v_cndmask_b32_e32 v24, v26, v24, vcc
	v_mul_f64 v[24:25], v[28:29], v[24:25]
.LBB268_26:                             ;   in Loop: Header=BB268_5 Depth=1
	s_or_b64 exec, exec, s[24:25]
                                        ; implicit-def: $vgpr26_vgpr27
                                        ; implicit-def: $vgpr28_vgpr29
.LBB268_27:                             ;   in Loop: Header=BB268_5 Depth=1
	s_andn2_saveexec_b64 s[2:3], s[2:3]
	s_cbranch_execz .LBB268_29
; %bb.28:                               ;   in Loop: Header=BB268_5 Depth=1
	v_div_scale_f64 v[24:25], s[24:25], v[26:27], v[26:27], v[28:29]
	v_rcp_f64_e32 v[30:31], v[24:25]
	v_div_scale_f64 v[32:33], vcc, v[28:29], v[26:27], v[28:29]
	v_fma_f64 v[34:35], -v[24:25], v[30:31], 1.0
	v_fmac_f64_e32 v[30:31], v[30:31], v[34:35]
	v_fma_f64 v[34:35], -v[24:25], v[30:31], 1.0
	v_fmac_f64_e32 v[30:31], v[30:31], v[34:35]
	v_mul_f64 v[34:35], v[32:33], v[30:31]
	v_fma_f64 v[24:25], -v[24:25], v[34:35], v[32:33]
	v_div_fmas_f64 v[24:25], v[24:25], v[30:31], v[34:35]
	v_div_fixup_f64 v[24:25], v[24:25], v[26:27], v[28:29]
	v_fma_f64 v[24:25], v[24:25], v[24:25], 1.0
	v_cmp_gt_f64_e32 vcc, s[20:21], v[24:25]
	s_nop 1
	v_cndmask_b32_e32 v28, 0, v57, vcc
	v_ldexp_f64 v[24:25], v[24:25], v28
	v_rsq_f64_e32 v[28:29], v[24:25]
	s_nop 0
	v_mul_f64 v[30:31], v[24:25], v[28:29]
	v_mul_f64 v[28:29], v[28:29], 0.5
	v_fma_f64 v[32:33], -v[28:29], v[30:31], 0.5
	v_fmac_f64_e32 v[30:31], v[30:31], v[32:33]
	v_fma_f64 v[34:35], -v[30:31], v[30:31], v[24:25]
	v_fmac_f64_e32 v[28:29], v[28:29], v[32:33]
	v_fmac_f64_e32 v[30:31], v[34:35], v[28:29]
	v_fma_f64 v[32:33], -v[30:31], v[30:31], v[24:25]
	v_fmac_f64_e32 v[30:31], v[32:33], v[28:29]
	v_cndmask_b32_e32 v28, 0, v58, vcc
	v_ldexp_f64 v[28:29], v[30:31], v28
	v_cmp_class_f64_e32 vcc, v[24:25], v37
	s_nop 1
	v_cndmask_b32_e32 v25, v29, v25, vcc
	v_cndmask_b32_e32 v24, v28, v24, vcc
	v_mul_f64 v[24:25], v[26:27], v[24:25]
.LBB268_29:                             ;   in Loop: Header=BB268_5 Depth=1
	s_or_b64 exec, exec, s[2:3]
	v_xor_b32_e32 v26, 0x80000000, v17
	v_cmp_gt_f64_e32 vcc, 0, v[16:17]
	v_mov_b32_e32 v28, v16
	v_mov_b32_e32 v30, v18
	v_cndmask_b32_e32 v29, v17, v26, vcc
	v_xor_b32_e32 v26, 0x80000000, v19
	v_cmp_gt_f64_e32 vcc, 0, v[18:19]
	s_nop 1
	v_cndmask_b32_e32 v31, v19, v26, vcc
	v_cmp_ngt_f64_e32 vcc, v[28:29], v[30:31]
                                        ; implicit-def: $vgpr26_vgpr27
	s_and_saveexec_b64 s[2:3], vcc
	s_xor_b64 s[2:3], exec, s[2:3]
	s_cbranch_execz .LBB268_33
; %bb.30:                               ;   in Loop: Header=BB268_5 Depth=1
	v_mov_b64_e32 v[26:27], 0
	v_cmp_neq_f64_e32 vcc, 0, v[18:19]
	s_and_saveexec_b64 s[24:25], vcc
	s_cbranch_execz .LBB268_32
; %bb.31:                               ;   in Loop: Header=BB268_5 Depth=1
	v_div_scale_f64 v[26:27], s[30:31], v[30:31], v[30:31], v[28:29]
	v_rcp_f64_e32 v[32:33], v[26:27]
	v_div_scale_f64 v[34:35], vcc, v[28:29], v[30:31], v[28:29]
	v_fma_f64 v[46:47], -v[26:27], v[32:33], 1.0
	v_fmac_f64_e32 v[32:33], v[32:33], v[46:47]
	v_fma_f64 v[46:47], -v[26:27], v[32:33], 1.0
	v_fmac_f64_e32 v[32:33], v[32:33], v[46:47]
	v_mul_f64 v[46:47], v[34:35], v[32:33]
	v_fma_f64 v[26:27], -v[26:27], v[46:47], v[34:35]
	v_div_fmas_f64 v[26:27], v[26:27], v[32:33], v[46:47]
	v_div_fixup_f64 v[26:27], v[26:27], v[30:31], v[28:29]
	v_fma_f64 v[26:27], v[26:27], v[26:27], 1.0
	v_cmp_gt_f64_e32 vcc, s[20:21], v[26:27]
	s_nop 1
	v_cndmask_b32_e32 v28, 0, v57, vcc
	v_ldexp_f64 v[26:27], v[26:27], v28
	v_rsq_f64_e32 v[28:29], v[26:27]
	s_nop 0
	v_mul_f64 v[32:33], v[26:27], v[28:29]
	v_mul_f64 v[28:29], v[28:29], 0.5
	v_fma_f64 v[34:35], -v[28:29], v[32:33], 0.5
	v_fmac_f64_e32 v[32:33], v[32:33], v[34:35]
	v_fma_f64 v[46:47], -v[32:33], v[32:33], v[26:27]
	v_fmac_f64_e32 v[28:29], v[28:29], v[34:35]
	v_fmac_f64_e32 v[32:33], v[46:47], v[28:29]
	v_fma_f64 v[34:35], -v[32:33], v[32:33], v[26:27]
	v_fmac_f64_e32 v[32:33], v[34:35], v[28:29]
	v_cndmask_b32_e32 v28, 0, v58, vcc
	v_ldexp_f64 v[28:29], v[32:33], v28
	v_cmp_class_f64_e32 vcc, v[26:27], v37
	s_nop 1
	v_cndmask_b32_e32 v27, v29, v27, vcc
	v_cndmask_b32_e32 v26, v28, v26, vcc
	v_mul_f64 v[26:27], v[30:31], v[26:27]
.LBB268_32:                             ;   in Loop: Header=BB268_5 Depth=1
	s_or_b64 exec, exec, s[24:25]
                                        ; implicit-def: $vgpr28_vgpr29
                                        ; implicit-def: $vgpr30_vgpr31
.LBB268_33:                             ;   in Loop: Header=BB268_5 Depth=1
	s_andn2_saveexec_b64 s[2:3], s[2:3]
	s_cbranch_execz .LBB268_35
; %bb.34:                               ;   in Loop: Header=BB268_5 Depth=1
	v_div_scale_f64 v[26:27], s[24:25], v[28:29], v[28:29], v[30:31]
	v_rcp_f64_e32 v[32:33], v[26:27]
	v_div_scale_f64 v[34:35], vcc, v[30:31], v[28:29], v[30:31]
	v_fma_f64 v[46:47], -v[26:27], v[32:33], 1.0
	v_fmac_f64_e32 v[32:33], v[32:33], v[46:47]
	v_fma_f64 v[46:47], -v[26:27], v[32:33], 1.0
	v_fmac_f64_e32 v[32:33], v[32:33], v[46:47]
	v_mul_f64 v[46:47], v[34:35], v[32:33]
	v_fma_f64 v[26:27], -v[26:27], v[46:47], v[34:35]
	v_div_fmas_f64 v[26:27], v[26:27], v[32:33], v[46:47]
	v_div_fixup_f64 v[26:27], v[26:27], v[28:29], v[30:31]
	v_fma_f64 v[26:27], v[26:27], v[26:27], 1.0
	v_cmp_gt_f64_e32 vcc, s[20:21], v[26:27]
	s_nop 1
	v_cndmask_b32_e32 v30, 0, v57, vcc
	v_ldexp_f64 v[26:27], v[26:27], v30
	v_rsq_f64_e32 v[30:31], v[26:27]
	s_nop 0
	v_mul_f64 v[32:33], v[26:27], v[30:31]
	v_mul_f64 v[30:31], v[30:31], 0.5
	v_fma_f64 v[34:35], -v[30:31], v[32:33], 0.5
	v_fmac_f64_e32 v[32:33], v[32:33], v[34:35]
	v_fma_f64 v[46:47], -v[32:33], v[32:33], v[26:27]
	v_fmac_f64_e32 v[30:31], v[30:31], v[34:35]
	v_fmac_f64_e32 v[32:33], v[46:47], v[30:31]
	v_fma_f64 v[34:35], -v[32:33], v[32:33], v[26:27]
	v_fmac_f64_e32 v[32:33], v[34:35], v[30:31]
	v_cndmask_b32_e32 v30, 0, v58, vcc
	v_ldexp_f64 v[30:31], v[32:33], v30
	v_cmp_class_f64_e32 vcc, v[26:27], v37
	s_nop 1
	v_cndmask_b32_e32 v27, v31, v27, vcc
	v_cndmask_b32_e32 v26, v30, v26, vcc
	v_mul_f64 v[26:27], v[28:29], v[26:27]
.LBB268_35:                             ;   in Loop: Header=BB268_5 Depth=1
	s_or_b64 exec, exec, s[2:3]
	v_xor_b32_e32 v28, 0x80000000, v1
	v_cmp_gt_f64_e32 vcc, 0, v[0:1]
	v_mov_b32_e32 v30, v0
	v_mov_b32_e32 v32, v2
	v_cndmask_b32_e32 v31, v1, v28, vcc
	v_xor_b32_e32 v28, 0x80000000, v3
	v_cmp_gt_f64_e32 vcc, 0, v[2:3]
	s_nop 1
	v_cndmask_b32_e32 v33, v3, v28, vcc
	v_cmp_ngt_f64_e32 vcc, v[30:31], v[32:33]
                                        ; implicit-def: $vgpr28_vgpr29
	s_and_saveexec_b64 s[2:3], vcc
	s_xor_b64 s[2:3], exec, s[2:3]
	s_cbranch_execz .LBB268_39
; %bb.36:                               ;   in Loop: Header=BB268_5 Depth=1
	v_mov_b64_e32 v[28:29], 0
	v_cmp_neq_f64_e32 vcc, 0, v[2:3]
	s_and_saveexec_b64 s[24:25], vcc
	s_cbranch_execz .LBB268_38
; %bb.37:                               ;   in Loop: Header=BB268_5 Depth=1
	v_div_scale_f64 v[28:29], s[30:31], v[32:33], v[32:33], v[30:31]
	v_rcp_f64_e32 v[34:35], v[28:29]
	v_div_scale_f64 v[46:47], vcc, v[30:31], v[32:33], v[30:31]
	v_fma_f64 v[48:49], -v[28:29], v[34:35], 1.0
	v_fmac_f64_e32 v[34:35], v[34:35], v[48:49]
	v_fma_f64 v[48:49], -v[28:29], v[34:35], 1.0
	v_fmac_f64_e32 v[34:35], v[34:35], v[48:49]
	v_mul_f64 v[48:49], v[46:47], v[34:35]
	v_fma_f64 v[28:29], -v[28:29], v[48:49], v[46:47]
	v_div_fmas_f64 v[28:29], v[28:29], v[34:35], v[48:49]
	v_div_fixup_f64 v[28:29], v[28:29], v[32:33], v[30:31]
	v_fma_f64 v[28:29], v[28:29], v[28:29], 1.0
	v_cmp_gt_f64_e32 vcc, s[20:21], v[28:29]
	s_nop 1
	v_cndmask_b32_e32 v30, 0, v57, vcc
	v_ldexp_f64 v[28:29], v[28:29], v30
	v_rsq_f64_e32 v[30:31], v[28:29]
	s_nop 0
	v_mul_f64 v[34:35], v[28:29], v[30:31]
	v_mul_f64 v[30:31], v[30:31], 0.5
	v_fma_f64 v[46:47], -v[30:31], v[34:35], 0.5
	v_fmac_f64_e32 v[34:35], v[34:35], v[46:47]
	v_fma_f64 v[48:49], -v[34:35], v[34:35], v[28:29]
	v_fmac_f64_e32 v[30:31], v[30:31], v[46:47]
	v_fmac_f64_e32 v[34:35], v[48:49], v[30:31]
	v_fma_f64 v[46:47], -v[34:35], v[34:35], v[28:29]
	v_fmac_f64_e32 v[34:35], v[46:47], v[30:31]
	v_cndmask_b32_e32 v30, 0, v58, vcc
	v_ldexp_f64 v[30:31], v[34:35], v30
	v_cmp_class_f64_e32 vcc, v[28:29], v37
	s_nop 1
	v_cndmask_b32_e32 v29, v31, v29, vcc
	v_cndmask_b32_e32 v28, v30, v28, vcc
	v_mul_f64 v[28:29], v[32:33], v[28:29]
.LBB268_38:                             ;   in Loop: Header=BB268_5 Depth=1
	s_or_b64 exec, exec, s[24:25]
                                        ; implicit-def: $vgpr30_vgpr31
                                        ; implicit-def: $vgpr32_vgpr33
.LBB268_39:                             ;   in Loop: Header=BB268_5 Depth=1
	s_andn2_saveexec_b64 s[2:3], s[2:3]
	s_cbranch_execz .LBB268_41
; %bb.40:                               ;   in Loop: Header=BB268_5 Depth=1
	v_div_scale_f64 v[28:29], s[24:25], v[30:31], v[30:31], v[32:33]
	v_rcp_f64_e32 v[34:35], v[28:29]
	v_div_scale_f64 v[46:47], vcc, v[32:33], v[30:31], v[32:33]
	v_fma_f64 v[48:49], -v[28:29], v[34:35], 1.0
	v_fmac_f64_e32 v[34:35], v[34:35], v[48:49]
	v_fma_f64 v[48:49], -v[28:29], v[34:35], 1.0
	v_fmac_f64_e32 v[34:35], v[34:35], v[48:49]
	v_mul_f64 v[48:49], v[46:47], v[34:35]
	v_fma_f64 v[28:29], -v[28:29], v[48:49], v[46:47]
	v_div_fmas_f64 v[28:29], v[28:29], v[34:35], v[48:49]
	v_div_fixup_f64 v[28:29], v[28:29], v[30:31], v[32:33]
	v_fma_f64 v[28:29], v[28:29], v[28:29], 1.0
	v_cmp_gt_f64_e32 vcc, s[20:21], v[28:29]
	s_nop 1
	v_cndmask_b32_e32 v32, 0, v57, vcc
	v_ldexp_f64 v[28:29], v[28:29], v32
	v_rsq_f64_e32 v[32:33], v[28:29]
	s_nop 0
	v_mul_f64 v[34:35], v[28:29], v[32:33]
	v_mul_f64 v[32:33], v[32:33], 0.5
	v_fma_f64 v[46:47], -v[32:33], v[34:35], 0.5
	v_fmac_f64_e32 v[34:35], v[34:35], v[46:47]
	v_fma_f64 v[48:49], -v[34:35], v[34:35], v[28:29]
	v_fmac_f64_e32 v[32:33], v[32:33], v[46:47]
	v_fmac_f64_e32 v[34:35], v[48:49], v[32:33]
	v_fma_f64 v[46:47], -v[34:35], v[34:35], v[28:29]
	v_fmac_f64_e32 v[34:35], v[46:47], v[32:33]
	v_cndmask_b32_e32 v32, 0, v58, vcc
	v_ldexp_f64 v[32:33], v[34:35], v32
	v_cmp_class_f64_e32 vcc, v[28:29], v37
	s_nop 1
	v_cndmask_b32_e32 v29, v33, v29, vcc
	v_cndmask_b32_e32 v28, v32, v28, vcc
	v_mul_f64 v[28:29], v[30:31], v[28:29]
.LBB268_41:                             ;   in Loop: Header=BB268_5 Depth=1
	s_or_b64 exec, exec, s[2:3]
	v_mul_f64 v[46:47], v[14:15], -v[6:7]
	v_fmac_f64_e32 v[46:47], v[4:5], v[12:13]
	v_mul_f64 v[48:49], v[14:15], v[4:5]
	v_fmac_f64_e32 v[48:49], v[6:7], v[12:13]
	v_xor_b32_e32 v30, 0x80000000, v47
	v_cmp_gt_f64_e32 vcc, 0, v[46:47]
	v_xor_b32_e32 v32, 0x80000000, v49
                                        ; implicit-def: $vgpr34_vgpr35
	s_nop 0
	v_cndmask_b32_e32 v31, v47, v30, vcc
	v_cmp_gt_f64_e32 vcc, 0, v[48:49]
	v_mov_b32_e32 v30, v46
	s_nop 0
	v_cndmask_b32_e32 v33, v49, v32, vcc
	v_mov_b32_e32 v32, v48
	v_cmp_ngt_f64_e32 vcc, v[30:31], v[32:33]
	s_and_saveexec_b64 s[2:3], vcc
	s_xor_b64 s[2:3], exec, s[2:3]
	s_cbranch_execz .LBB268_45
; %bb.42:                               ;   in Loop: Header=BB268_5 Depth=1
	v_mov_b64_e32 v[34:35], 0
	v_cmp_neq_f64_e32 vcc, 0, v[48:49]
	s_and_saveexec_b64 s[24:25], vcc
	s_cbranch_execz .LBB268_44
; %bb.43:                               ;   in Loop: Header=BB268_5 Depth=1
	v_div_scale_f64 v[34:35], s[30:31], v[32:33], v[32:33], v[30:31]
	v_rcp_f64_e32 v[50:51], v[34:35]
	v_div_scale_f64 v[52:53], vcc, v[30:31], v[32:33], v[30:31]
	v_fma_f64 v[54:55], -v[34:35], v[50:51], 1.0
	v_fmac_f64_e32 v[50:51], v[50:51], v[54:55]
	v_fma_f64 v[54:55], -v[34:35], v[50:51], 1.0
	v_fmac_f64_e32 v[50:51], v[50:51], v[54:55]
	v_mul_f64 v[54:55], v[52:53], v[50:51]
	v_fma_f64 v[34:35], -v[34:35], v[54:55], v[52:53]
	v_div_fmas_f64 v[34:35], v[34:35], v[50:51], v[54:55]
	v_div_fixup_f64 v[30:31], v[34:35], v[32:33], v[30:31]
	v_fma_f64 v[30:31], v[30:31], v[30:31], 1.0
	v_cmp_gt_f64_e32 vcc, s[20:21], v[30:31]
	s_nop 1
	v_cndmask_b32_e32 v34, 0, v57, vcc
	v_ldexp_f64 v[30:31], v[30:31], v34
	v_rsq_f64_e32 v[34:35], v[30:31]
	s_nop 0
	v_mul_f64 v[50:51], v[30:31], v[34:35]
	v_mul_f64 v[34:35], v[34:35], 0.5
	v_fma_f64 v[52:53], -v[34:35], v[50:51], 0.5
	v_fmac_f64_e32 v[50:51], v[50:51], v[52:53]
	v_fma_f64 v[54:55], -v[50:51], v[50:51], v[30:31]
	v_fmac_f64_e32 v[34:35], v[34:35], v[52:53]
	v_fmac_f64_e32 v[50:51], v[54:55], v[34:35]
	v_fma_f64 v[52:53], -v[50:51], v[50:51], v[30:31]
	v_fmac_f64_e32 v[50:51], v[52:53], v[34:35]
	v_cndmask_b32_e32 v34, 0, v58, vcc
	v_ldexp_f64 v[34:35], v[50:51], v34
	v_cmp_class_f64_e32 vcc, v[30:31], v37
	s_nop 1
	v_cndmask_b32_e32 v31, v35, v31, vcc
	v_cndmask_b32_e32 v30, v34, v30, vcc
	v_mul_f64 v[34:35], v[32:33], v[30:31]
.LBB268_44:                             ;   in Loop: Header=BB268_5 Depth=1
	s_or_b64 exec, exec, s[24:25]
                                        ; implicit-def: $vgpr30_vgpr31
                                        ; implicit-def: $vgpr32_vgpr33
.LBB268_45:                             ;   in Loop: Header=BB268_5 Depth=1
	s_andn2_saveexec_b64 s[2:3], s[2:3]
	s_cbranch_execz .LBB268_47
; %bb.46:                               ;   in Loop: Header=BB268_5 Depth=1
	v_div_scale_f64 v[34:35], s[24:25], v[30:31], v[30:31], v[32:33]
	v_rcp_f64_e32 v[50:51], v[34:35]
	v_div_scale_f64 v[52:53], vcc, v[32:33], v[30:31], v[32:33]
	v_fma_f64 v[54:55], -v[34:35], v[50:51], 1.0
	v_fmac_f64_e32 v[50:51], v[50:51], v[54:55]
	v_fma_f64 v[54:55], -v[34:35], v[50:51], 1.0
	v_fmac_f64_e32 v[50:51], v[50:51], v[54:55]
	v_mul_f64 v[54:55], v[52:53], v[50:51]
	v_fma_f64 v[34:35], -v[34:35], v[54:55], v[52:53]
	v_div_fmas_f64 v[34:35], v[34:35], v[50:51], v[54:55]
	v_div_fixup_f64 v[32:33], v[34:35], v[30:31], v[32:33]
	v_fma_f64 v[32:33], v[32:33], v[32:33], 1.0
	v_cmp_gt_f64_e32 vcc, s[20:21], v[32:33]
	s_nop 1
	v_cndmask_b32_e32 v34, 0, v57, vcc
	v_ldexp_f64 v[32:33], v[32:33], v34
	v_rsq_f64_e32 v[34:35], v[32:33]
	s_nop 0
	v_mul_f64 v[50:51], v[32:33], v[34:35]
	v_mul_f64 v[34:35], v[34:35], 0.5
	v_fma_f64 v[52:53], -v[34:35], v[50:51], 0.5
	v_fmac_f64_e32 v[50:51], v[50:51], v[52:53]
	v_fma_f64 v[54:55], -v[50:51], v[50:51], v[32:33]
	v_fmac_f64_e32 v[34:35], v[34:35], v[52:53]
	v_fmac_f64_e32 v[50:51], v[54:55], v[34:35]
	v_fma_f64 v[52:53], -v[50:51], v[50:51], v[32:33]
	v_fmac_f64_e32 v[50:51], v[52:53], v[34:35]
	v_cndmask_b32_e32 v34, 0, v58, vcc
	v_ldexp_f64 v[34:35], v[50:51], v34
	v_cmp_class_f64_e32 vcc, v[32:33], v37
	s_nop 1
	v_cndmask_b32_e32 v33, v35, v33, vcc
	v_cndmask_b32_e32 v32, v34, v32, vcc
	v_mul_f64 v[34:35], v[30:31], v[32:33]
.LBB268_47:                             ;   in Loop: Header=BB268_5 Depth=1
	s_or_b64 exec, exec, s[2:3]
	v_cmp_ngt_f64_e32 vcc, 0, v[20:21]
	v_cmp_ne_u32_e64 s[2:3], s26, v42
	s_nop 0
	v_cndmask_b32_e32 v21, 0, v21, vcc
	v_cndmask_b32_e32 v20, 0, v20, vcc
	v_cmp_lt_f64_e32 vcc, v[22:23], v[20:21]
	s_nop 1
	v_cndmask_b32_e32 v21, v23, v21, vcc
	v_cndmask_b32_e32 v20, v22, v20, vcc
	v_cmp_lt_f64_e32 vcc, v[24:25], v[20:21]
	v_mul_f64 v[22:23], v[34:35], s[22:23]
	s_nop 0
	v_cndmask_b32_e32 v21, v25, v21, vcc
	v_cndmask_b32_e32 v20, v24, v20, vcc
	v_cmp_lt_f64_e32 vcc, v[26:27], v[20:21]
	s_nop 1
	v_cndmask_b32_e32 v21, v27, v21, vcc
	v_cndmask_b32_e32 v20, v26, v20, vcc
	v_mul_f64 v[20:21], v[20:21], v[28:29]
	v_cmp_nge_f64_e32 vcc, v[20:21], v[22:23]
	s_and_b64 s[2:3], s[2:3], vcc
	s_and_saveexec_b64 s[24:25], s[2:3]
	s_xor_b64 s[2:3], exec, s[24:25]
	s_cbranch_execz .LBB268_51
; %bb.48:                               ;   in Loop: Header=BB268_5 Depth=1
	v_add_u32_e32 v50, v38, v42
	v_ashrrev_i32_e32 v43, 31, v42
	v_lshlrev_b64 v[60:61], 4, v[44:45]
	v_ashrrev_i32_e32 v51, 31, v50
	v_lshl_add_u64 v[64:65], v[42:43], 4, v[40:41]
	v_lshl_add_u64 v[66:67], s[8:9], 0, v[60:61]
	v_lshlrev_b64 v[32:33], 4, v[50:51]
	global_load_dwordx4 v[24:27], v[64:65], off
	global_load_dwordx4 v[20:23], v[66:67], off
	v_lshl_add_u64 v[52:53], s[6:7], 0, v[32:33]
	global_load_dwordx4 v[28:31], v[52:53], off
	v_lshl_add_u64 v[54:55], s[8:9], 0, v[32:33]
	global_load_dwordx4 v[32:35], v[54:55], off
	v_mul_f64 v[62:63], v[10:11], -v[2:3]
	v_mul_f64 v[68:69], v[0:1], v[10:11]
	v_fmac_f64_e32 v[62:63], v[0:1], v[8:9]
	v_fmac_f64_e32 v[68:69], v[2:3], v[8:9]
	v_lshl_add_u64 v[74:75], v[44:45], 2, s[12:13]
	v_add_f64 v[44:45], v[62:63], -v[46:47]
	v_add_f64 v[46:47], v[68:69], -v[48:49]
	v_mul_f64 v[48:49], v[46:47], v[46:47]
	v_fmac_f64_e32 v[48:49], v[44:45], v[44:45]
	v_div_scale_f64 v[62:63], s[24:25], v[48:49], v[48:49], 1.0
	v_rcp_f64_e32 v[68:69], v[62:63]
	v_lshl_add_u64 v[76:77], s[10:11], 0, v[60:61]
	v_fma_f64 v[60:61], 0, v[46:47], v[44:45]
	v_fma_f64 v[46:47], v[44:45], 0, -v[46:47]
	v_fma_f64 v[78:79], -v[62:63], v[68:69], 1.0
	v_fmac_f64_e32 v[68:69], v[68:69], v[78:79]
	v_fma_f64 v[78:79], -v[62:63], v[68:69], 1.0
	v_div_scale_f64 v[44:45], vcc, 1.0, v[48:49], 1.0
	v_fmac_f64_e32 v[68:69], v[68:69], v[78:79]
	v_mul_f64 v[78:79], v[44:45], v[68:69]
	v_fma_f64 v[44:45], -v[62:63], v[78:79], v[44:45]
	s_nop 0
	v_div_fmas_f64 v[44:45], v[44:45], v[68:69], v[78:79]
	v_mul_f64 v[70:71], v[14:15], v[18:19]
	v_mul_f64 v[72:73], v[18:19], -v[12:13]
	v_div_fixup_f64 v[48:49], v[44:45], v[48:49], 1.0
	v_fma_f64 v[70:71], -v[12:13], v[16:17], v[70:71]
	v_fma_f64 v[72:73], -v[14:15], v[16:17], v[72:73]
	v_mul_f64 v[46:47], v[46:47], v[48:49]
	v_mul_f64 v[44:45], v[60:61], v[48:49]
	v_mul_f64 v[60:61], v[46:47], -v[72:73]
	v_mul_f64 v[62:63], v[46:47], v[70:71]
	v_fmac_f64_e32 v[60:61], v[70:71], v[44:45]
	v_fmac_f64_e32 v[62:63], v[72:73], v[44:45]
	global_store_dwordx4 v[76:77], v[60:63], off
	s_waitcnt vmcnt(4)
	v_mul_f64 v[48:49], v[26:27], -v[10:11]
	v_mul_f64 v[60:61], v[8:9], v[26:27]
	s_waitcnt vmcnt(3)
	v_mul_f64 v[62:63], v[22:23], -v[10:11]
	v_mul_f64 v[68:69], v[8:9], v[22:23]
	v_fmac_f64_e32 v[48:49], v[8:9], v[24:25]
	v_fmac_f64_e32 v[60:61], v[10:11], v[24:25]
	;; [unrolled: 1-line block ×4, first 2 shown]
	s_waitcnt vmcnt(2)
	v_mul_f64 v[8:9], v[30:31], -v[14:15]
	v_mul_f64 v[10:11], v[12:13], v[30:31]
	s_waitcnt vmcnt(1)
	v_mul_f64 v[70:71], v[34:35], -v[14:15]
	v_mul_f64 v[72:73], v[12:13], v[34:35]
	v_fmac_f64_e32 v[8:9], v[12:13], v[28:29]
	v_fmac_f64_e32 v[10:11], v[14:15], v[28:29]
	;; [unrolled: 1-line block ×4, first 2 shown]
	v_add_f64 v[48:49], v[48:49], -v[8:9]
	v_add_f64 v[60:61], v[60:61], -v[10:11]
	;; [unrolled: 1-line block ×4, first 2 shown]
	v_mul_f64 v[8:9], v[46:47], -v[60:61]
	v_mul_f64 v[10:11], v[46:47], v[48:49]
	v_mul_f64 v[12:13], v[46:47], -v[68:69]
	v_mul_f64 v[14:15], v[46:47], v[62:63]
	v_fmac_f64_e32 v[8:9], v[48:49], v[44:45]
	v_fmac_f64_e32 v[10:11], v[60:61], v[44:45]
	;; [unrolled: 1-line block ×4, first 2 shown]
	global_store_dwordx4 v[64:65], v[8:11], off
	global_store_dwordx4 v[66:67], v[12:15], off
	global_store_dword v[74:75], v39, off
	s_and_saveexec_b64 s[24:25], s[0:1]
	s_cbranch_execz .LBB268_50
; %bb.49:                               ;   in Loop: Header=BB268_5 Depth=1
	v_mul_f64 v[8:9], v[6:7], v[26:27]
	v_mul_f64 v[10:11], v[26:27], -v[4:5]
	v_mul_f64 v[12:13], v[30:31], -v[2:3]
	v_mul_f64 v[14:15], v[0:1], v[30:31]
	v_fma_f64 v[8:9], -v[4:5], v[24:25], v[8:9]
	v_fma_f64 v[10:11], -v[6:7], v[24:25], v[10:11]
	v_fmac_f64_e32 v[12:13], v[0:1], v[28:29]
	v_fmac_f64_e32 v[14:15], v[2:3], v[28:29]
	v_add_f64 v[12:13], v[8:9], v[12:13]
	v_add_f64 v[14:15], v[10:11], v[14:15]
	v_mul_f64 v[8:9], v[46:47], -v[14:15]
	v_mul_f64 v[10:11], v[46:47], v[12:13]
	v_fmac_f64_e32 v[8:9], v[12:13], v[44:45]
	v_fmac_f64_e32 v[10:11], v[14:15], v[44:45]
	global_store_dwordx4 v[52:53], v[8:11], off
	s_nop 1
	v_mul_f64 v[8:9], v[6:7], v[22:23]
	v_fma_f64 v[8:9], -v[4:5], v[20:21], v[8:9]
	v_mul_f64 v[4:5], v[22:23], -v[4:5]
	v_fma_f64 v[4:5], -v[6:7], v[20:21], v[4:5]
	v_mul_f64 v[6:7], v[34:35], -v[2:3]
	v_mul_f64 v[10:11], v[0:1], v[34:35]
	v_fmac_f64_e32 v[6:7], v[0:1], v[32:33]
	v_fmac_f64_e32 v[10:11], v[2:3], v[32:33]
	v_add_f64 v[6:7], v[8:9], v[6:7]
	v_add_f64 v[8:9], v[4:5], v[10:11]
	v_mul_f64 v[4:5], v[46:47], -v[8:9]
	v_fmac_f64_e32 v[4:5], v[6:7], v[44:45]
	v_mul_f64 v[6:7], v[46:47], v[6:7]
	v_fmac_f64_e32 v[6:7], v[8:9], v[44:45]
	global_store_dwordx4 v[54:55], v[4:7], off
	s_nop 1
	v_mul_f64 v[4:5], v[18:19], -v[2:3]
	v_mul_f64 v[6:7], v[0:1], v[18:19]
	v_fmac_f64_e32 v[4:5], v[0:1], v[16:17]
	v_fmac_f64_e32 v[6:7], v[2:3], v[16:17]
	v_mul_f64 v[0:1], v[46:47], -v[6:7]
	v_mul_f64 v[2:3], v[46:47], v[4:5]
	v_fmac_f64_e32 v[0:1], v[4:5], v[44:45]
	v_fmac_f64_e32 v[2:3], v[6:7], v[44:45]
	v_lshl_add_u64 v[4:5], v[50:51], 4, s[10:11]
	global_store_dwordx4 v[4:5], v[0:3], off
	s_nop 1
	v_lshl_add_u64 v[0:1], v[50:51], 2, s[12:13]
	global_store_dword v[0:1], v39, off
.LBB268_50:                             ;   in Loop: Header=BB268_5 Depth=1
	s_or_b64 exec, exec, s[24:25]
                                        ; implicit-def: $vgpr2_vgpr3
                                        ; implicit-def: $vgpr4_vgpr5
                                        ; implicit-def: $vgpr8_vgpr9
                                        ; implicit-def: $vgpr46_vgpr47
                                        ; implicit-def: $vgpr48_vgpr49
                                        ; implicit-def: $vgpr44_vgpr45
                                        ; implicit-def: $vgpr14_vgpr15
.LBB268_51:                             ;   in Loop: Header=BB268_5 Depth=1
	s_or_saveexec_b64 s[2:3], s[2:3]
	v_mov_b64_e32 v[16:17], 0
	v_mov_b32_e32 v20, s28
	v_mov_b64_e32 v[18:19], 0
	s_xor_b64 exec, exec, s[2:3]
	s_cbranch_execz .LBB268_4
; %bb.52:                               ;   in Loop: Header=BB268_5 Depth=1
	v_ashrrev_i32_e32 v43, 31, v42
	v_lshl_add_u64 v[28:29], v[42:43], 4, v[40:41]
	v_lshlrev_b64 v[24:25], 4, v[44:45]
	global_load_dwordx4 v[16:19], v[28:29], off
	v_lshl_add_u64 v[30:31], s[8:9], 0, v[24:25]
	global_load_dwordx4 v[20:23], v[30:31], off
	v_mul_f64 v[26:27], v[2:3], v[2:3]
	v_fmac_f64_e32 v[26:27], v[0:1], v[0:1]
	v_fma_f64 v[32:33], 0, v[2:3], v[0:1]
	v_fma_f64 v[2:3], v[0:1], 0, -v[2:3]
	v_div_scale_f64 v[0:1], s[24:25], v[26:27], v[26:27], 1.0
	v_lshl_add_u64 v[34:35], v[44:45], 2, s[12:13]
	v_rcp_f64_e32 v[44:45], v[0:1]
	v_lshl_add_u64 v[50:51], s[10:11], 0, v[24:25]
	v_div_scale_f64 v[24:25], vcc, 1.0, v[26:27], 1.0
	v_fma_f64 v[52:53], -v[0:1], v[44:45], 1.0
	v_fmac_f64_e32 v[44:45], v[44:45], v[52:53]
	v_fma_f64 v[52:53], -v[0:1], v[44:45], 1.0
	v_fmac_f64_e32 v[44:45], v[44:45], v[52:53]
	v_mul_f64 v[52:53], v[24:25], v[44:45]
	v_fma_f64 v[0:1], -v[0:1], v[52:53], v[24:25]
	v_div_fmas_f64 v[0:1], v[0:1], v[44:45], v[52:53]
	v_div_fixup_f64 v[24:25], v[0:1], v[26:27], 1.0
	v_mul_f64 v[2:3], v[2:3], v[24:25]
	v_mul_f64 v[0:1], v[32:33], v[24:25]
	v_mul_f64 v[24:25], v[2:3], -v[14:15]
	v_mul_f64 v[26:27], v[2:3], v[12:13]
	v_fmac_f64_e32 v[24:25], v[12:13], v[0:1]
	v_fmac_f64_e32 v[26:27], v[14:15], v[0:1]
	global_store_dwordx4 v[50:51], v[24:27], off
	s_waitcnt vmcnt(2)
	v_mul_f64 v[12:13], v[2:3], -v[18:19]
	v_mul_f64 v[14:15], v[2:3], v[16:17]
	s_waitcnt vmcnt(1)
	v_mul_f64 v[24:25], v[2:3], -v[22:23]
	v_mul_f64 v[26:27], v[2:3], v[20:21]
	v_fmac_f64_e32 v[12:13], v[16:17], v[0:1]
	v_fmac_f64_e32 v[14:15], v[18:19], v[0:1]
	;; [unrolled: 1-line block ×4, first 2 shown]
	global_store_dwordx4 v[28:29], v[12:15], off
	global_store_dwordx4 v[30:31], v[24:27], off
	global_store_dword v[34:35], v56, off
	s_and_saveexec_b64 s[24:25], s[0:1]
	s_cbranch_execz .LBB268_3
; %bb.53:                               ;   in Loop: Header=BB268_5 Depth=1
	v_add_u32_e32 v12, v38, v42
	v_ashrrev_i32_e32 v13, 31, v12
	v_lshl_add_u64 v[20:21], v[12:13], 4, s[6:7]
	global_load_dwordx4 v[12:15], v[20:21], off
	v_mul_f64 v[22:23], v[2:3], v[4:5]
	v_mul_f64 v[24:25], v[2:3], -v[6:7]
	v_fmac_f64_e32 v[22:23], v[6:7], v[0:1]
	v_fmac_f64_e32 v[24:25], v[4:5], v[0:1]
	v_mul_f64 v[4:5], v[22:23], v[18:19]
	v_mul_f64 v[6:7], v[18:19], -v[24:25]
	v_fma_f64 v[4:5], -v[24:25], v[16:17], v[4:5]
	v_fma_f64 v[6:7], -v[22:23], v[16:17], v[6:7]
	s_waitcnt vmcnt(0)
	v_add_f64 v[4:5], v[4:5], v[12:13]
	v_add_f64 v[6:7], v[6:7], v[14:15]
	global_store_dwordx4 v[20:21], v[4:7], off
	s_branch .LBB268_3
.LBB268_54:
	s_or_b64 exec, exec, s[18:19]
.LBB268_55:
	v_subrev_u32_e32 v2, s26, v42
	v_add_u32_e32 v0, v2, v36
	v_ashrrev_i32_e32 v1, 31, v0
	s_waitcnt lgkmcnt(0)
	v_lshl_add_u64 v[0:1], v[0:1], 2, s[12:13]
	buffer_wbl2 sc1
	s_waitcnt vmcnt(0)
	buffer_inv sc1
	global_load_dword v0, v[0:1], off
	s_waitcnt vmcnt(0)
	v_mul_lo_u32 v0, v0, s26
	v_sub_u32_e32 v4, v2, v0
	v_cmp_lt_i32_e32 vcc, -1, v4
	s_and_b64 exec, exec, vcc
	s_cbranch_execz .LBB268_62
; %bb.56:
	v_subrev_u32_e32 v12, s26, v36
	s_and_b32 s4, s27, -2
	s_mov_b64 s[0:1], 0
	s_branch .LBB268_58
.LBB268_57:                             ;   in Loop: Header=BB268_58 Depth=1
	s_or_b64 exec, exec, s[2:3]
	v_lshl_add_u64 v[6:7], v[6:7], 4, s[8:9]
	global_load_dwordx4 v[0:3], v[6:7], off
	v_sub_u32_e32 v4, v4, v5
	v_cmp_gt_i32_e32 vcc, 0, v4
	s_or_b64 s[0:1], vcc, s[0:1]
	s_waitcnt vmcnt(0)
	v_add_f64 v[0:1], v[0:1], v[8:9]
	v_add_f64 v[2:3], v[10:11], v[2:3]
	global_store_dwordx4 v[6:7], v[0:3], off
	s_andn2_b64 exec, exec, s[0:1]
	s_cbranch_execz .LBB268_62
.LBB268_58:                             ; =>This Inner Loop Header: Depth=1
	v_add_u32_e32 v6, v4, v36
	v_ashrrev_i32_e32 v7, 31, v6
	v_lshl_add_u64 v[0:1], v[6:7], 2, s[12:13]
	global_load_dword v5, v[0:1], off
	v_lshl_add_u64 v[0:1], v[6:7], 4, s[10:11]
	global_load_dwordx4 v[0:3], v[0:1], off
                                        ; implicit-def: $vgpr10_vgpr11
                                        ; implicit-def: $vgpr8_vgpr9
	s_waitcnt vmcnt(1)
	v_cmp_ne_u32_e32 vcc, 1, v5
	s_and_saveexec_b64 s[2:3], vcc
	s_xor_b64 s[2:3], exec, s[2:3]
	s_cbranch_execz .LBB268_60
; %bb.59:                               ;   in Loop: Header=BB268_58 Depth=1
	v_add_u32_e32 v8, v38, v4
	v_ashrrev_i32_e32 v9, 31, v8
	v_lshlrev_b64 v[14:15], 4, v[8:9]
	v_lshl_add_u64 v[30:31], s[6:7], 0, v[14:15]
	global_load_dwordx4 v[8:11], v[30:31], off
	v_lshl_add_u64 v[32:33], s[8:9], 0, v[14:15]
	v_ashrrev_i32_e32 v5, 31, v4
	global_load_dwordx4 v[14:17], v[32:33], off
	v_lshl_add_u64 v[34:35], v[4:5], 4, v[40:41]
	global_load_dwordx4 v[18:21], v[34:35], off
	v_lshl_add_u64 v[42:43], v[6:7], 4, s[8:9]
	global_load_dwordx4 v[22:25], v[42:43], off
	v_add_u32_e32 v44, v12, v4
	v_ashrrev_i32_e32 v45, 31, v44
	v_lshlrev_b64 v[46:47], 4, v[44:45]
	v_lshl_add_u64 v[6:7], s[10:11], 0, v[46:47]
	global_load_dwordx4 v[26:29], v[6:7], off
	s_waitcnt vmcnt(4)
	v_mul_f64 v[6:7], v[2:3], v[10:11]
	v_mul_f64 v[10:11], v[10:11], -v[0:1]
	v_fma_f64 v[6:7], -v[0:1], v[8:9], v[6:7]
	s_waitcnt vmcnt(3)
	v_mul_f64 v[48:49], v[2:3], v[16:17]
	v_mul_f64 v[16:17], v[16:17], -v[0:1]
	v_fma_f64 v[8:9], -v[2:3], v[8:9], v[10:11]
	v_fma_f64 v[10:11], -v[0:1], v[14:15], v[48:49]
	;; [unrolled: 1-line block ×3, first 2 shown]
	s_waitcnt vmcnt(2)
	v_add_f64 v[0:1], v[18:19], v[6:7]
	v_add_f64 v[2:3], v[8:9], v[20:21]
	global_store_dwordx4 v[34:35], v[0:3], off
	s_waitcnt vmcnt(2)
	v_add_f64 v[6:7], v[22:23], v[10:11]
	v_add_f64 v[8:9], v[14:15], v[24:25]
	global_load_dwordx4 v[0:3], v[30:31], off
	v_lshl_add_u64 v[18:19], s[6:7], 0, v[46:47]
	global_store_dwordx4 v[42:43], v[6:9], off
	global_load_dwordx4 v[6:9], v[32:33], off
	s_waitcnt vmcnt(0)
	v_mul_f64 v[20:21], v[28:29], v[8:9]
	global_load_dwordx4 v[14:17], v[18:19], off
	v_mul_f64 v[10:11], v[28:29], v[2:3]
	v_mul_f64 v[2:3], v[2:3], -v[26:27]
	v_fma_f64 v[24:25], -v[26:27], v[0:1], v[10:11]
	v_fma_f64 v[2:3], -v[28:29], v[0:1], v[2:3]
	v_mul_f64 v[22:23], v[8:9], -v[26:27]
	v_fma_f64 v[8:9], -v[26:27], v[6:7], v[20:21]
	v_fma_f64 v[10:11], -v[28:29], v[6:7], v[22:23]
	v_mov_b64_e32 v[6:7], v[44:45]
	s_waitcnt vmcnt(0)
	v_add_f64 v[0:1], v[14:15], v[24:25]
	v_add_f64 v[2:3], v[2:3], v[16:17]
	global_store_dwordx4 v[18:19], v[0:3], off
                                        ; implicit-def: $vgpr2_vgpr3
.LBB268_60:                             ;   in Loop: Header=BB268_58 Depth=1
	s_or_saveexec_b64 s[2:3], s[2:3]
	v_mov_b32_e32 v5, s4
	s_xor_b64 exec, exec, s[2:3]
	s_cbranch_execz .LBB268_57
; %bb.61:                               ;   in Loop: Header=BB268_58 Depth=1
	v_add_u32_e32 v8, v38, v4
	v_ashrrev_i32_e32 v9, 31, v8
	v_lshlrev_b64 v[14:15], 4, v[8:9]
	v_lshl_add_u64 v[8:9], s[6:7], 0, v[14:15]
	global_load_dwordx4 v[8:11], v[8:9], off
	v_lshl_add_u64 v[14:15], s[8:9], 0, v[14:15]
	v_ashrrev_i32_e32 v5, 31, v4
	global_load_dwordx4 v[14:17], v[14:15], off
	v_lshl_add_u64 v[22:23], v[4:5], 4, v[40:41]
	global_load_dwordx4 v[18:21], v[22:23], off
	v_mov_b32_e32 v5, s26
	s_waitcnt vmcnt(2)
	v_mul_f64 v[24:25], v[2:3], v[10:11]
	v_mul_f64 v[10:11], v[10:11], -v[0:1]
	v_fma_f64 v[24:25], -v[0:1], v[8:9], v[24:25]
	s_waitcnt vmcnt(1)
	v_mul_f64 v[26:27], v[2:3], v[16:17]
	v_mul_f64 v[16:17], v[16:17], -v[0:1]
	v_fma_f64 v[28:29], -v[2:3], v[8:9], v[10:11]
	v_fma_f64 v[8:9], -v[0:1], v[14:15], v[26:27]
	;; [unrolled: 1-line block ×3, first 2 shown]
	s_waitcnt vmcnt(0)
	v_add_f64 v[0:1], v[18:19], v[24:25]
	v_add_f64 v[2:3], v[28:29], v[20:21]
	global_store_dwordx4 v[22:23], v[0:3], off
	s_branch .LBB268_57
.LBB268_62:
	s_endpgm
	.section	.rodata,"a",@progbits
	.p2align	6, 0x0
	.amdhsa_kernel _ZN9rocsparseL18gtsv_LBM_wv_kernelILj256ELj2E21rocsparse_complex_numIdEEEviiiPKT1_S5_S5_PS3_S6_S6_Pi
		.amdhsa_group_segment_fixed_size 0
		.amdhsa_private_segment_fixed_size 0
		.amdhsa_kernarg_size 72
		.amdhsa_user_sgpr_count 2
		.amdhsa_user_sgpr_dispatch_ptr 0
		.amdhsa_user_sgpr_queue_ptr 0
		.amdhsa_user_sgpr_kernarg_segment_ptr 1
		.amdhsa_user_sgpr_dispatch_id 0
		.amdhsa_user_sgpr_kernarg_preload_length 0
		.amdhsa_user_sgpr_kernarg_preload_offset 0
		.amdhsa_user_sgpr_private_segment_size 0
		.amdhsa_uses_dynamic_stack 0
		.amdhsa_enable_private_segment 0
		.amdhsa_system_sgpr_workgroup_id_x 1
		.amdhsa_system_sgpr_workgroup_id_y 0
		.amdhsa_system_sgpr_workgroup_id_z 0
		.amdhsa_system_sgpr_workgroup_info 0
		.amdhsa_system_vgpr_workitem_id 0
		.amdhsa_next_free_vgpr 80
		.amdhsa_next_free_sgpr 32
		.amdhsa_accum_offset 80
		.amdhsa_reserve_vcc 1
		.amdhsa_float_round_mode_32 0
		.amdhsa_float_round_mode_16_64 0
		.amdhsa_float_denorm_mode_32 3
		.amdhsa_float_denorm_mode_16_64 3
		.amdhsa_dx10_clamp 1
		.amdhsa_ieee_mode 1
		.amdhsa_fp16_overflow 0
		.amdhsa_tg_split 0
		.amdhsa_exception_fp_ieee_invalid_op 0
		.amdhsa_exception_fp_denorm_src 0
		.amdhsa_exception_fp_ieee_div_zero 0
		.amdhsa_exception_fp_ieee_overflow 0
		.amdhsa_exception_fp_ieee_underflow 0
		.amdhsa_exception_fp_ieee_inexact 0
		.amdhsa_exception_int_div_zero 0
	.end_amdhsa_kernel
	.section	.text._ZN9rocsparseL18gtsv_LBM_wv_kernelILj256ELj2E21rocsparse_complex_numIdEEEviiiPKT1_S5_S5_PS3_S6_S6_Pi,"axG",@progbits,_ZN9rocsparseL18gtsv_LBM_wv_kernelILj256ELj2E21rocsparse_complex_numIdEEEviiiPKT1_S5_S5_PS3_S6_S6_Pi,comdat
.Lfunc_end268:
	.size	_ZN9rocsparseL18gtsv_LBM_wv_kernelILj256ELj2E21rocsparse_complex_numIdEEEviiiPKT1_S5_S5_PS3_S6_S6_Pi, .Lfunc_end268-_ZN9rocsparseL18gtsv_LBM_wv_kernelILj256ELj2E21rocsparse_complex_numIdEEEviiiPKT1_S5_S5_PS3_S6_S6_Pi
                                        ; -- End function
	.set _ZN9rocsparseL18gtsv_LBM_wv_kernelILj256ELj2E21rocsparse_complex_numIdEEEviiiPKT1_S5_S5_PS3_S6_S6_Pi.num_vgpr, 80
	.set _ZN9rocsparseL18gtsv_LBM_wv_kernelILj256ELj2E21rocsparse_complex_numIdEEEviiiPKT1_S5_S5_PS3_S6_S6_Pi.num_agpr, 0
	.set _ZN9rocsparseL18gtsv_LBM_wv_kernelILj256ELj2E21rocsparse_complex_numIdEEEviiiPKT1_S5_S5_PS3_S6_S6_Pi.numbered_sgpr, 32
	.set _ZN9rocsparseL18gtsv_LBM_wv_kernelILj256ELj2E21rocsparse_complex_numIdEEEviiiPKT1_S5_S5_PS3_S6_S6_Pi.num_named_barrier, 0
	.set _ZN9rocsparseL18gtsv_LBM_wv_kernelILj256ELj2E21rocsparse_complex_numIdEEEviiiPKT1_S5_S5_PS3_S6_S6_Pi.private_seg_size, 0
	.set _ZN9rocsparseL18gtsv_LBM_wv_kernelILj256ELj2E21rocsparse_complex_numIdEEEviiiPKT1_S5_S5_PS3_S6_S6_Pi.uses_vcc, 1
	.set _ZN9rocsparseL18gtsv_LBM_wv_kernelILj256ELj2E21rocsparse_complex_numIdEEEviiiPKT1_S5_S5_PS3_S6_S6_Pi.uses_flat_scratch, 0
	.set _ZN9rocsparseL18gtsv_LBM_wv_kernelILj256ELj2E21rocsparse_complex_numIdEEEviiiPKT1_S5_S5_PS3_S6_S6_Pi.has_dyn_sized_stack, 0
	.set _ZN9rocsparseL18gtsv_LBM_wv_kernelILj256ELj2E21rocsparse_complex_numIdEEEviiiPKT1_S5_S5_PS3_S6_S6_Pi.has_recursion, 0
	.set _ZN9rocsparseL18gtsv_LBM_wv_kernelILj256ELj2E21rocsparse_complex_numIdEEEviiiPKT1_S5_S5_PS3_S6_S6_Pi.has_indirect_call, 0
	.section	.AMDGPU.csdata,"",@progbits
; Kernel info:
; codeLenInByte = 5764
; TotalNumSgprs: 38
; NumVgprs: 80
; NumAgprs: 0
; TotalNumVgprs: 80
; ScratchSize: 0
; MemoryBound: 1
; FloatMode: 240
; IeeeMode: 1
; LDSByteSize: 0 bytes/workgroup (compile time only)
; SGPRBlocks: 4
; VGPRBlocks: 9
; NumSGPRsForWavesPerEU: 38
; NumVGPRsForWavesPerEU: 80
; AccumOffset: 80
; Occupancy: 6
; WaveLimiterHint : 0
; COMPUTE_PGM_RSRC2:SCRATCH_EN: 0
; COMPUTE_PGM_RSRC2:USER_SGPR: 2
; COMPUTE_PGM_RSRC2:TRAP_HANDLER: 0
; COMPUTE_PGM_RSRC2:TGID_X_EN: 1
; COMPUTE_PGM_RSRC2:TGID_Y_EN: 0
; COMPUTE_PGM_RSRC2:TGID_Z_EN: 0
; COMPUTE_PGM_RSRC2:TIDIG_COMP_CNT: 0
; COMPUTE_PGM_RSRC3_GFX90A:ACCUM_OFFSET: 19
; COMPUTE_PGM_RSRC3_GFX90A:TG_SPLIT: 0
	.section	.text._ZN9rocsparseL19gtsv_LBM_rhs_kernelILj256ELj2ELj8E21rocsparse_complex_numIdEEEviiiPKT2_S5_S5_PS3_S5_PKi,"axG",@progbits,_ZN9rocsparseL19gtsv_LBM_rhs_kernelILj256ELj2ELj8E21rocsparse_complex_numIdEEEviiiPKT2_S5_S5_PS3_S5_PKi,comdat
	.globl	_ZN9rocsparseL19gtsv_LBM_rhs_kernelILj256ELj2ELj8E21rocsparse_complex_numIdEEEviiiPKT2_S5_S5_PS3_S5_PKi ; -- Begin function _ZN9rocsparseL19gtsv_LBM_rhs_kernelILj256ELj2ELj8E21rocsparse_complex_numIdEEEviiiPKT2_S5_S5_PS3_S5_PKi
	.p2align	8
	.type	_ZN9rocsparseL19gtsv_LBM_rhs_kernelILj256ELj2ELj8E21rocsparse_complex_numIdEEEviiiPKT2_S5_S5_PS3_S5_PKi,@function
_ZN9rocsparseL19gtsv_LBM_rhs_kernelILj256ELj2ELj8E21rocsparse_complex_numIdEEEviiiPKT2_S5_S5_PS3_S5_PKi: ; @_ZN9rocsparseL19gtsv_LBM_rhs_kernelILj256ELj2ELj8E21rocsparse_complex_numIdEEEviiiPKT2_S5_S5_PS3_S5_PKi
; %bb.0:
	s_load_dword s21, s[0:1], 0x0
	v_lshl_or_b32 v48, s2, 8, v0
	s_waitcnt lgkmcnt(0)
	s_lshr_b32 s20, s21, 1
	v_cmp_gt_i32_e32 vcc, s20, v48
	s_and_saveexec_b64 s[4:5], vcc
	s_cbranch_execz .LBB269_23
; %bb.1:
	s_load_dwordx4 s[4:7], s[0:1], 0x28
	s_load_dwordx2 s[12:13], s[0:1], 0x38
	s_cmp_lt_i32 s21, 1
	v_add_u32_e32 v90, s20, v48
	s_mul_i32 s22, s3, s21
	s_cbranch_scc1 .LBB269_15
; %bb.2:
	s_load_dwordx4 s[8:11], s[0:1], 0x10
	s_load_dwordx2 s[14:15], s[0:1], 0x20
	v_ashrrev_i32_e32 v49, 31, v48
	s_lshl_b32 s23, s22, 3
	s_add_i32 s24, s23, s21
	s_waitcnt lgkmcnt(0)
	v_lshl_add_u64 v[0:1], v[48:49], 4, s[10:11]
	global_load_dwordx4 v[12:15], v[0:1], off
	s_add_i32 s25, s24, s21
	s_add_i32 s26, s25, s21
	;; [unrolled: 1-line block ×6, first 2 shown]
	s_and_b32 s31, s21, 0x7ffffffe
	v_mov_b32_e32 v51, 0
	s_mov_b64 s[16:17], 0
	v_mov_b32_e32 v49, 0
	s_branch .LBB269_5
.LBB269_3:                              ;   in Loop: Header=BB269_5 Depth=1
	s_or_b64 exec, exec, s[18:19]
	v_fmac_f64_e32 v[46:47], v[0:1], v[4:5]
	v_fmac_f64_e32 v[44:45], v[2:3], v[4:5]
	v_mul_f64 v[0:1], v[52:53], -v[44:45]
	v_mul_f64 v[2:3], v[52:53], v[46:47]
	v_fmac_f64_e32 v[0:1], v[46:47], v[6:7]
	v_fmac_f64_e32 v[2:3], v[44:45], v[6:7]
	v_add_f64 v[6:7], v[8:9], -v[0:1]
	v_add_f64 v[16:17], v[10:11], -v[2:3]
	v_mov_b32_e32 v18, s20
.LBB269_4:                              ;   in Loop: Header=BB269_5 Depth=1
	s_or_b64 exec, exec, s[2:3]
	v_add_u32_e32 v49, v18, v49
	v_cmp_le_i32_e32 vcc, s21, v49
	s_or_b64 s[16:17], vcc, s[16:17]
	v_mov_b64_e32 v[14:15], v[16:17]
	v_mov_b64_e32 v[12:13], v[6:7]
	s_andn2_b64 exec, exec, s[16:17]
	s_cbranch_execz .LBB269_14
.LBB269_5:                              ; =>This Inner Loop Header: Depth=1
	v_add_u32_e32 v16, v49, v48
	v_ashrrev_i32_e32 v17, 31, v16
	v_lshl_add_u64 v[0:1], v[16:17], 4, s[14:15]
	global_load_dwordx4 v[4:7], v[0:1], off
	v_cmp_gt_u32_e64 s[0:1], s20, v49
	v_mov_b64_e32 v[8:9], 0
	v_mov_b64_e32 v[0:1], 0
	;; [unrolled: 1-line block ×3, first 2 shown]
	s_and_saveexec_b64 s[2:3], s[0:1]
	s_cbranch_execz .LBB269_7
; %bb.6:                                ;   in Loop: Header=BB269_5 Depth=1
	v_add_u32_e32 v0, v90, v49
	v_ashrrev_i32_e32 v1, 31, v0
	v_lshl_add_u64 v[0:1], v[0:1], 4, s[8:9]
	global_load_dwordx4 v[0:3], v[0:1], off
.LBB269_7:                              ;   in Loop: Header=BB269_5 Depth=1
	s_or_b64 exec, exec, s[2:3]
	v_mov_b64_e32 v[10:11], 0
	s_and_saveexec_b64 s[2:3], s[0:1]
	s_cbranch_execz .LBB269_9
; %bb.8:                                ;   in Loop: Header=BB269_5 Depth=1
	v_add_u32_e32 v8, v90, v49
	v_ashrrev_i32_e32 v9, 31, v8
	v_lshl_add_u64 v[8:9], v[8:9], 4, s[10:11]
	global_load_dwordx4 v[8:11], v[8:9], off
.LBB269_9:                              ;   in Loop: Header=BB269_5 Depth=1
	s_or_b64 exec, exec, s[2:3]
	v_lshl_add_u64 v[18:19], v[16:17], 2, s[12:13]
	global_load_dword v17, v[18:19], off
	v_cmp_ne_u32_e32 vcc, s20, v49
	s_waitcnt vmcnt(1)
	v_mul_f64 v[46:47], v[6:7], -v[2:3]
	v_mul_f64 v[44:45], v[6:7], v[0:1]
	v_add_u32_e32 v50, s23, v16
	v_add_u32_e32 v20, s24, v16
	;; [unrolled: 1-line block ×8, first 2 shown]
	s_waitcnt vmcnt(0)
	v_cmp_ne_u32_e64 s[2:3], 1, v17
	s_and_b64 s[2:3], vcc, s[2:3]
	s_and_saveexec_b64 s[18:19], s[2:3]
	s_xor_b64 s[2:3], exec, s[18:19]
	s_cbranch_execz .LBB269_11
; %bb.10:                               ;   in Loop: Header=BB269_5 Depth=1
	v_mul_f64 v[18:19], v[12:13], v[10:11]
	v_mul_f64 v[16:17], v[10:11], -v[14:15]
	v_fmac_f64_e32 v[18:19], v[14:15], v[8:9]
	v_fmac_f64_e32 v[44:45], v[2:3], v[4:5]
	v_fmac_f64_e32 v[16:17], v[12:13], v[8:9]
	v_fmac_f64_e32 v[46:47], v[0:1], v[4:5]
	v_add_f64 v[76:77], v[18:19], -v[44:45]
	v_add_f64 v[74:75], v[16:17], -v[46:47]
	v_mul_f64 v[72:73], v[76:77], v[76:77]
	v_fmac_f64_e32 v[72:73], v[74:75], v[74:75]
	v_div_scale_f64 v[80:81], s[18:19], v[72:73], v[72:73], 1.0
	v_rcp_f64_e32 v[84:85], v[80:81]
	v_lshl_add_u64 v[66:67], v[50:51], 4, s[4:5]
	v_mov_b32_e32 v41, v51
	v_mov_b32_e32 v53, v51
	v_fma_f64 v[34:35], -v[80:81], v[84:85], 1.0
	v_fmac_f64_e32 v[84:85], v[84:85], v[34:35]
	v_add_u32_e32 v91, v90, v49
	global_load_dwordx4 v[16:19], v[66:67], off
	v_fma_f64 v[42:43], -v[80:81], v[84:85], 1.0
	v_lshl_add_u64 v[54:55], v[40:41], 4, s[4:5]
	v_lshl_add_u64 v[52:53], v[52:53], 4, s[4:5]
	v_add_u32_e32 v50, s23, v91
	v_fmac_f64_e32 v[84:85], v[84:85], v[42:43]
	global_load_dwordx4 v[40:43], v[54:55], off
	global_load_dwordx4 v[44:47], v[52:53], off
	v_lshl_add_u64 v[68:69], v[50:51], 4, s[4:5]
	global_load_dwordx4 v[92:95], v[68:69], off
	v_add_u32_e32 v50, s24, v91
	v_lshl_add_u64 v[70:71], v[50:51], 4, s[4:5]
	global_load_dwordx4 v[96:99], v[70:71], off
	v_add_u32_e32 v50, s25, v91
	v_div_scale_f64 v[82:83], vcc, 1.0, v[72:73], 1.0
	v_lshl_add_u64 v[78:79], v[50:51], 4, s[4:5]
	v_mul_f64 v[86:87], v[82:83], v[84:85]
	global_load_dwordx4 v[100:103], v[78:79], off
	v_add_u32_e32 v50, s26, v91
	v_mov_b32_e32 v25, v51
	v_fma_f64 v[88:89], -v[80:81], v[86:87], v[82:83]
	v_lshl_add_u64 v[80:81], v[50:51], 4, s[4:5]
	v_mov_b32_e32 v21, v51
	v_lshl_add_u64 v[62:63], v[24:25], 4, s[4:5]
	v_mov_b32_e32 v33, v51
	v_mov_b32_e32 v37, v51
	global_load_dwordx4 v[104:107], v[80:81], off
	v_add_u32_e32 v50, s27, v91
	v_lshl_add_u64 v[64:65], v[20:21], 4, s[4:5]
	global_load_dwordx4 v[24:27], v[62:63], off
	v_lshl_add_u64 v[56:57], v[32:33], 4, s[4:5]
	v_lshl_add_u64 v[58:59], v[36:37], 4, s[4:5]
	;; [unrolled: 1-line block ×3, first 2 shown]
	v_add_u32_e32 v50, s28, v91
	global_load_dwordx4 v[20:23], v[64:65], off
	global_load_dwordx4 v[32:35], v[56:57], off
	global_load_dwordx4 v[36:39], v[58:59], off
	global_load_dwordx4 v[108:111], v[82:83], off
	v_div_fmas_f64 v[88:89], v[88:89], v[84:85], v[86:87]
	v_lshl_add_u64 v[84:85], v[50:51], 4, s[4:5]
	global_load_dwordx4 v[112:115], v[84:85], off
	v_mov_b32_e32 v29, v51
	v_lshl_add_u64 v[60:61], v[28:29], 4, s[4:5]
	global_load_dwordx4 v[28:31], v[60:61], off
	v_add_u32_e32 v50, s29, v91
	v_lshl_add_u64 v[86:87], v[50:51], 4, s[4:5]
	global_load_dwordx4 v[116:119], v[86:87], off
	v_add_u32_e32 v50, s30, v91
	v_fma_f64 v[124:125], 0, v[76:77], v[74:75]
	v_fma_f64 v[76:77], v[74:75], 0, -v[76:77]
	v_lshl_add_u64 v[74:75], v[50:51], 4, s[4:5]
	global_load_dwordx4 v[120:123], v[74:75], off
	v_div_fixup_f64 v[72:73], v[88:89], v[72:73], 1.0
	v_mul_f64 v[126:127], v[76:77], v[72:73]
	v_mul_f64 v[124:125], v[124:125], v[72:73]
	s_waitcnt vmcnt(15)
	v_mul_f64 v[130:131], v[126:127], v[16:17]
	v_mul_f64 v[128:129], v[126:127], -v[18:19]
	v_fmac_f64_e32 v[130:131], v[18:19], v[124:125]
	v_fmac_f64_e32 v[128:129], v[16:17], v[124:125]
	s_waitcnt vmcnt(13)
	v_mul_f64 v[18:19], v[126:127], v[44:45]
	v_mul_f64 v[16:17], v[126:127], -v[46:47]
	v_fmac_f64_e32 v[18:19], v[46:47], v[124:125]
	s_waitcnt vmcnt(12)
	v_mul_f64 v[46:47], v[126:127], -v[94:95]
	v_fmac_f64_e32 v[46:47], v[92:93], v[124:125]
	v_mul_f64 v[92:93], v[126:127], v[92:93]
	v_fmac_f64_e32 v[92:93], v[94:95], v[124:125]
	s_waitcnt vmcnt(11)
	v_mul_f64 v[94:95], v[126:127], -v[98:99]
	v_fmac_f64_e32 v[94:95], v[96:97], v[124:125]
	v_mul_f64 v[96:97], v[126:127], v[96:97]
	;; [unrolled: 5-line block ×3, first 2 shown]
	v_fmac_f64_e32 v[100:101], v[102:103], v[124:125]
	v_fmac_f64_e32 v[16:17], v[44:45], v[124:125]
	v_mul_f64 v[44:45], v[8:9], v[130:131]
	v_fmac_f64_e32 v[44:45], v[10:11], v[128:129]
	s_waitcnt vmcnt(9)
	v_mul_f64 v[102:103], v[126:127], -v[106:107]
	v_fmac_f64_e32 v[102:103], v[104:105], v[124:125]
	v_mul_f64 v[104:105], v[126:127], v[104:105]
	s_waitcnt vmcnt(8)
	v_mul_f64 v[138:139], v[126:127], v[24:25]
	v_mul_f64 v[136:137], v[126:127], -v[26:27]
	v_fmac_f64_e32 v[138:139], v[26:27], v[124:125]
	v_fmac_f64_e32 v[104:105], v[106:107], v[124:125]
	;; [unrolled: 1-line block ×3, first 2 shown]
	s_waitcnt vmcnt(7)
	v_mul_f64 v[132:133], v[126:127], -v[22:23]
	v_mul_f64 v[134:135], v[126:127], v[20:21]
	s_waitcnt vmcnt(5)
	v_mul_f64 v[26:27], v[126:127], v[36:37]
	s_waitcnt vmcnt(4)
	v_mul_f64 v[106:107], v[126:127], -v[110:111]
	v_fmac_f64_e32 v[132:133], v[20:21], v[124:125]
	v_fmac_f64_e32 v[134:135], v[22:23], v[124:125]
	v_mul_f64 v[24:25], v[126:127], -v[38:39]
	v_fmac_f64_e32 v[26:27], v[38:39], v[124:125]
	v_mul_f64 v[20:21], v[126:127], -v[42:43]
	v_mul_f64 v[22:23], v[126:127], v[40:41]
	v_fmac_f64_e32 v[106:107], v[108:109], v[124:125]
	v_mul_f64 v[108:109], v[126:127], v[108:109]
	s_waitcnt vmcnt(3)
	v_mul_f64 v[38:39], v[126:127], -v[114:115]
	v_fmac_f64_e32 v[20:21], v[40:41], v[124:125]
	v_fmac_f64_e32 v[22:23], v[42:43], v[124:125]
	;; [unrolled: 1-line block ×4, first 2 shown]
	v_mul_f64 v[40:41], v[126:127], v[112:113]
	v_mul_f64 v[42:43], v[130:131], -v[10:11]
	v_mul_f64 v[110:111], v[92:93], -v[6:7]
	v_mul_f64 v[112:113], v[4:5], v[92:93]
	v_fmac_f64_e32 v[42:43], v[8:9], v[128:129]
	v_fmac_f64_e32 v[110:111], v[4:5], v[46:47]
	;; [unrolled: 1-line block ×3, first 2 shown]
	v_add_f64 v[42:43], v[42:43], -v[110:111]
	v_add_f64 v[44:45], v[44:45], -v[112:113]
	global_store_dwordx4 v[66:67], v[42:45], off
	v_mul_f64 v[66:67], v[96:97], -v[6:7]
	v_mul_f64 v[110:111], v[4:5], v[96:97]
	v_mul_f64 v[42:43], v[134:135], -v[10:11]
	v_mul_f64 v[44:45], v[8:9], v[134:135]
	v_fmac_f64_e32 v[42:43], v[8:9], v[132:133]
	v_fmac_f64_e32 v[44:45], v[10:11], v[132:133]
	;; [unrolled: 1-line block ×4, first 2 shown]
	v_add_f64 v[42:43], v[42:43], -v[66:67]
	v_add_f64 v[44:45], v[44:45], -v[110:111]
	global_store_dwordx4 v[64:65], v[42:45], off
	v_mul_f64 v[64:65], v[100:101], -v[6:7]
	v_mul_f64 v[66:67], v[4:5], v[100:101]
	v_mul_f64 v[42:43], v[138:139], -v[10:11]
	v_mul_f64 v[44:45], v[8:9], v[138:139]
	s_waitcnt vmcnt(4)
	v_mul_f64 v[88:89], v[126:127], v[28:29]
	v_fmac_f64_e32 v[42:43], v[8:9], v[136:137]
	v_fmac_f64_e32 v[44:45], v[10:11], v[136:137]
	;; [unrolled: 1-line block ×4, first 2 shown]
	v_mul_f64 v[76:77], v[126:127], -v[30:31]
	v_fmac_f64_e32 v[88:89], v[30:31], v[124:125]
	v_add_f64 v[42:43], v[42:43], -v[64:65]
	v_add_f64 v[44:45], v[44:45], -v[66:67]
	v_fmac_f64_e32 v[76:77], v[28:29], v[124:125]
	global_store_dwordx4 v[62:63], v[42:45], off
	v_mul_f64 v[62:63], v[104:105], -v[6:7]
	v_mul_f64 v[64:65], v[4:5], v[104:105]
	v_mul_f64 v[42:43], v[88:89], -v[10:11]
	v_mul_f64 v[44:45], v[8:9], v[88:89]
	v_mul_f64 v[72:73], v[126:127], v[32:33]
	v_fmac_f64_e32 v[42:43], v[8:9], v[76:77]
	v_fmac_f64_e32 v[44:45], v[10:11], v[76:77]
	;; [unrolled: 1-line block ×4, first 2 shown]
	v_mul_f64 v[30:31], v[126:127], -v[34:35]
	v_fmac_f64_e32 v[72:73], v[34:35], v[124:125]
	v_add_f64 v[42:43], v[42:43], -v[62:63]
	v_add_f64 v[44:45], v[44:45], -v[64:65]
	v_fmac_f64_e32 v[30:31], v[32:33], v[124:125]
	global_store_dwordx4 v[60:61], v[42:45], off
	v_mul_f64 v[60:61], v[108:109], -v[6:7]
	v_mul_f64 v[62:63], v[4:5], v[108:109]
	v_mul_f64 v[42:43], v[72:73], -v[10:11]
	v_mul_f64 v[44:45], v[8:9], v[72:73]
	v_fmac_f64_e32 v[42:43], v[8:9], v[30:31]
	v_fmac_f64_e32 v[44:45], v[10:11], v[30:31]
	;; [unrolled: 1-line block ×5, first 2 shown]
	v_add_f64 v[42:43], v[42:43], -v[60:61]
	v_add_f64 v[44:45], v[44:45], -v[62:63]
	v_fmac_f64_e32 v[24:25], v[36:37], v[124:125]
	global_store_dwordx4 v[56:57], v[42:45], off
	v_mul_f64 v[56:57], v[40:41], -v[6:7]
	v_mul_f64 v[60:61], v[4:5], v[40:41]
	v_mul_f64 v[42:43], v[26:27], -v[10:11]
	v_mul_f64 v[44:45], v[8:9], v[26:27]
	s_waitcnt vmcnt(6)
	v_mul_f64 v[36:37], v[126:127], v[116:117]
	v_fmac_f64_e32 v[42:43], v[8:9], v[24:25]
	v_fmac_f64_e32 v[44:45], v[10:11], v[24:25]
	;; [unrolled: 1-line block ×4, first 2 shown]
	v_mul_f64 v[34:35], v[126:127], -v[118:119]
	v_fmac_f64_e32 v[36:37], v[118:119], v[124:125]
	v_add_f64 v[42:43], v[42:43], -v[56:57]
	v_add_f64 v[44:45], v[44:45], -v[60:61]
	v_fmac_f64_e32 v[34:35], v[116:117], v[124:125]
	global_store_dwordx4 v[58:59], v[42:45], off
	v_mul_f64 v[56:57], v[36:37], -v[6:7]
	v_mul_f64 v[58:59], v[4:5], v[36:37]
	v_mul_f64 v[42:43], v[22:23], -v[10:11]
	v_mul_f64 v[44:45], v[8:9], v[22:23]
	v_fmac_f64_e32 v[42:43], v[8:9], v[20:21]
	v_fmac_f64_e32 v[44:45], v[10:11], v[20:21]
	;; [unrolled: 1-line block ×4, first 2 shown]
	v_add_f64 v[42:43], v[42:43], -v[56:57]
	v_add_f64 v[44:45], v[44:45], -v[58:59]
	s_waitcnt vmcnt(6)
	v_mul_f64 v[32:33], v[126:127], v[120:121]
	global_store_dwordx4 v[54:55], v[42:45], off
	v_mul_f64 v[28:29], v[126:127], -v[122:123]
	v_fmac_f64_e32 v[32:33], v[122:123], v[124:125]
	v_mul_f64 v[42:43], v[18:19], -v[10:11]
	v_fmac_f64_e32 v[42:43], v[8:9], v[16:17]
	v_mul_f64 v[8:9], v[8:9], v[18:19]
	v_fmac_f64_e32 v[28:29], v[120:121], v[124:125]
	v_fmac_f64_e32 v[8:9], v[10:11], v[16:17]
	v_mul_f64 v[10:11], v[32:33], -v[6:7]
	v_mul_f64 v[44:45], v[4:5], v[32:33]
	v_fmac_f64_e32 v[10:11], v[4:5], v[28:29]
	v_fmac_f64_e32 v[44:45], v[6:7], v[28:29]
	v_add_f64 v[4:5], v[42:43], -v[10:11]
	v_add_f64 v[6:7], v[8:9], -v[44:45]
	global_store_dwordx4 v[52:53], v[4:7], off
	v_mul_f64 v[8:9], v[92:93], -v[14:15]
	v_mul_f64 v[10:11], v[12:13], v[92:93]
	v_mul_f64 v[4:5], v[2:3], v[130:131]
	v_mul_f64 v[6:7], v[130:131], -v[0:1]
	v_fma_f64 v[4:5], -v[0:1], v[128:129], v[4:5]
	v_fma_f64 v[6:7], -v[2:3], v[128:129], v[6:7]
	v_fmac_f64_e32 v[8:9], v[12:13], v[46:47]
	v_fmac_f64_e32 v[10:11], v[14:15], v[46:47]
	v_add_f64 v[4:5], v[4:5], v[8:9]
	v_add_f64 v[6:7], v[6:7], v[10:11]
	global_store_dwordx4 v[68:69], v[4:7], off
	v_mul_f64 v[8:9], v[96:97], -v[14:15]
	v_mul_f64 v[10:11], v[12:13], v[96:97]
	v_mul_f64 v[4:5], v[2:3], v[134:135]
	v_mul_f64 v[6:7], v[134:135], -v[0:1]
	v_fma_f64 v[4:5], -v[0:1], v[132:133], v[4:5]
	v_fma_f64 v[6:7], -v[2:3], v[132:133], v[6:7]
	v_fmac_f64_e32 v[8:9], v[12:13], v[94:95]
	v_fmac_f64_e32 v[10:11], v[14:15], v[94:95]
	v_add_f64 v[4:5], v[4:5], v[8:9]
	v_add_f64 v[6:7], v[6:7], v[10:11]
	;; [unrolled: 11-line block ×7, first 2 shown]
	global_store_dwordx4 v[86:87], v[4:7], off
                                        ; implicit-def: $vgpr8_vgpr9
                                        ; implicit-def: $vgpr46_vgpr47
                                        ; implicit-def: $vgpr44_vgpr45
                                        ; implicit-def: $vgpr20
                                        ; implicit-def: $vgpr24
                                        ; implicit-def: $vgpr36
                                        ; implicit-def: $vgpr40
                                        ; implicit-def: $vgpr52
	s_nop 1
	v_mul_f64 v[4:5], v[2:3], v[18:19]
	v_fma_f64 v[4:5], -v[0:1], v[16:17], v[4:5]
	v_mul_f64 v[0:1], v[18:19], -v[0:1]
	v_fma_f64 v[2:3], -v[2:3], v[16:17], v[0:1]
	v_mul_f64 v[0:1], v[32:33], -v[14:15]
	v_mul_f64 v[6:7], v[12:13], v[32:33]
	v_fmac_f64_e32 v[0:1], v[12:13], v[28:29]
	v_fmac_f64_e32 v[6:7], v[14:15], v[28:29]
	v_add_f64 v[0:1], v[4:5], v[0:1]
	v_add_f64 v[2:3], v[2:3], v[6:7]
	global_store_dwordx4 v[74:75], v[0:3], off
                                        ; implicit-def: $vgpr14_vgpr15
                                        ; implicit-def: $vgpr0_vgpr1
                                        ; implicit-def: $vgpr4_vgpr5
                                        ; implicit-def: $vgpr28
                                        ; implicit-def: $vgpr32
.LBB269_11:                             ;   in Loop: Header=BB269_5 Depth=1
	s_or_saveexec_b64 s[2:3], s[2:3]
	v_mov_b64_e32 v[6:7], 0
	v_mov_b32_e32 v18, s31
	v_mov_b64_e32 v[16:17], 0
	s_xor_b64 exec, exec, s[2:3]
	s_cbranch_execz .LBB269_4
; %bb.12:                               ;   in Loop: Header=BB269_5 Depth=1
	v_mov_b32_e32 v25, v51
	v_mov_b32_e32 v33, v51
	;; [unrolled: 1-line block ×4, first 2 shown]
	v_lshl_add_u64 v[82:83], v[50:51], 4, s[4:5]
	v_mov_b32_e32 v21, v51
	v_lshl_add_u64 v[86:87], v[24:25], 4, s[4:5]
	v_mov_b32_e32 v29, v51
	;; [unrolled: 2-line block ×3, first 2 shown]
	v_lshl_add_u64 v[96:97], v[40:41], 4, s[4:5]
	v_lshl_add_u64 v[98:99], v[52:53], 4, s[4:5]
	;; [unrolled: 1-line block ×3, first 2 shown]
	global_load_dwordx4 v[16:19], v[82:83], off
	global_load_dwordx4 v[54:57], v[84:85], off
	v_lshl_add_u64 v[88:89], v[28:29], 4, s[4:5]
	global_load_dwordx4 v[58:61], v[86:87], off
	global_load_dwordx4 v[62:65], v[88:89], off
	v_lshl_add_u64 v[94:95], v[36:37], 4, s[4:5]
	global_load_dwordx4 v[66:69], v[92:93], off
	global_load_dwordx4 v[70:73], v[94:95], off
	;; [unrolled: 1-line block ×4, first 2 shown]
	v_mul_f64 v[6:7], v[14:15], v[14:15]
	v_fmac_f64_e32 v[6:7], v[12:13], v[12:13]
	v_div_scale_f64 v[22:23], s[18:19], v[6:7], v[6:7], 1.0
	v_rcp_f64_e32 v[24:25], v[22:23]
	v_fma_f64 v[20:21], 0, v[14:15], v[12:13]
	v_fma_f64 v[12:13], v[12:13], 0, -v[14:15]
	v_div_scale_f64 v[14:15], vcc, 1.0, v[6:7], 1.0
	v_fma_f64 v[26:27], -v[22:23], v[24:25], 1.0
	v_fmac_f64_e32 v[24:25], v[24:25], v[26:27]
	v_fma_f64 v[26:27], -v[22:23], v[24:25], 1.0
	v_fmac_f64_e32 v[24:25], v[24:25], v[26:27]
	v_mul_f64 v[26:27], v[14:15], v[24:25]
	v_fma_f64 v[14:15], -v[22:23], v[26:27], v[14:15]
	v_div_fmas_f64 v[14:15], v[14:15], v[24:25], v[26:27]
	v_div_fixup_f64 v[14:15], v[14:15], v[6:7], 1.0
	v_mul_f64 v[52:53], v[12:13], v[14:15]
	v_mul_f64 v[6:7], v[20:21], v[14:15]
	s_waitcnt vmcnt(7)
	v_mul_f64 v[40:41], v[52:53], -v[18:19]
	v_mul_f64 v[42:43], v[52:53], v[16:17]
	v_fmac_f64_e32 v[40:41], v[16:17], v[6:7]
	v_fmac_f64_e32 v[42:43], v[18:19], v[6:7]
	s_waitcnt vmcnt(6)
	v_mul_f64 v[36:37], v[52:53], -v[56:57]
	v_mul_f64 v[38:39], v[52:53], v[54:55]
	s_waitcnt vmcnt(5)
	v_mul_f64 v[32:33], v[52:53], -v[60:61]
	v_mul_f64 v[34:35], v[52:53], v[58:59]
	;; [unrolled: 3-line block ×7, first 2 shown]
	v_fmac_f64_e32 v[36:37], v[54:55], v[6:7]
	v_fmac_f64_e32 v[38:39], v[56:57], v[6:7]
	;; [unrolled: 1-line block ×14, first 2 shown]
	global_store_dwordx4 v[82:83], v[40:43], off
	global_store_dwordx4 v[84:85], v[36:39], off
	;; [unrolled: 1-line block ×8, first 2 shown]
	s_and_saveexec_b64 s[18:19], s[0:1]
	s_cbranch_execz .LBB269_3
; %bb.13:                               ;   in Loop: Header=BB269_5 Depth=1
	v_add_u32_e32 v70, v90, v49
	v_add_u32_e32 v50, s23, v70
	v_lshl_add_u64 v[62:63], v[50:51], 4, s[4:5]
	global_load_dwordx4 v[54:57], v[62:63], off
	v_add_u32_e32 v50, s24, v70
	v_lshl_add_u64 v[64:65], v[50:51], 4, s[4:5]
	global_load_dwordx4 v[58:61], v[64:65], off
	v_add_u32_e32 v50, s25, v70
	v_lshl_add_u64 v[66:67], v[50:51], 4, s[4:5]
	v_add_u32_e32 v50, s26, v70
	s_waitcnt vmcnt(1)
	v_fma_f64 v[54:55], -v[0:1], v[40:41], v[54:55]
	v_fma_f64 v[40:41], -v[2:3], v[40:41], v[56:57]
	v_fmac_f64_e32 v[54:55], v[2:3], v[42:43]
	v_fma_f64 v[56:57], -v[0:1], v[42:43], v[40:41]
	global_store_dwordx4 v[62:63], v[54:57], off
	global_load_dwordx4 v[40:43], v[66:67], off
	v_lshl_add_u64 v[62:63], v[50:51], 4, s[4:5]
	s_waitcnt vmcnt(2)
	v_fma_f64 v[54:55], -v[0:1], v[36:37], v[58:59]
	v_fma_f64 v[36:37], -v[2:3], v[36:37], v[60:61]
	v_fmac_f64_e32 v[54:55], v[2:3], v[38:39]
	v_fma_f64 v[56:57], -v[0:1], v[38:39], v[36:37]
	global_store_dwordx4 v[64:65], v[54:57], off
	global_load_dwordx4 v[36:39], v[62:63], off
	v_add_u32_e32 v50, s27, v70
	v_lshl_add_u64 v[68:69], v[50:51], 4, s[4:5]
	v_add_u32_e32 v50, s28, v70
	s_waitcnt vmcnt(2)
	v_fma_f64 v[40:41], -v[0:1], v[32:33], v[40:41]
	v_fma_f64 v[32:33], -v[2:3], v[32:33], v[42:43]
	v_fmac_f64_e32 v[40:41], v[2:3], v[34:35]
	v_fma_f64 v[42:43], -v[0:1], v[34:35], v[32:33]
	global_store_dwordx4 v[66:67], v[40:43], off
	global_load_dwordx4 v[32:35], v[68:69], off
	s_waitcnt vmcnt(2)
	v_fma_f64 v[36:37], -v[0:1], v[28:29], v[36:37]
	v_fma_f64 v[28:29], -v[2:3], v[28:29], v[38:39]
	;; [unrolled: 1-line block ×3, first 2 shown]
	v_fmac_f64_e32 v[36:37], v[2:3], v[30:31]
	v_lshl_add_u64 v[40:41], v[50:51], 4, s[4:5]
	global_store_dwordx4 v[62:63], v[36:39], off
	v_add_u32_e32 v50, s29, v70
	s_waitcnt vmcnt(1)
	v_fma_f64 v[28:29], -v[0:1], v[24:25], v[32:33]
	v_fma_f64 v[24:25], -v[2:3], v[24:25], v[34:35]
	v_fmac_f64_e32 v[28:29], v[2:3], v[26:27]
	v_fma_f64 v[30:31], -v[0:1], v[26:27], v[24:25]
	global_store_dwordx4 v[68:69], v[28:31], off
	global_load_dwordx4 v[24:27], v[40:41], off
	s_waitcnt vmcnt(0)
	v_fma_f64 v[24:25], -v[0:1], v[20:21], v[24:25]
	v_fma_f64 v[20:21], -v[2:3], v[20:21], v[26:27]
	v_fmac_f64_e32 v[24:25], v[2:3], v[22:23]
	v_fma_f64 v[26:27], -v[0:1], v[22:23], v[20:21]
	v_lshl_add_u64 v[28:29], v[50:51], 4, s[4:5]
	global_store_dwordx4 v[40:41], v[24:27], off
	global_load_dwordx4 v[20:23], v[28:29], off
	v_add_u32_e32 v50, s30, v70
	v_lshl_add_u64 v[24:25], v[50:51], 4, s[4:5]
	s_waitcnt vmcnt(0)
	v_fma_f64 v[20:21], -v[0:1], v[16:17], v[20:21]
	v_fma_f64 v[16:17], -v[2:3], v[16:17], v[22:23]
	v_fmac_f64_e32 v[20:21], v[2:3], v[18:19]
	v_fma_f64 v[22:23], -v[0:1], v[18:19], v[16:17]
	global_store_dwordx4 v[28:29], v[20:23], off
	global_load_dwordx4 v[16:19], v[24:25], off
	s_waitcnt vmcnt(0)
	v_fma_f64 v[16:17], -v[0:1], v[12:13], v[16:17]
	v_fma_f64 v[12:13], -v[2:3], v[12:13], v[18:19]
	v_fmac_f64_e32 v[16:17], v[2:3], v[14:15]
	v_fma_f64 v[18:19], -v[0:1], v[14:15], v[12:13]
	global_store_dwordx4 v[24:25], v[16:19], off
	s_branch .LBB269_3
.LBB269_14:
	s_or_b64 exec, exec, s[16:17]
	s_branch .LBB269_16
.LBB269_15:
	v_mov_b32_e32 v49, 0
.LBB269_16:
	v_subrev_u32_e32 v2, s20, v49
	v_add_u32_e32 v0, v2, v48
	v_ashrrev_i32_e32 v1, 31, v0
	s_waitcnt lgkmcnt(0)
	v_lshl_add_u64 v[0:1], v[0:1], 2, s[12:13]
	buffer_wbl2 sc1
	s_waitcnt vmcnt(0)
	buffer_inv sc1
	global_load_dword v0, v[0:1], off
	s_waitcnt vmcnt(0)
	v_mul_lo_u32 v0, v0, s20
	v_sub_u32_e32 v36, v2, v0
	v_cmp_lt_i32_e32 vcc, -1, v36
	s_and_b64 exec, exec, vcc
	s_cbranch_execz .LBB269_23
; %bb.17:
	s_lshl_b32 s8, s22, 3
	s_add_i32 s9, s8, s21
	s_add_i32 s10, s9, s21
	;; [unrolled: 1-line block ×7, first 2 shown]
	s_and_b32 s18, s21, -2
	s_mov_b64 s[0:1], 0
	v_mov_b32_e32 v33, 0
	s_branch .LBB269_19
.LBB269_18:                             ;   in Loop: Header=BB269_19 Depth=1
	s_or_b64 exec, exec, s[2:3]
	v_sub_u32_e32 v36, v36, v4
	v_cmp_gt_i32_e32 vcc, 0, v36
	s_or_b64 s[0:1], vcc, s[0:1]
	s_andn2_b64 exec, exec, s[0:1]
	s_cbranch_execz .LBB269_23
.LBB269_19:                             ; =>This Inner Loop Header: Depth=1
	v_add_u32_e32 v34, v36, v48
	v_ashrrev_i32_e32 v35, 31, v34
	s_waitcnt vmcnt(0)
	v_lshl_add_u64 v[0:1], v[34:35], 2, s[12:13]
	global_load_dword v4, v[0:1], off
	v_lshl_add_u64 v[0:1], v[34:35], 4, s[6:7]
	global_load_dwordx4 v[0:3], v[0:1], off
	s_waitcnt vmcnt(1)
	v_cmp_ne_u32_e32 vcc, 1, v4
	s_and_saveexec_b64 s[2:3], vcc
	s_xor_b64 s[2:3], exec, s[2:3]
	s_cbranch_execz .LBB269_21
; %bb.20:                               ;   in Loop: Header=BB269_19 Depth=1
	v_add_u32_e32 v4, v90, v36
	v_add_u32_e32 v32, s8, v4
	v_lshl_add_u64 v[46:47], v[32:33], 4, s[4:5]
	v_add_u32_e32 v32, s9, v4
	v_lshl_add_u64 v[50:51], v[32:33], 4, s[4:5]
	;; [unrolled: 2-line block ×9, first 2 shown]
	global_load_dwordx4 v[38:41], v[64:65], off
	global_load_dwordx4 v[42:45], v[46:47], off
	;; [unrolled: 1-line block ×9, first 2 shown]
	v_add_u32_e32 v32, s9, v34
	v_lshl_add_u64 v[46:47], v[32:33], 4, s[4:5]
	v_add_u32_e32 v32, s10, v34
	v_lshl_add_u64 v[50:51], v[32:33], 4, s[4:5]
	v_add_u32_e32 v32, s11, v34
	s_waitcnt vmcnt(7)
	v_fma_f64 v[38:39], -v[0:1], v[42:43], v[38:39]
	v_fma_f64 v[40:41], -v[2:3], v[42:43], v[40:41]
	v_fmac_f64_e32 v[38:39], v[2:3], v[44:45]
	v_fma_f64 v[40:41], -v[0:1], v[44:45], v[40:41]
	global_store_dwordx4 v[64:65], v[38:41], off
	global_load_dwordx4 v[38:41], v[46:47], off
	s_waitcnt vmcnt(0)
	v_fma_f64 v[38:39], -v[0:1], v[28:29], v[38:39]
	v_fma_f64 v[40:41], -v[2:3], v[28:29], v[40:41]
	v_fmac_f64_e32 v[38:39], v[2:3], v[30:31]
	v_fma_f64 v[40:41], -v[0:1], v[30:31], v[40:41]
	global_store_dwordx4 v[46:47], v[38:41], off
	global_load_dwordx4 v[38:41], v[50:51], off
	v_lshl_add_u64 v[46:47], v[32:33], 4, s[4:5]
	v_add_u32_e32 v32, s14, v34
	s_waitcnt vmcnt(0)
	v_fma_f64 v[38:39], -v[0:1], v[24:25], v[38:39]
	v_fma_f64 v[40:41], -v[2:3], v[24:25], v[40:41]
	v_fmac_f64_e32 v[38:39], v[2:3], v[26:27]
	v_fma_f64 v[40:41], -v[0:1], v[26:27], v[40:41]
	global_store_dwordx4 v[50:51], v[38:41], off
	global_load_dwordx4 v[38:41], v[46:47], off
	v_lshl_add_u64 v[50:51], v[32:33], 4, s[4:5]
	v_add_u32_e32 v32, s15, v34
	;; [unrolled: 9-line block ×4, first 2 shown]
	v_lshl_add_u64 v[34:35], v[32:33], 4, s[4:5]
	v_subrev_u32_e32 v32, s20, v36
	s_waitcnt vmcnt(0)
	v_fma_f64 v[38:39], -v[0:1], v[12:13], v[38:39]
	v_fma_f64 v[40:41], -v[2:3], v[12:13], v[40:41]
	v_fmac_f64_e32 v[38:39], v[2:3], v[14:15]
	v_fma_f64 v[40:41], -v[0:1], v[14:15], v[40:41]
	global_store_dwordx4 v[46:47], v[38:41], off
	global_load_dwordx4 v[38:41], v[50:51], off
	v_add_u32_e32 v46, v32, v48
	v_ashrrev_i32_e32 v47, 31, v46
	v_add_u32_e32 v32, s8, v46
	v_lshl_add_u64 v[54:55], v[32:33], 4, s[4:5]
	v_add_u32_e32 v32, s9, v46
	s_waitcnt vmcnt(0)
	v_fma_f64 v[38:39], -v[0:1], v[8:9], v[38:39]
	v_fma_f64 v[40:41], -v[2:3], v[8:9], v[40:41]
	v_fmac_f64_e32 v[38:39], v[2:3], v[10:11]
	v_fma_f64 v[40:41], -v[0:1], v[10:11], v[40:41]
	global_store_dwordx4 v[50:51], v[38:41], off
	global_load_dwordx4 v[38:41], v[34:35], off
	v_lshl_add_u64 v[50:51], v[46:47], 4, s[6:7]
	global_load_dwordx4 v[50:53], v[50:51], off
	s_waitcnt vmcnt(1)
	v_fma_f64 v[38:39], -v[0:1], v[4:5], v[38:39]
	v_fma_f64 v[40:41], -v[2:3], v[4:5], v[40:41]
	v_fmac_f64_e32 v[38:39], v[2:3], v[6:7]
	v_fma_f64 v[40:41], -v[0:1], v[6:7], v[40:41]
	global_store_dwordx4 v[34:35], v[38:41], off
	global_load_dwordx4 v[0:3], v[54:55], off
	v_lshl_add_u64 v[34:35], v[32:33], 4, s[4:5]
	v_add_u32_e32 v32, s10, v46
	v_lshl_add_u64 v[38:39], v[32:33], 4, s[4:5]
	v_add_u32_e32 v32, s11, v46
	s_waitcnt vmcnt(0)
	v_fma_f64 v[0:1], -v[50:51], v[42:43], v[0:1]
	v_fma_f64 v[2:3], -v[52:53], v[42:43], v[2:3]
	v_fmac_f64_e32 v[0:1], v[52:53], v[44:45]
	v_fma_f64 v[2:3], -v[50:51], v[44:45], v[2:3]
	global_store_dwordx4 v[54:55], v[0:3], off
	global_load_dwordx4 v[0:3], v[34:35], off
	s_waitcnt vmcnt(0)
	v_fma_f64 v[0:1], -v[50:51], v[28:29], v[0:1]
	v_fma_f64 v[2:3], -v[52:53], v[28:29], v[2:3]
	v_fmac_f64_e32 v[0:1], v[52:53], v[30:31]
	v_fma_f64 v[2:3], -v[50:51], v[30:31], v[2:3]
	global_store_dwordx4 v[34:35], v[0:3], off
	global_load_dwordx4 v[0:3], v[38:39], off
	v_lshl_add_u64 v[28:29], v[32:33], 4, s[4:5]
	v_add_u32_e32 v32, s14, v46
                                        ; implicit-def: $vgpr34
	s_waitcnt vmcnt(0)
	v_fma_f64 v[0:1], -v[50:51], v[24:25], v[0:1]
	v_fma_f64 v[2:3], -v[52:53], v[24:25], v[2:3]
	v_fmac_f64_e32 v[0:1], v[52:53], v[26:27]
	v_fma_f64 v[2:3], -v[50:51], v[26:27], v[2:3]
	global_store_dwordx4 v[38:39], v[0:3], off
	global_load_dwordx4 v[0:3], v[28:29], off
	v_lshl_add_u64 v[24:25], v[32:33], 4, s[4:5]
	v_add_u32_e32 v32, s15, v46
	s_waitcnt vmcnt(0)
	v_fma_f64 v[0:1], -v[50:51], v[20:21], v[0:1]
	v_fma_f64 v[2:3], -v[52:53], v[20:21], v[2:3]
	v_fmac_f64_e32 v[0:1], v[52:53], v[22:23]
	v_fma_f64 v[2:3], -v[50:51], v[22:23], v[2:3]
	global_store_dwordx4 v[28:29], v[0:3], off
	global_load_dwordx4 v[0:3], v[24:25], off
	v_lshl_add_u64 v[20:21], v[32:33], 4, s[4:5]
	v_add_u32_e32 v32, s16, v46
	;; [unrolled: 9-line block ×3, first 2 shown]
	s_waitcnt vmcnt(0)
	v_fma_f64 v[0:1], -v[50:51], v[12:13], v[0:1]
	v_fma_f64 v[2:3], -v[52:53], v[12:13], v[2:3]
	v_fmac_f64_e32 v[0:1], v[52:53], v[14:15]
	v_fma_f64 v[2:3], -v[50:51], v[14:15], v[2:3]
	global_store_dwordx4 v[20:21], v[0:3], off
	global_load_dwordx4 v[0:3], v[16:17], off
	v_lshl_add_u64 v[12:13], v[32:33], 4, s[4:5]
	s_waitcnt vmcnt(0)
	v_fma_f64 v[0:1], -v[50:51], v[8:9], v[0:1]
	v_fma_f64 v[2:3], -v[52:53], v[8:9], v[2:3]
	v_fmac_f64_e32 v[0:1], v[52:53], v[10:11]
	v_fma_f64 v[2:3], -v[50:51], v[10:11], v[2:3]
	global_store_dwordx4 v[16:17], v[0:3], off
	global_load_dwordx4 v[0:3], v[12:13], off
	s_waitcnt vmcnt(0)
	v_fma_f64 v[0:1], -v[50:51], v[4:5], v[0:1]
	v_fma_f64 v[2:3], -v[52:53], v[4:5], v[2:3]
	v_fmac_f64_e32 v[0:1], v[52:53], v[6:7]
	v_fma_f64 v[2:3], -v[50:51], v[6:7], v[2:3]
	global_store_dwordx4 v[12:13], v[0:3], off
                                        ; implicit-def: $vgpr0_vgpr1
.LBB269_21:                             ;   in Loop: Header=BB269_19 Depth=1
	s_or_saveexec_b64 s[2:3], s[2:3]
	v_mov_b32_e32 v4, s18
	s_xor_b64 exec, exec, s[2:3]
	s_cbranch_execz .LBB269_18
; %bb.22:                               ;   in Loop: Header=BB269_19 Depth=1
	v_add_u32_e32 v18, v90, v36
	v_add_u32_e32 v32, s8, v18
	v_lshl_add_u64 v[12:13], v[32:33], 4, s[4:5]
	v_add_u32_e32 v32, s8, v34
	v_lshl_add_u64 v[14:15], v[32:33], 4, s[4:5]
	global_load_dwordx4 v[4:7], v[12:13], off
	global_load_dwordx4 v[8:11], v[14:15], off
	v_add_u32_e32 v32, s9, v18
	v_lshl_add_u64 v[12:13], v[32:33], 4, s[4:5]
	v_add_u32_e32 v32, s9, v34
	v_lshl_add_u64 v[16:17], v[32:33], 4, s[4:5]
	v_add_u32_e32 v32, s10, v18
	s_waitcnt vmcnt(0)
	v_fma_f64 v[8:9], -v[0:1], v[4:5], v[8:9]
	v_fma_f64 v[4:5], -v[2:3], v[4:5], v[10:11]
	v_fmac_f64_e32 v[8:9], v[2:3], v[6:7]
	v_fma_f64 v[10:11], -v[0:1], v[6:7], v[4:5]
	global_store_dwordx4 v[14:15], v[8:11], off
	global_load_dwordx4 v[4:7], v[12:13], off
	s_nop 0
	global_load_dwordx4 v[8:11], v[16:17], off
	v_lshl_add_u64 v[12:13], v[32:33], 4, s[4:5]
	v_add_u32_e32 v32, s10, v34
	v_lshl_add_u64 v[14:15], v[32:33], 4, s[4:5]
	v_add_u32_e32 v32, s11, v18
	s_waitcnt vmcnt(0)
	v_fma_f64 v[8:9], -v[0:1], v[4:5], v[8:9]
	v_fma_f64 v[4:5], -v[2:3], v[4:5], v[10:11]
	v_fmac_f64_e32 v[8:9], v[2:3], v[6:7]
	v_fma_f64 v[10:11], -v[0:1], v[6:7], v[4:5]
	global_store_dwordx4 v[16:17], v[8:11], off
	global_load_dwordx4 v[4:7], v[12:13], off
	s_nop 0
	global_load_dwordx4 v[8:11], v[14:15], off
	;; [unrolled: 13-line block ×6, first 2 shown]
	v_lshl_add_u64 v[12:13], v[32:33], 4, s[4:5]
	v_add_u32_e32 v32, s17, v34
	v_lshl_add_u64 v[16:17], v[32:33], 4, s[4:5]
	s_waitcnt vmcnt(0)
	v_fma_f64 v[8:9], -v[0:1], v[4:5], v[8:9]
	v_fma_f64 v[4:5], -v[2:3], v[4:5], v[10:11]
	v_fmac_f64_e32 v[8:9], v[2:3], v[6:7]
	v_fma_f64 v[10:11], -v[0:1], v[6:7], v[4:5]
	global_store_dwordx4 v[14:15], v[8:11], off
	global_load_dwordx4 v[4:7], v[12:13], off
	s_nop 0
	global_load_dwordx4 v[8:11], v[16:17], off
	s_waitcnt vmcnt(0)
	v_fma_f64 v[8:9], -v[0:1], v[4:5], v[8:9]
	v_fma_f64 v[4:5], -v[2:3], v[4:5], v[10:11]
	v_fmac_f64_e32 v[8:9], v[2:3], v[6:7]
	v_fma_f64 v[10:11], -v[0:1], v[6:7], v[4:5]
	v_mov_b32_e32 v4, s20
	global_store_dwordx4 v[16:17], v[8:11], off
	s_branch .LBB269_18
.LBB269_23:
	s_endpgm
	.section	.rodata,"a",@progbits
	.p2align	6, 0x0
	.amdhsa_kernel _ZN9rocsparseL19gtsv_LBM_rhs_kernelILj256ELj2ELj8E21rocsparse_complex_numIdEEEviiiPKT2_S5_S5_PS3_S5_PKi
		.amdhsa_group_segment_fixed_size 0
		.amdhsa_private_segment_fixed_size 0
		.amdhsa_kernarg_size 64
		.amdhsa_user_sgpr_count 2
		.amdhsa_user_sgpr_dispatch_ptr 0
		.amdhsa_user_sgpr_queue_ptr 0
		.amdhsa_user_sgpr_kernarg_segment_ptr 1
		.amdhsa_user_sgpr_dispatch_id 0
		.amdhsa_user_sgpr_kernarg_preload_length 0
		.amdhsa_user_sgpr_kernarg_preload_offset 0
		.amdhsa_user_sgpr_private_segment_size 0
		.amdhsa_uses_dynamic_stack 0
		.amdhsa_enable_private_segment 0
		.amdhsa_system_sgpr_workgroup_id_x 1
		.amdhsa_system_sgpr_workgroup_id_y 1
		.amdhsa_system_sgpr_workgroup_id_z 0
		.amdhsa_system_sgpr_workgroup_info 0
		.amdhsa_system_vgpr_workitem_id 0
		.amdhsa_next_free_vgpr 140
		.amdhsa_next_free_sgpr 32
		.amdhsa_accum_offset 140
		.amdhsa_reserve_vcc 1
		.amdhsa_float_round_mode_32 0
		.amdhsa_float_round_mode_16_64 0
		.amdhsa_float_denorm_mode_32 3
		.amdhsa_float_denorm_mode_16_64 3
		.amdhsa_dx10_clamp 1
		.amdhsa_ieee_mode 1
		.amdhsa_fp16_overflow 0
		.amdhsa_tg_split 0
		.amdhsa_exception_fp_ieee_invalid_op 0
		.amdhsa_exception_fp_denorm_src 0
		.amdhsa_exception_fp_ieee_div_zero 0
		.amdhsa_exception_fp_ieee_overflow 0
		.amdhsa_exception_fp_ieee_underflow 0
		.amdhsa_exception_fp_ieee_inexact 0
		.amdhsa_exception_int_div_zero 0
	.end_amdhsa_kernel
	.section	.text._ZN9rocsparseL19gtsv_LBM_rhs_kernelILj256ELj2ELj8E21rocsparse_complex_numIdEEEviiiPKT2_S5_S5_PS3_S5_PKi,"axG",@progbits,_ZN9rocsparseL19gtsv_LBM_rhs_kernelILj256ELj2ELj8E21rocsparse_complex_numIdEEEviiiPKT2_S5_S5_PS3_S5_PKi,comdat
.Lfunc_end269:
	.size	_ZN9rocsparseL19gtsv_LBM_rhs_kernelILj256ELj2ELj8E21rocsparse_complex_numIdEEEviiiPKT2_S5_S5_PS3_S5_PKi, .Lfunc_end269-_ZN9rocsparseL19gtsv_LBM_rhs_kernelILj256ELj2ELj8E21rocsparse_complex_numIdEEEviiiPKT2_S5_S5_PS3_S5_PKi
                                        ; -- End function
	.set _ZN9rocsparseL19gtsv_LBM_rhs_kernelILj256ELj2ELj8E21rocsparse_complex_numIdEEEviiiPKT2_S5_S5_PS3_S5_PKi.num_vgpr, 140
	.set _ZN9rocsparseL19gtsv_LBM_rhs_kernelILj256ELj2ELj8E21rocsparse_complex_numIdEEEviiiPKT2_S5_S5_PS3_S5_PKi.num_agpr, 0
	.set _ZN9rocsparseL19gtsv_LBM_rhs_kernelILj256ELj2ELj8E21rocsparse_complex_numIdEEEviiiPKT2_S5_S5_PS3_S5_PKi.numbered_sgpr, 32
	.set _ZN9rocsparseL19gtsv_LBM_rhs_kernelILj256ELj2ELj8E21rocsparse_complex_numIdEEEviiiPKT2_S5_S5_PS3_S5_PKi.num_named_barrier, 0
	.set _ZN9rocsparseL19gtsv_LBM_rhs_kernelILj256ELj2ELj8E21rocsparse_complex_numIdEEEviiiPKT2_S5_S5_PS3_S5_PKi.private_seg_size, 0
	.set _ZN9rocsparseL19gtsv_LBM_rhs_kernelILj256ELj2ELj8E21rocsparse_complex_numIdEEEviiiPKT2_S5_S5_PS3_S5_PKi.uses_vcc, 1
	.set _ZN9rocsparseL19gtsv_LBM_rhs_kernelILj256ELj2ELj8E21rocsparse_complex_numIdEEEviiiPKT2_S5_S5_PS3_S5_PKi.uses_flat_scratch, 0
	.set _ZN9rocsparseL19gtsv_LBM_rhs_kernelILj256ELj2ELj8E21rocsparse_complex_numIdEEEviiiPKT2_S5_S5_PS3_S5_PKi.has_dyn_sized_stack, 0
	.set _ZN9rocsparseL19gtsv_LBM_rhs_kernelILj256ELj2ELj8E21rocsparse_complex_numIdEEEviiiPKT2_S5_S5_PS3_S5_PKi.has_recursion, 0
	.set _ZN9rocsparseL19gtsv_LBM_rhs_kernelILj256ELj2ELj8E21rocsparse_complex_numIdEEEviiiPKT2_S5_S5_PS3_S5_PKi.has_indirect_call, 0
	.section	.AMDGPU.csdata,"",@progbits
; Kernel info:
; codeLenInByte = 5784
; TotalNumSgprs: 38
; NumVgprs: 140
; NumAgprs: 0
; TotalNumVgprs: 140
; ScratchSize: 0
; MemoryBound: 1
; FloatMode: 240
; IeeeMode: 1
; LDSByteSize: 0 bytes/workgroup (compile time only)
; SGPRBlocks: 4
; VGPRBlocks: 17
; NumSGPRsForWavesPerEU: 38
; NumVGPRsForWavesPerEU: 140
; AccumOffset: 140
; Occupancy: 3
; WaveLimiterHint : 0
; COMPUTE_PGM_RSRC2:SCRATCH_EN: 0
; COMPUTE_PGM_RSRC2:USER_SGPR: 2
; COMPUTE_PGM_RSRC2:TRAP_HANDLER: 0
; COMPUTE_PGM_RSRC2:TGID_X_EN: 1
; COMPUTE_PGM_RSRC2:TGID_Y_EN: 1
; COMPUTE_PGM_RSRC2:TGID_Z_EN: 0
; COMPUTE_PGM_RSRC2:TIDIG_COMP_CNT: 0
; COMPUTE_PGM_RSRC3_GFX90A:ACCUM_OFFSET: 34
; COMPUTE_PGM_RSRC3_GFX90A:TG_SPLIT: 0
	.section	.text._ZN9rocsparseL19gtsv_LBM_rhs_kernelILj256ELj2ELj4E21rocsparse_complex_numIdEEEviiiPKT2_S5_S5_PS3_S5_PKi,"axG",@progbits,_ZN9rocsparseL19gtsv_LBM_rhs_kernelILj256ELj2ELj4E21rocsparse_complex_numIdEEEviiiPKT2_S5_S5_PS3_S5_PKi,comdat
	.globl	_ZN9rocsparseL19gtsv_LBM_rhs_kernelILj256ELj2ELj4E21rocsparse_complex_numIdEEEviiiPKT2_S5_S5_PS3_S5_PKi ; -- Begin function _ZN9rocsparseL19gtsv_LBM_rhs_kernelILj256ELj2ELj4E21rocsparse_complex_numIdEEEviiiPKT2_S5_S5_PS3_S5_PKi
	.p2align	8
	.type	_ZN9rocsparseL19gtsv_LBM_rhs_kernelILj256ELj2ELj4E21rocsparse_complex_numIdEEEviiiPKT2_S5_S5_PS3_S5_PKi,@function
_ZN9rocsparseL19gtsv_LBM_rhs_kernelILj256ELj2ELj4E21rocsparse_complex_numIdEEEviiiPKT2_S5_S5_PS3_S5_PKi: ; @_ZN9rocsparseL19gtsv_LBM_rhs_kernelILj256ELj2ELj4E21rocsparse_complex_numIdEEEviiiPKT2_S5_S5_PS3_S5_PKi
; %bb.0:
	s_load_dword s21, s[0:1], 0x0
	v_lshl_or_b32 v28, s2, 8, v0
	s_waitcnt lgkmcnt(0)
	s_lshr_b32 s20, s21, 1
	v_cmp_gt_i32_e32 vcc, s20, v28
	s_and_saveexec_b64 s[4:5], vcc
	s_cbranch_execz .LBB270_23
; %bb.1:
	s_load_dwordx4 s[4:7], s[0:1], 0x28
	s_load_dwordx2 s[12:13], s[0:1], 0x38
	s_cmp_lt_i32 s21, 1
	v_add_u32_e32 v38, s20, v28
	s_mul_i32 s22, s3, s21
	s_cbranch_scc1 .LBB270_15
; %bb.2:
	s_load_dwordx4 s[8:11], s[0:1], 0x10
	s_load_dwordx2 s[14:15], s[0:1], 0x20
	v_ashrrev_i32_e32 v29, 31, v28
	s_lshl_b32 s23, s22, 2
	s_add_i32 s24, s23, s21
	s_waitcnt lgkmcnt(0)
	v_lshl_add_u64 v[0:1], v[28:29], 4, s[10:11]
	global_load_dwordx4 v[12:15], v[0:1], off
	s_add_i32 s25, s24, s21
	s_add_i32 s26, s25, s21
	s_and_b32 s27, s21, 0x7ffffffe
	v_mov_b32_e32 v31, 0
	s_mov_b64 s[16:17], 0
	v_mov_b32_e32 v29, 0
	s_branch .LBB270_5
.LBB270_3:                              ;   in Loop: Header=BB270_5 Depth=1
	s_or_b64 exec, exec, s[18:19]
	v_fmac_f64_e32 v[34:35], v[0:1], v[4:5]
	v_fmac_f64_e32 v[32:33], v[2:3], v[4:5]
	v_mul_f64 v[0:1], v[36:37], -v[32:33]
	v_mul_f64 v[2:3], v[36:37], v[34:35]
	v_fmac_f64_e32 v[0:1], v[34:35], v[6:7]
	v_fmac_f64_e32 v[2:3], v[32:33], v[6:7]
	v_add_f64 v[6:7], v[8:9], -v[0:1]
	v_add_f64 v[22:23], v[10:11], -v[2:3]
	v_mov_b32_e32 v17, s20
.LBB270_4:                              ;   in Loop: Header=BB270_5 Depth=1
	s_or_b64 exec, exec, s[2:3]
	v_add_u32_e32 v29, v17, v29
	v_cmp_le_i32_e32 vcc, s21, v29
	s_or_b64 s[16:17], vcc, s[16:17]
	v_mov_b64_e32 v[14:15], v[22:23]
	v_mov_b64_e32 v[12:13], v[6:7]
	s_andn2_b64 exec, exec, s[16:17]
	s_cbranch_execz .LBB270_14
.LBB270_5:                              ; =>This Inner Loop Header: Depth=1
	v_add_u32_e32 v16, v29, v28
	v_ashrrev_i32_e32 v17, 31, v16
	v_lshl_add_u64 v[0:1], v[16:17], 4, s[14:15]
	global_load_dwordx4 v[4:7], v[0:1], off
	v_cmp_gt_u32_e64 s[0:1], s20, v29
	v_mov_b64_e32 v[8:9], 0
	v_mov_b64_e32 v[0:1], 0
	;; [unrolled: 1-line block ×3, first 2 shown]
	s_and_saveexec_b64 s[2:3], s[0:1]
	s_cbranch_execz .LBB270_7
; %bb.6:                                ;   in Loop: Header=BB270_5 Depth=1
	v_add_u32_e32 v0, v38, v29
	v_ashrrev_i32_e32 v1, 31, v0
	v_lshl_add_u64 v[0:1], v[0:1], 4, s[8:9]
	global_load_dwordx4 v[0:3], v[0:1], off
.LBB270_7:                              ;   in Loop: Header=BB270_5 Depth=1
	s_or_b64 exec, exec, s[2:3]
	v_mov_b64_e32 v[10:11], 0
	s_and_saveexec_b64 s[2:3], s[0:1]
	s_cbranch_execz .LBB270_9
; %bb.8:                                ;   in Loop: Header=BB270_5 Depth=1
	v_add_u32_e32 v8, v38, v29
	v_ashrrev_i32_e32 v9, 31, v8
	v_lshl_add_u64 v[8:9], v[8:9], 4, s[10:11]
	global_load_dwordx4 v[8:11], v[8:9], off
.LBB270_9:                              ;   in Loop: Header=BB270_5 Depth=1
	s_or_b64 exec, exec, s[2:3]
	v_lshl_add_u64 v[18:19], v[16:17], 2, s[12:13]
	global_load_dword v17, v[18:19], off
	v_cmp_ne_u32_e32 vcc, s20, v29
	s_waitcnt vmcnt(1)
	v_mul_f64 v[34:35], v[6:7], -v[2:3]
	v_mul_f64 v[32:33], v[6:7], v[0:1]
	v_add_u32_e32 v30, s23, v16
	v_add_u32_e32 v20, s24, v16
	;; [unrolled: 1-line block ×4, first 2 shown]
	s_waitcnt vmcnt(0)
	v_cmp_ne_u32_e64 s[2:3], 1, v17
	s_and_b64 s[2:3], vcc, s[2:3]
	s_and_saveexec_b64 s[18:19], s[2:3]
	s_xor_b64 s[2:3], exec, s[18:19]
	s_cbranch_execz .LBB270_11
; %bb.10:                               ;   in Loop: Header=BB270_5 Depth=1
	v_mul_f64 v[26:27], v[12:13], v[10:11]
	v_mul_f64 v[24:25], v[10:11], -v[14:15]
	v_fmac_f64_e32 v[32:33], v[2:3], v[4:5]
	v_fmac_f64_e32 v[26:27], v[14:15], v[8:9]
	;; [unrolled: 1-line block ×4, first 2 shown]
	v_add_f64 v[26:27], v[26:27], -v[32:33]
	v_add_f64 v[24:25], v[24:25], -v[34:35]
	v_mul_f64 v[36:37], v[26:27], v[26:27]
	v_fmac_f64_e32 v[36:37], v[24:25], v[24:25]
	v_div_scale_f64 v[60:61], s[18:19], v[36:37], v[36:37], 1.0
	v_rcp_f64_e32 v[64:65], v[60:61]
	v_fma_f64 v[68:69], 0, v[26:27], v[24:25]
	v_fma_f64 v[26:27], v[24:25], 0, -v[26:27]
	v_add_u32_e32 v39, v38, v29
	v_fma_f64 v[24:25], -v[60:61], v[64:65], 1.0
	v_fmac_f64_e32 v[64:65], v[64:65], v[24:25]
	v_lshl_add_u64 v[22:23], v[30:31], 4, s[4:5]
	v_mov_b32_e32 v21, v31
	v_add_u32_e32 v30, s23, v39
	v_fma_f64 v[24:25], -v[60:61], v[64:65], 1.0
	v_lshl_add_u64 v[20:21], v[20:21], 4, s[4:5]
	global_load_dwordx4 v[40:43], v[22:23], off
	global_load_dwordx4 v[44:47], v[20:21], off
	v_mov_b32_e32 v19, v31
	v_fmac_f64_e32 v[64:65], v[64:65], v[24:25]
	v_lshl_add_u64 v[24:25], v[30:31], 4, s[4:5]
	v_add_u32_e32 v30, s24, v39
	v_lshl_add_u64 v[18:19], v[18:19], 4, s[4:5]
	v_mov_b32_e32 v17, v31
	v_div_scale_f64 v[62:63], vcc, 1.0, v[36:37], 1.0
	v_lshl_add_u64 v[70:71], v[30:31], 4, s[4:5]
	v_add_u32_e32 v30, s25, v39
	v_lshl_add_u64 v[16:17], v[16:17], 4, s[4:5]
	global_load_dwordx4 v[48:51], v[18:19], off
	global_load_dwordx4 v[52:55], v[16:17], off
	;; [unrolled: 1-line block ×4, first 2 shown]
	v_mul_f64 v[66:67], v[62:63], v[64:65]
	v_lshl_add_u64 v[74:75], v[30:31], 4, s[4:5]
	v_add_u32_e32 v30, s26, v39
	v_fma_f64 v[72:73], -v[60:61], v[66:67], v[62:63]
	global_load_dwordx4 v[60:63], v[74:75], off
	v_lshl_add_u64 v[76:77], v[30:31], 4, s[4:5]
	v_div_fmas_f64 v[72:73], v[72:73], v[64:65], v[66:67]
	global_load_dwordx4 v[64:67], v[76:77], off
	v_div_fixup_f64 v[36:37], v[72:73], v[36:37], 1.0
	v_mul_f64 v[26:27], v[26:27], v[36:37]
	v_mul_f64 v[68:69], v[68:69], v[36:37]
	s_waitcnt vmcnt(7)
	v_mul_f64 v[72:73], v[26:27], v[40:41]
	v_mul_f64 v[36:37], v[26:27], -v[42:43]
	v_fmac_f64_e32 v[72:73], v[42:43], v[68:69]
	s_waitcnt vmcnt(6)
	v_mul_f64 v[42:43], v[26:27], v[44:45]
	v_fmac_f64_e32 v[36:37], v[40:41], v[68:69]
	v_mul_f64 v[40:41], v[26:27], -v[46:47]
	v_fmac_f64_e32 v[42:43], v[46:47], v[68:69]
	v_fmac_f64_e32 v[40:41], v[44:45], v[68:69]
	s_waitcnt vmcnt(5)
	v_mul_f64 v[46:47], v[26:27], v[48:49]
	v_mul_f64 v[44:45], v[26:27], -v[50:51]
	v_fmac_f64_e32 v[46:47], v[50:51], v[68:69]
	s_waitcnt vmcnt(4)
	v_mul_f64 v[50:51], v[26:27], v[52:53]
	s_waitcnt vmcnt(2)
	v_mul_f64 v[78:79], v[26:27], -v[58:59]
	v_fmac_f64_e32 v[44:45], v[48:49], v[68:69]
	v_mul_f64 v[48:49], v[26:27], -v[54:55]
	v_fmac_f64_e32 v[50:51], v[54:55], v[68:69]
	v_mul_f64 v[54:55], v[26:27], v[32:33]
	v_mul_f64 v[80:81], v[26:27], v[56:57]
	v_fmac_f64_e32 v[78:79], v[56:57], v[68:69]
	s_waitcnt vmcnt(1)
	v_mul_f64 v[56:57], v[26:27], -v[62:63]
	v_fmac_f64_e32 v[48:49], v[52:53], v[68:69]
	v_mul_f64 v[52:53], v[26:27], -v[34:35]
	v_fmac_f64_e32 v[54:55], v[34:35], v[68:69]
	v_fmac_f64_e32 v[80:81], v[58:59], v[68:69]
	v_mul_f64 v[58:59], v[26:27], v[60:61]
	v_fmac_f64_e32 v[56:57], v[60:61], v[68:69]
	s_waitcnt vmcnt(0)
	v_mul_f64 v[60:61], v[26:27], -v[66:67]
	v_fmac_f64_e32 v[52:53], v[32:33], v[68:69]
	v_fmac_f64_e32 v[58:59], v[62:63], v[68:69]
	v_mul_f64 v[32:33], v[72:73], -v[10:11]
	v_mul_f64 v[26:27], v[26:27], v[64:65]
	v_fmac_f64_e32 v[60:61], v[64:65], v[68:69]
	v_mul_f64 v[34:35], v[8:9], v[72:73]
	v_mul_f64 v[62:63], v[54:55], -v[6:7]
	v_mul_f64 v[64:65], v[4:5], v[54:55]
	v_fmac_f64_e32 v[32:33], v[8:9], v[36:37]
	v_fmac_f64_e32 v[34:35], v[10:11], v[36:37]
	;; [unrolled: 1-line block ×4, first 2 shown]
	v_add_f64 v[32:33], v[32:33], -v[62:63]
	v_add_f64 v[34:35], v[34:35], -v[64:65]
	global_store_dwordx4 v[22:23], v[32:35], off
	v_mul_f64 v[22:23], v[42:43], -v[10:11]
	v_mul_f64 v[62:63], v[4:5], v[80:81]
	v_mul_f64 v[34:35], v[8:9], v[42:43]
	v_mul_f64 v[32:33], v[80:81], -v[6:7]
	v_fmac_f64_e32 v[22:23], v[8:9], v[40:41]
	v_fmac_f64_e32 v[34:35], v[10:11], v[40:41]
	;; [unrolled: 1-line block ×4, first 2 shown]
	v_add_f64 v[32:33], v[22:23], -v[32:33]
	v_add_f64 v[34:35], v[34:35], -v[62:63]
	global_store_dwordx4 v[20:21], v[32:35], off
	v_mul_f64 v[20:21], v[46:47], -v[10:11]
	v_mul_f64 v[22:23], v[8:9], v[46:47]
	v_mul_f64 v[32:33], v[58:59], -v[6:7]
	v_mul_f64 v[34:35], v[4:5], v[58:59]
	v_fmac_f64_e32 v[20:21], v[8:9], v[44:45]
	v_fmac_f64_e32 v[22:23], v[10:11], v[44:45]
	;; [unrolled: 1-line block ×4, first 2 shown]
	v_add_f64 v[20:21], v[20:21], -v[32:33]
	v_add_f64 v[22:23], v[22:23], -v[34:35]
	global_store_dwordx4 v[18:19], v[20:23], off
	v_mul_f64 v[18:19], v[50:51], -v[10:11]
	v_fmac_f64_e32 v[26:27], v[66:67], v[68:69]
	v_fmac_f64_e32 v[18:19], v[8:9], v[48:49]
	v_mul_f64 v[8:9], v[8:9], v[50:51]
	v_fmac_f64_e32 v[8:9], v[10:11], v[48:49]
	v_mul_f64 v[10:11], v[26:27], -v[6:7]
	v_mul_f64 v[20:21], v[4:5], v[26:27]
	v_fmac_f64_e32 v[10:11], v[4:5], v[60:61]
	v_fmac_f64_e32 v[20:21], v[6:7], v[60:61]
	v_add_f64 v[4:5], v[18:19], -v[10:11]
	v_add_f64 v[6:7], v[8:9], -v[20:21]
	global_store_dwordx4 v[16:17], v[4:7], off
	v_mul_f64 v[8:9], v[54:55], -v[14:15]
	v_mul_f64 v[10:11], v[12:13], v[54:55]
	v_mul_f64 v[4:5], v[2:3], v[72:73]
	v_mul_f64 v[6:7], v[72:73], -v[0:1]
	v_fma_f64 v[4:5], -v[0:1], v[36:37], v[4:5]
	v_fma_f64 v[6:7], -v[2:3], v[36:37], v[6:7]
	v_fmac_f64_e32 v[8:9], v[12:13], v[52:53]
	v_fmac_f64_e32 v[10:11], v[14:15], v[52:53]
	v_add_f64 v[4:5], v[4:5], v[8:9]
	v_add_f64 v[6:7], v[6:7], v[10:11]
	global_store_dwordx4 v[24:25], v[4:7], off
	v_mul_f64 v[8:9], v[80:81], -v[14:15]
	v_mul_f64 v[10:11], v[12:13], v[80:81]
	v_mul_f64 v[4:5], v[2:3], v[42:43]
	v_mul_f64 v[6:7], v[42:43], -v[0:1]
	v_fma_f64 v[4:5], -v[0:1], v[40:41], v[4:5]
	v_fma_f64 v[6:7], -v[2:3], v[40:41], v[6:7]
	v_fmac_f64_e32 v[8:9], v[12:13], v[78:79]
	v_fmac_f64_e32 v[10:11], v[14:15], v[78:79]
	v_add_f64 v[4:5], v[4:5], v[8:9]
	v_add_f64 v[6:7], v[6:7], v[10:11]
	;; [unrolled: 11-line block ×3, first 2 shown]
	global_store_dwordx4 v[74:75], v[4:7], off
                                        ; implicit-def: $vgpr8_vgpr9
                                        ; implicit-def: $vgpr34_vgpr35
                                        ; implicit-def: $vgpr32_vgpr33
                                        ; implicit-def: $vgpr20
                                        ; implicit-def: $vgpr18
                                        ; implicit-def: $vgpr16
	s_nop 1
	v_mul_f64 v[4:5], v[2:3], v[50:51]
	v_fma_f64 v[4:5], -v[0:1], v[48:49], v[4:5]
	v_mul_f64 v[0:1], v[50:51], -v[0:1]
	v_fma_f64 v[2:3], -v[2:3], v[48:49], v[0:1]
	v_mul_f64 v[0:1], v[26:27], -v[14:15]
	v_mul_f64 v[6:7], v[12:13], v[26:27]
	v_fmac_f64_e32 v[0:1], v[12:13], v[60:61]
	v_fmac_f64_e32 v[6:7], v[14:15], v[60:61]
	v_add_f64 v[0:1], v[4:5], v[0:1]
	v_add_f64 v[2:3], v[2:3], v[6:7]
	global_store_dwordx4 v[76:77], v[0:3], off
                                        ; implicit-def: $vgpr14_vgpr15
                                        ; implicit-def: $vgpr0_vgpr1
                                        ; implicit-def: $vgpr4_vgpr5
.LBB270_11:                             ;   in Loop: Header=BB270_5 Depth=1
	s_or_saveexec_b64 s[2:3], s[2:3]
	v_mov_b64_e32 v[6:7], 0
	v_mov_b32_e32 v17, s27
	v_mov_b64_e32 v[22:23], 0
	s_xor_b64 exec, exec, s[2:3]
	s_cbranch_execz .LBB270_4
; %bb.12:                               ;   in Loop: Header=BB270_5 Depth=1
	v_mov_b32_e32 v21, v31
	v_mov_b32_e32 v19, v31
	;; [unrolled: 1-line block ×3, first 2 shown]
	v_lshl_add_u64 v[56:57], v[30:31], 4, s[4:5]
	v_lshl_add_u64 v[58:59], v[20:21], 4, s[4:5]
	;; [unrolled: 1-line block ×4, first 2 shown]
	global_load_dwordx4 v[40:43], v[56:57], off
	global_load_dwordx4 v[44:47], v[58:59], off
	;; [unrolled: 1-line block ×4, first 2 shown]
	v_mul_f64 v[6:7], v[14:15], v[14:15]
	v_fmac_f64_e32 v[6:7], v[12:13], v[12:13]
	v_div_scale_f64 v[18:19], s[18:19], v[6:7], v[6:7], 1.0
	v_rcp_f64_e32 v[20:21], v[18:19]
	v_fma_f64 v[16:17], 0, v[14:15], v[12:13]
	v_fma_f64 v[12:13], v[12:13], 0, -v[14:15]
	v_div_scale_f64 v[14:15], vcc, 1.0, v[6:7], 1.0
	v_fma_f64 v[22:23], -v[18:19], v[20:21], 1.0
	v_fmac_f64_e32 v[20:21], v[20:21], v[22:23]
	v_fma_f64 v[22:23], -v[18:19], v[20:21], 1.0
	v_fmac_f64_e32 v[20:21], v[20:21], v[22:23]
	v_mul_f64 v[22:23], v[14:15], v[20:21]
	v_fma_f64 v[14:15], -v[18:19], v[22:23], v[14:15]
	v_div_fmas_f64 v[14:15], v[14:15], v[20:21], v[22:23]
	v_div_fixup_f64 v[14:15], v[14:15], v[6:7], 1.0
	v_mul_f64 v[36:37], v[12:13], v[14:15]
	v_mul_f64 v[6:7], v[16:17], v[14:15]
	s_waitcnt vmcnt(3)
	v_mul_f64 v[24:25], v[36:37], -v[42:43]
	v_mul_f64 v[26:27], v[36:37], v[40:41]
	s_waitcnt vmcnt(2)
	v_mul_f64 v[20:21], v[36:37], -v[46:47]
	;; [unrolled: 3-line block ×4, first 2 shown]
	v_mul_f64 v[14:15], v[36:37], v[52:53]
	v_fmac_f64_e32 v[24:25], v[40:41], v[6:7]
	v_fmac_f64_e32 v[26:27], v[42:43], v[6:7]
	;; [unrolled: 1-line block ×8, first 2 shown]
	global_store_dwordx4 v[56:57], v[24:27], off
	global_store_dwordx4 v[58:59], v[20:23], off
	;; [unrolled: 1-line block ×4, first 2 shown]
	s_and_saveexec_b64 s[18:19], s[0:1]
	s_cbranch_execz .LBB270_3
; %bb.13:                               ;   in Loop: Header=BB270_5 Depth=1
	v_add_u32_e32 v39, v38, v29
	v_add_u32_e32 v30, s23, v39
	v_lshl_add_u64 v[48:49], v[30:31], 4, s[4:5]
	v_add_u32_e32 v30, s24, v39
	global_load_dwordx4 v[40:43], v[48:49], off
	v_lshl_add_u64 v[50:51], v[30:31], 4, s[4:5]
	global_load_dwordx4 v[44:47], v[50:51], off
	v_add_u32_e32 v30, s25, v39
	v_lshl_add_u64 v[52:53], v[30:31], 4, s[4:5]
	v_add_u32_e32 v30, s26, v39
	v_lshl_add_u64 v[54:55], v[30:31], 4, s[4:5]
	s_waitcnt vmcnt(1)
	v_fma_f64 v[40:41], -v[0:1], v[24:25], v[40:41]
	v_fma_f64 v[24:25], -v[2:3], v[24:25], v[42:43]
	v_fmac_f64_e32 v[40:41], v[2:3], v[26:27]
	v_fma_f64 v[42:43], -v[0:1], v[26:27], v[24:25]
	s_waitcnt vmcnt(0)
	v_fma_f64 v[24:25], -v[0:1], v[20:21], v[44:45]
	v_fma_f64 v[20:21], -v[2:3], v[20:21], v[46:47]
	global_store_dwordx4 v[48:49], v[40:43], off
	v_fmac_f64_e32 v[24:25], v[2:3], v[22:23]
	v_fma_f64 v[26:27], -v[0:1], v[22:23], v[20:21]
	global_load_dwordx4 v[40:43], v[52:53], off
	s_nop 0
	global_store_dwordx4 v[50:51], v[24:27], off
	global_load_dwordx4 v[20:23], v[54:55], off
	s_waitcnt vmcnt(2)
	v_fma_f64 v[24:25], -v[0:1], v[16:17], v[40:41]
	v_fma_f64 v[16:17], -v[2:3], v[16:17], v[42:43]
	;; [unrolled: 1-line block ×3, first 2 shown]
	s_waitcnt vmcnt(0)
	v_fma_f64 v[16:17], -v[0:1], v[12:13], v[20:21]
	v_fma_f64 v[12:13], -v[2:3], v[12:13], v[22:23]
	v_fmac_f64_e32 v[24:25], v[2:3], v[18:19]
	v_fmac_f64_e32 v[16:17], v[2:3], v[14:15]
	v_fma_f64 v[18:19], -v[0:1], v[14:15], v[12:13]
	global_store_dwordx4 v[52:53], v[24:27], off
	global_store_dwordx4 v[54:55], v[16:19], off
	s_branch .LBB270_3
.LBB270_14:
	s_or_b64 exec, exec, s[16:17]
	s_branch .LBB270_16
.LBB270_15:
	v_mov_b32_e32 v29, 0
.LBB270_16:
	v_subrev_u32_e32 v2, s20, v29
	v_add_u32_e32 v0, v2, v28
	v_ashrrev_i32_e32 v1, 31, v0
	s_waitcnt lgkmcnt(0)
	v_lshl_add_u64 v[0:1], v[0:1], 2, s[12:13]
	buffer_wbl2 sc1
	s_waitcnt vmcnt(0)
	buffer_inv sc1
	global_load_dword v0, v[0:1], off
	s_waitcnt vmcnt(0)
	v_mul_lo_u32 v0, v0, s20
	v_sub_u32_e32 v8, v2, v0
	v_cmp_lt_i32_e32 vcc, -1, v8
	s_and_b64 exec, exec, vcc
	s_cbranch_execz .LBB270_23
; %bb.17:
	s_lshl_b32 s8, s22, 2
	s_add_i32 s9, s8, s21
	s_add_i32 s10, s9, s21
	;; [unrolled: 1-line block ×3, first 2 shown]
	s_and_b32 s14, s21, -2
	s_mov_b64 s[0:1], 0
	v_mov_b32_e32 v5, 0
	s_branch .LBB270_19
.LBB270_18:                             ;   in Loop: Header=BB270_19 Depth=1
	s_or_b64 exec, exec, s[2:3]
	v_sub_u32_e32 v8, v8, v4
	v_cmp_gt_i32_e32 vcc, 0, v8
	s_or_b64 s[0:1], vcc, s[0:1]
	s_andn2_b64 exec, exec, s[0:1]
	s_cbranch_execz .LBB270_23
.LBB270_19:                             ; =>This Inner Loop Header: Depth=1
	v_add_u32_e32 v6, v8, v28
	v_ashrrev_i32_e32 v7, 31, v6
	s_waitcnt vmcnt(0)
	v_lshl_add_u64 v[0:1], v[6:7], 2, s[12:13]
	global_load_dword v4, v[0:1], off
	v_lshl_add_u64 v[0:1], v[6:7], 4, s[6:7]
	global_load_dwordx4 v[0:3], v[0:1], off
	s_waitcnt vmcnt(1)
	v_cmp_ne_u32_e32 vcc, 1, v4
	s_and_saveexec_b64 s[2:3], vcc
	s_xor_b64 s[2:3], exec, s[2:3]
	s_cbranch_execz .LBB270_21
; %bb.20:                               ;   in Loop: Header=BB270_19 Depth=1
	v_add_u32_e32 v7, v38, v8
	v_add_u32_e32 v4, s8, v7
	v_lshl_add_u64 v[26:27], v[4:5], 4, s[4:5]
	v_add_u32_e32 v4, s9, v7
	v_lshl_add_u64 v[34:35], v[4:5], 4, s[4:5]
	;; [unrolled: 2-line block ×5, first 2 shown]
	global_load_dwordx4 v[10:13], v[42:43], off
	global_load_dwordx4 v[14:17], v[26:27], off
	;; [unrolled: 1-line block ×5, first 2 shown]
	v_add_u32_e32 v4, s9, v6
	v_lshl_add_u64 v[26:27], v[4:5], 4, s[4:5]
	v_add_u32_e32 v4, s10, v6
	v_lshl_add_u64 v[34:35], v[4:5], 4, s[4:5]
	;; [unrolled: 2-line block ×3, first 2 shown]
	v_subrev_u32_e32 v4, s20, v8
	s_waitcnt vmcnt(3)
	v_fma_f64 v[10:11], -v[0:1], v[14:15], v[10:11]
	v_fma_f64 v[12:13], -v[2:3], v[14:15], v[12:13]
	v_fmac_f64_e32 v[10:11], v[2:3], v[16:17]
	v_fma_f64 v[12:13], -v[0:1], v[16:17], v[12:13]
	global_store_dwordx4 v[42:43], v[10:13], off
	global_load_dwordx4 v[10:13], v[26:27], off
	s_waitcnt vmcnt(0)
	v_fma_f64 v[10:11], -v[0:1], v[18:19], v[10:11]
	v_fma_f64 v[12:13], -v[2:3], v[18:19], v[12:13]
	v_fmac_f64_e32 v[10:11], v[2:3], v[20:21]
	v_fma_f64 v[12:13], -v[0:1], v[20:21], v[12:13]
	global_store_dwordx4 v[26:27], v[10:13], off
	global_load_dwordx4 v[10:13], v[34:35], off
	v_add_u32_e32 v26, v4, v28
	v_ashrrev_i32_e32 v27, 31, v26
	v_add_u32_e32 v4, s8, v26
	v_lshl_add_u64 v[40:41], v[4:5], 4, s[4:5]
	v_add_u32_e32 v4, s9, v26
	s_waitcnt vmcnt(0)
	v_fma_f64 v[10:11], -v[0:1], v[22:23], v[10:11]
	v_fma_f64 v[12:13], -v[2:3], v[22:23], v[12:13]
	v_fmac_f64_e32 v[10:11], v[2:3], v[24:25]
	v_fma_f64 v[12:13], -v[0:1], v[24:25], v[12:13]
	global_store_dwordx4 v[34:35], v[10:13], off
	global_load_dwordx4 v[10:13], v[6:7], off
	v_lshl_add_u64 v[34:35], v[26:27], 4, s[6:7]
	global_load_dwordx4 v[34:37], v[34:35], off
	s_waitcnt vmcnt(1)
	v_fma_f64 v[10:11], -v[0:1], v[30:31], v[10:11]
	v_fma_f64 v[12:13], -v[2:3], v[30:31], v[12:13]
	v_fmac_f64_e32 v[10:11], v[2:3], v[32:33]
	v_fma_f64 v[12:13], -v[0:1], v[32:33], v[12:13]
	global_store_dwordx4 v[6:7], v[10:13], off
	global_load_dwordx4 v[0:3], v[40:41], off
	v_lshl_add_u64 v[6:7], v[4:5], 4, s[4:5]
	v_add_u32_e32 v4, s10, v26
	v_lshl_add_u64 v[10:11], v[4:5], 4, s[4:5]
	v_add_u32_e32 v4, s11, v26
	s_waitcnt vmcnt(0)
	v_fma_f64 v[0:1], -v[34:35], v[14:15], v[0:1]
	v_fma_f64 v[2:3], -v[36:37], v[14:15], v[2:3]
	v_fmac_f64_e32 v[0:1], v[36:37], v[16:17]
	v_fma_f64 v[2:3], -v[34:35], v[16:17], v[2:3]
	global_store_dwordx4 v[40:41], v[0:3], off
	global_load_dwordx4 v[0:3], v[6:7], off
	s_waitcnt vmcnt(0)
	v_fma_f64 v[0:1], -v[34:35], v[18:19], v[0:1]
	v_fma_f64 v[2:3], -v[36:37], v[18:19], v[2:3]
	v_fmac_f64_e32 v[0:1], v[36:37], v[20:21]
	v_fma_f64 v[2:3], -v[34:35], v[20:21], v[2:3]
	global_store_dwordx4 v[6:7], v[0:3], off
	global_load_dwordx4 v[0:3], v[10:11], off
	v_lshl_add_u64 v[6:7], v[4:5], 4, s[4:5]
	s_waitcnt vmcnt(0)
	v_fma_f64 v[0:1], -v[34:35], v[22:23], v[0:1]
	v_fma_f64 v[2:3], -v[36:37], v[22:23], v[2:3]
	v_fmac_f64_e32 v[0:1], v[36:37], v[24:25]
	v_fma_f64 v[2:3], -v[34:35], v[24:25], v[2:3]
	global_store_dwordx4 v[10:11], v[0:3], off
	global_load_dwordx4 v[0:3], v[6:7], off
	s_waitcnt vmcnt(0)
	v_fma_f64 v[0:1], -v[34:35], v[30:31], v[0:1]
	v_fma_f64 v[2:3], -v[36:37], v[30:31], v[2:3]
	v_fmac_f64_e32 v[0:1], v[36:37], v[32:33]
	v_fma_f64 v[2:3], -v[34:35], v[32:33], v[2:3]
	global_store_dwordx4 v[6:7], v[0:3], off
                                        ; implicit-def: $vgpr6
                                        ; implicit-def: $vgpr0_vgpr1
.LBB270_21:                             ;   in Loop: Header=BB270_19 Depth=1
	s_or_saveexec_b64 s[2:3], s[2:3]
	v_mov_b32_e32 v4, s14
	s_xor_b64 exec, exec, s[2:3]
	s_cbranch_execz .LBB270_18
; %bb.22:                               ;   in Loop: Header=BB270_19 Depth=1
	v_add_u32_e32 v7, v38, v8
	v_add_u32_e32 v4, s8, v7
	v_lshl_add_u64 v[18:19], v[4:5], 4, s[4:5]
	v_add_u32_e32 v4, s8, v6
	v_lshl_add_u64 v[20:21], v[4:5], 4, s[4:5]
	global_load_dwordx4 v[10:13], v[18:19], off
	global_load_dwordx4 v[14:17], v[20:21], off
	v_add_u32_e32 v4, s9, v7
	v_lshl_add_u64 v[18:19], v[4:5], 4, s[4:5]
	v_add_u32_e32 v4, s9, v6
	v_lshl_add_u64 v[22:23], v[4:5], 4, s[4:5]
	v_add_u32_e32 v4, s10, v7
	s_waitcnt vmcnt(0)
	v_fma_f64 v[14:15], -v[0:1], v[10:11], v[14:15]
	v_fma_f64 v[10:11], -v[2:3], v[10:11], v[16:17]
	v_fmac_f64_e32 v[14:15], v[2:3], v[12:13]
	v_fma_f64 v[16:17], -v[0:1], v[12:13], v[10:11]
	global_store_dwordx4 v[20:21], v[14:17], off
	global_load_dwordx4 v[10:13], v[18:19], off
	s_nop 0
	global_load_dwordx4 v[14:17], v[22:23], off
	v_lshl_add_u64 v[18:19], v[4:5], 4, s[4:5]
	v_add_u32_e32 v4, s10, v6
	v_lshl_add_u64 v[20:21], v[4:5], 4, s[4:5]
	v_add_u32_e32 v4, s11, v7
	s_waitcnt vmcnt(0)
	v_fma_f64 v[14:15], -v[0:1], v[10:11], v[14:15]
	v_fma_f64 v[10:11], -v[2:3], v[10:11], v[16:17]
	v_fmac_f64_e32 v[14:15], v[2:3], v[12:13]
	v_fma_f64 v[16:17], -v[0:1], v[12:13], v[10:11]
	global_store_dwordx4 v[22:23], v[14:17], off
	global_load_dwordx4 v[10:13], v[18:19], off
	s_nop 0
	global_load_dwordx4 v[14:17], v[20:21], off
	v_lshl_add_u64 v[18:19], v[4:5], 4, s[4:5]
	v_add_u32_e32 v4, s11, v6
	v_lshl_add_u64 v[6:7], v[4:5], 4, s[4:5]
	v_mov_b32_e32 v4, s20
	s_waitcnt vmcnt(0)
	v_fma_f64 v[14:15], -v[0:1], v[10:11], v[14:15]
	v_fma_f64 v[10:11], -v[2:3], v[10:11], v[16:17]
	v_fmac_f64_e32 v[14:15], v[2:3], v[12:13]
	v_fma_f64 v[16:17], -v[0:1], v[12:13], v[10:11]
	global_store_dwordx4 v[20:21], v[14:17], off
	global_load_dwordx4 v[10:13], v[18:19], off
	s_nop 0
	global_load_dwordx4 v[14:17], v[6:7], off
	s_waitcnt vmcnt(0)
	v_fma_f64 v[14:15], -v[0:1], v[10:11], v[14:15]
	v_fma_f64 v[10:11], -v[2:3], v[10:11], v[16:17]
	v_fmac_f64_e32 v[14:15], v[2:3], v[12:13]
	v_fma_f64 v[16:17], -v[0:1], v[12:13], v[10:11]
	global_store_dwordx4 v[6:7], v[14:17], off
	s_branch .LBB270_18
.LBB270_23:
	s_endpgm
	.section	.rodata,"a",@progbits
	.p2align	6, 0x0
	.amdhsa_kernel _ZN9rocsparseL19gtsv_LBM_rhs_kernelILj256ELj2ELj4E21rocsparse_complex_numIdEEEviiiPKT2_S5_S5_PS3_S5_PKi
		.amdhsa_group_segment_fixed_size 0
		.amdhsa_private_segment_fixed_size 0
		.amdhsa_kernarg_size 64
		.amdhsa_user_sgpr_count 2
		.amdhsa_user_sgpr_dispatch_ptr 0
		.amdhsa_user_sgpr_queue_ptr 0
		.amdhsa_user_sgpr_kernarg_segment_ptr 1
		.amdhsa_user_sgpr_dispatch_id 0
		.amdhsa_user_sgpr_kernarg_preload_length 0
		.amdhsa_user_sgpr_kernarg_preload_offset 0
		.amdhsa_user_sgpr_private_segment_size 0
		.amdhsa_uses_dynamic_stack 0
		.amdhsa_enable_private_segment 0
		.amdhsa_system_sgpr_workgroup_id_x 1
		.amdhsa_system_sgpr_workgroup_id_y 1
		.amdhsa_system_sgpr_workgroup_id_z 0
		.amdhsa_system_sgpr_workgroup_info 0
		.amdhsa_system_vgpr_workitem_id 0
		.amdhsa_next_free_vgpr 82
		.amdhsa_next_free_sgpr 28
		.amdhsa_accum_offset 84
		.amdhsa_reserve_vcc 1
		.amdhsa_float_round_mode_32 0
		.amdhsa_float_round_mode_16_64 0
		.amdhsa_float_denorm_mode_32 3
		.amdhsa_float_denorm_mode_16_64 3
		.amdhsa_dx10_clamp 1
		.amdhsa_ieee_mode 1
		.amdhsa_fp16_overflow 0
		.amdhsa_tg_split 0
		.amdhsa_exception_fp_ieee_invalid_op 0
		.amdhsa_exception_fp_denorm_src 0
		.amdhsa_exception_fp_ieee_div_zero 0
		.amdhsa_exception_fp_ieee_overflow 0
		.amdhsa_exception_fp_ieee_underflow 0
		.amdhsa_exception_fp_ieee_inexact 0
		.amdhsa_exception_int_div_zero 0
	.end_amdhsa_kernel
	.section	.text._ZN9rocsparseL19gtsv_LBM_rhs_kernelILj256ELj2ELj4E21rocsparse_complex_numIdEEEviiiPKT2_S5_S5_PS3_S5_PKi,"axG",@progbits,_ZN9rocsparseL19gtsv_LBM_rhs_kernelILj256ELj2ELj4E21rocsparse_complex_numIdEEEviiiPKT2_S5_S5_PS3_S5_PKi,comdat
.Lfunc_end270:
	.size	_ZN9rocsparseL19gtsv_LBM_rhs_kernelILj256ELj2ELj4E21rocsparse_complex_numIdEEEviiiPKT2_S5_S5_PS3_S5_PKi, .Lfunc_end270-_ZN9rocsparseL19gtsv_LBM_rhs_kernelILj256ELj2ELj4E21rocsparse_complex_numIdEEEviiiPKT2_S5_S5_PS3_S5_PKi
                                        ; -- End function
	.set _ZN9rocsparseL19gtsv_LBM_rhs_kernelILj256ELj2ELj4E21rocsparse_complex_numIdEEEviiiPKT2_S5_S5_PS3_S5_PKi.num_vgpr, 82
	.set _ZN9rocsparseL19gtsv_LBM_rhs_kernelILj256ELj2ELj4E21rocsparse_complex_numIdEEEviiiPKT2_S5_S5_PS3_S5_PKi.num_agpr, 0
	.set _ZN9rocsparseL19gtsv_LBM_rhs_kernelILj256ELj2ELj4E21rocsparse_complex_numIdEEEviiiPKT2_S5_S5_PS3_S5_PKi.numbered_sgpr, 28
	.set _ZN9rocsparseL19gtsv_LBM_rhs_kernelILj256ELj2ELj4E21rocsparse_complex_numIdEEEviiiPKT2_S5_S5_PS3_S5_PKi.num_named_barrier, 0
	.set _ZN9rocsparseL19gtsv_LBM_rhs_kernelILj256ELj2ELj4E21rocsparse_complex_numIdEEEviiiPKT2_S5_S5_PS3_S5_PKi.private_seg_size, 0
	.set _ZN9rocsparseL19gtsv_LBM_rhs_kernelILj256ELj2ELj4E21rocsparse_complex_numIdEEEviiiPKT2_S5_S5_PS3_S5_PKi.uses_vcc, 1
	.set _ZN9rocsparseL19gtsv_LBM_rhs_kernelILj256ELj2ELj4E21rocsparse_complex_numIdEEEviiiPKT2_S5_S5_PS3_S5_PKi.uses_flat_scratch, 0
	.set _ZN9rocsparseL19gtsv_LBM_rhs_kernelILj256ELj2ELj4E21rocsparse_complex_numIdEEEviiiPKT2_S5_S5_PS3_S5_PKi.has_dyn_sized_stack, 0
	.set _ZN9rocsparseL19gtsv_LBM_rhs_kernelILj256ELj2ELj4E21rocsparse_complex_numIdEEEviiiPKT2_S5_S5_PS3_S5_PKi.has_recursion, 0
	.set _ZN9rocsparseL19gtsv_LBM_rhs_kernelILj256ELj2ELj4E21rocsparse_complex_numIdEEEviiiPKT2_S5_S5_PS3_S5_PKi.has_indirect_call, 0
	.section	.AMDGPU.csdata,"",@progbits
; Kernel info:
; codeLenInByte = 3392
; TotalNumSgprs: 34
; NumVgprs: 82
; NumAgprs: 0
; TotalNumVgprs: 82
; ScratchSize: 0
; MemoryBound: 1
; FloatMode: 240
; IeeeMode: 1
; LDSByteSize: 0 bytes/workgroup (compile time only)
; SGPRBlocks: 4
; VGPRBlocks: 10
; NumSGPRsForWavesPerEU: 34
; NumVGPRsForWavesPerEU: 82
; AccumOffset: 84
; Occupancy: 5
; WaveLimiterHint : 0
; COMPUTE_PGM_RSRC2:SCRATCH_EN: 0
; COMPUTE_PGM_RSRC2:USER_SGPR: 2
; COMPUTE_PGM_RSRC2:TRAP_HANDLER: 0
; COMPUTE_PGM_RSRC2:TGID_X_EN: 1
; COMPUTE_PGM_RSRC2:TGID_Y_EN: 1
; COMPUTE_PGM_RSRC2:TGID_Z_EN: 0
; COMPUTE_PGM_RSRC2:TIDIG_COMP_CNT: 0
; COMPUTE_PGM_RSRC3_GFX90A:ACCUM_OFFSET: 20
; COMPUTE_PGM_RSRC3_GFX90A:TG_SPLIT: 0
	.section	.text._ZN9rocsparseL19gtsv_LBM_rhs_kernelILj256ELj2ELj2E21rocsparse_complex_numIdEEEviiiPKT2_S5_S5_PS3_S5_PKi,"axG",@progbits,_ZN9rocsparseL19gtsv_LBM_rhs_kernelILj256ELj2ELj2E21rocsparse_complex_numIdEEEviiiPKT2_S5_S5_PS3_S5_PKi,comdat
	.globl	_ZN9rocsparseL19gtsv_LBM_rhs_kernelILj256ELj2ELj2E21rocsparse_complex_numIdEEEviiiPKT2_S5_S5_PS3_S5_PKi ; -- Begin function _ZN9rocsparseL19gtsv_LBM_rhs_kernelILj256ELj2ELj2E21rocsparse_complex_numIdEEEviiiPKT2_S5_S5_PS3_S5_PKi
	.p2align	8
	.type	_ZN9rocsparseL19gtsv_LBM_rhs_kernelILj256ELj2ELj2E21rocsparse_complex_numIdEEEviiiPKT2_S5_S5_PS3_S5_PKi,@function
_ZN9rocsparseL19gtsv_LBM_rhs_kernelILj256ELj2ELj2E21rocsparse_complex_numIdEEEviiiPKT2_S5_S5_PS3_S5_PKi: ; @_ZN9rocsparseL19gtsv_LBM_rhs_kernelILj256ELj2ELj2E21rocsparse_complex_numIdEEEviiiPKT2_S5_S5_PS3_S5_PKi
; %bb.0:
	s_load_dword s21, s[0:1], 0x0
	v_lshl_or_b32 v20, s2, 8, v0
	s_waitcnt lgkmcnt(0)
	s_lshr_b32 s20, s21, 1
	v_cmp_gt_i32_e32 vcc, s20, v20
	s_and_saveexec_b64 s[4:5], vcc
	s_cbranch_execz .LBB271_23
; %bb.1:
	s_load_dwordx4 s[4:7], s[0:1], 0x28
	s_load_dwordx2 s[12:13], s[0:1], 0x38
	s_cmp_lt_i32 s21, 1
	v_add_u32_e32 v30, s20, v20
	s_mul_i32 s22, s3, s21
	s_cbranch_scc1 .LBB271_15
; %bb.2:
	s_load_dwordx4 s[8:11], s[0:1], 0x10
	s_load_dwordx2 s[14:15], s[0:1], 0x20
	v_ashrrev_i32_e32 v21, 31, v20
	s_lshl_b32 s23, s22, 1
	s_add_i32 s24, s23, s21
	s_waitcnt lgkmcnt(0)
	v_lshl_add_u64 v[0:1], v[20:21], 4, s[10:11]
	global_load_dwordx4 v[12:15], v[0:1], off
	s_and_b32 s25, s21, 0x7ffffffe
	v_mov_b32_e32 v23, 0
	s_mov_b64 s[16:17], 0
	v_mov_b32_e32 v21, 0
	s_branch .LBB271_5
.LBB271_3:                              ;   in Loop: Header=BB271_5 Depth=1
	s_or_b64 exec, exec, s[18:19]
	v_fmac_f64_e32 v[26:27], v[0:1], v[4:5]
	v_fmac_f64_e32 v[24:25], v[2:3], v[4:5]
	v_mul_f64 v[0:1], v[28:29], -v[24:25]
	v_mul_f64 v[2:3], v[28:29], v[26:27]
	v_fmac_f64_e32 v[0:1], v[26:27], v[6:7]
	v_fmac_f64_e32 v[2:3], v[24:25], v[6:7]
	v_add_f64 v[6:7], v[8:9], -v[0:1]
	v_add_f64 v[18:19], v[10:11], -v[2:3]
	v_mov_b32_e32 v17, s20
.LBB271_4:                              ;   in Loop: Header=BB271_5 Depth=1
	s_or_b64 exec, exec, s[2:3]
	v_add_u32_e32 v21, v17, v21
	v_cmp_le_i32_e32 vcc, s21, v21
	s_or_b64 s[16:17], vcc, s[16:17]
	v_mov_b64_e32 v[14:15], v[18:19]
	v_mov_b64_e32 v[12:13], v[6:7]
	s_andn2_b64 exec, exec, s[16:17]
	s_cbranch_execz .LBB271_14
.LBB271_5:                              ; =>This Inner Loop Header: Depth=1
	v_add_u32_e32 v16, v21, v20
	v_ashrrev_i32_e32 v17, 31, v16
	v_lshl_add_u64 v[0:1], v[16:17], 4, s[14:15]
	global_load_dwordx4 v[4:7], v[0:1], off
	v_cmp_gt_u32_e64 s[0:1], s20, v21
	v_mov_b64_e32 v[8:9], 0
	v_mov_b64_e32 v[0:1], 0
	;; [unrolled: 1-line block ×3, first 2 shown]
	s_and_saveexec_b64 s[2:3], s[0:1]
	s_cbranch_execz .LBB271_7
; %bb.6:                                ;   in Loop: Header=BB271_5 Depth=1
	v_add_u32_e32 v0, v30, v21
	v_ashrrev_i32_e32 v1, 31, v0
	v_lshl_add_u64 v[0:1], v[0:1], 4, s[8:9]
	global_load_dwordx4 v[0:3], v[0:1], off
.LBB271_7:                              ;   in Loop: Header=BB271_5 Depth=1
	s_or_b64 exec, exec, s[2:3]
	v_mov_b64_e32 v[10:11], 0
	s_and_saveexec_b64 s[2:3], s[0:1]
	s_cbranch_execz .LBB271_9
; %bb.8:                                ;   in Loop: Header=BB271_5 Depth=1
	v_add_u32_e32 v8, v30, v21
	v_ashrrev_i32_e32 v9, 31, v8
	v_lshl_add_u64 v[8:9], v[8:9], 4, s[10:11]
	global_load_dwordx4 v[8:11], v[8:9], off
.LBB271_9:                              ;   in Loop: Header=BB271_5 Depth=1
	s_or_b64 exec, exec, s[2:3]
	v_lshl_add_u64 v[18:19], v[16:17], 2, s[12:13]
	global_load_dword v17, v[18:19], off
	v_cmp_ne_u32_e32 vcc, s20, v21
	s_waitcnt vmcnt(1)
	v_mul_f64 v[26:27], v[6:7], -v[2:3]
	v_mul_f64 v[24:25], v[6:7], v[0:1]
	v_add_u32_e32 v22, s23, v16
	v_add_u32_e32 v16, s24, v16
	s_waitcnt vmcnt(0)
	v_cmp_ne_u32_e64 s[2:3], 1, v17
	s_and_b64 s[2:3], vcc, s[2:3]
	s_and_saveexec_b64 s[18:19], s[2:3]
	s_xor_b64 s[2:3], exec, s[18:19]
	s_cbranch_execz .LBB271_11
; %bb.10:                               ;   in Loop: Header=BB271_5 Depth=1
	v_lshl_add_u64 v[28:29], v[22:23], 4, s[4:5]
	v_mov_b32_e32 v17, v23
	v_add_u32_e32 v31, v30, v21
	global_load_dwordx4 v[32:35], v[28:29], off
	v_lshl_add_u64 v[44:45], v[16:17], 4, s[4:5]
	v_add_u32_e32 v22, s23, v31
	global_load_dwordx4 v[16:19], v[44:45], off
	v_lshl_add_u64 v[46:47], v[22:23], 4, s[4:5]
	;; [unrolled: 3-line block ×3, first 2 shown]
	global_load_dwordx4 v[40:43], v[48:49], off
	v_mul_f64 v[52:53], v[12:13], v[10:11]
	v_mul_f64 v[50:51], v[10:11], -v[14:15]
	v_fmac_f64_e32 v[24:25], v[2:3], v[4:5]
	v_fmac_f64_e32 v[52:53], v[14:15], v[8:9]
	;; [unrolled: 1-line block ×4, first 2 shown]
	v_add_f64 v[24:25], v[52:53], -v[24:25]
	v_add_f64 v[26:27], v[50:51], -v[26:27]
	v_mul_f64 v[50:51], v[24:25], v[24:25]
	v_fmac_f64_e32 v[50:51], v[26:27], v[26:27]
	v_div_scale_f64 v[54:55], s[18:19], v[50:51], v[50:51], 1.0
	v_rcp_f64_e32 v[56:57], v[54:55]
	v_fma_f64 v[52:53], 0, v[24:25], v[26:27]
	v_fma_f64 v[24:25], v[26:27], 0, -v[24:25]
	v_div_scale_f64 v[26:27], vcc, 1.0, v[50:51], 1.0
	v_fma_f64 v[58:59], -v[54:55], v[56:57], 1.0
	v_fmac_f64_e32 v[56:57], v[56:57], v[58:59]
	v_fma_f64 v[58:59], -v[54:55], v[56:57], 1.0
	v_fmac_f64_e32 v[56:57], v[56:57], v[58:59]
	v_mul_f64 v[58:59], v[26:27], v[56:57]
	v_fma_f64 v[26:27], -v[54:55], v[58:59], v[26:27]
	v_div_fmas_f64 v[26:27], v[26:27], v[56:57], v[58:59]
	v_div_fixup_f64 v[26:27], v[26:27], v[50:51], 1.0
	v_mul_f64 v[24:25], v[24:25], v[26:27]
	v_mul_f64 v[50:51], v[52:53], v[26:27]
	s_waitcnt vmcnt(3)
	v_mul_f64 v[26:27], v[24:25], -v[34:35]
	v_mul_f64 v[52:53], v[24:25], v[32:33]
	v_fmac_f64_e32 v[26:27], v[32:33], v[50:51]
	v_fmac_f64_e32 v[52:53], v[34:35], v[50:51]
	s_waitcnt vmcnt(2)
	v_mul_f64 v[32:33], v[24:25], -v[18:19]
	v_mul_f64 v[34:35], v[24:25], v[16:17]
	v_fmac_f64_e32 v[32:33], v[16:17], v[50:51]
	v_fmac_f64_e32 v[34:35], v[18:19], v[50:51]
	s_waitcnt vmcnt(1)
	v_mul_f64 v[16:17], v[24:25], -v[38:39]
	v_mul_f64 v[18:19], v[24:25], v[36:37]
	v_fmac_f64_e32 v[16:17], v[36:37], v[50:51]
	v_fmac_f64_e32 v[18:19], v[38:39], v[50:51]
	s_waitcnt vmcnt(0)
	v_mul_f64 v[36:37], v[24:25], -v[42:43]
	v_mul_f64 v[24:25], v[24:25], v[40:41]
	v_mul_f64 v[54:55], v[52:53], -v[10:11]
	v_mul_f64 v[56:57], v[8:9], v[52:53]
	v_fmac_f64_e32 v[36:37], v[40:41], v[50:51]
	v_fmac_f64_e32 v[24:25], v[42:43], v[50:51]
	v_mul_f64 v[40:41], v[18:19], -v[6:7]
	v_mul_f64 v[42:43], v[4:5], v[18:19]
	v_mul_f64 v[58:59], v[2:3], v[52:53]
	v_fmac_f64_e32 v[54:55], v[8:9], v[26:27]
	v_fmac_f64_e32 v[56:57], v[10:11], v[26:27]
	v_mul_f64 v[38:39], v[34:35], -v[10:11]
	v_mul_f64 v[60:61], v[8:9], v[34:35]
	v_mul_f64 v[50:51], v[18:19], -v[14:15]
	v_fmac_f64_e32 v[40:41], v[4:5], v[16:17]
	v_fmac_f64_e32 v[42:43], v[6:7], v[16:17]
	v_mul_f64 v[62:63], v[24:25], -v[6:7]
	v_mul_f64 v[64:65], v[4:5], v[24:25]
	v_mul_f64 v[52:53], v[52:53], -v[0:1]
	v_fma_f64 v[58:59], -v[0:1], v[26:27], v[58:59]
	v_fmac_f64_e32 v[38:39], v[8:9], v[32:33]
	v_fmac_f64_e32 v[60:61], v[10:11], v[32:33]
	v_mul_f64 v[18:19], v[12:13], v[18:19]
	v_fmac_f64_e32 v[50:51], v[12:13], v[16:17]
	v_add_f64 v[8:9], v[54:55], -v[40:41]
	v_add_f64 v[10:11], v[56:57], -v[42:43]
	v_fmac_f64_e32 v[62:63], v[4:5], v[36:37]
	v_fmac_f64_e32 v[64:65], v[6:7], v[36:37]
	v_fma_f64 v[26:27], -v[2:3], v[26:27], v[52:53]
	v_mul_f64 v[52:53], v[2:3], v[34:35]
	v_fmac_f64_e32 v[18:19], v[14:15], v[16:17]
	v_add_f64 v[4:5], v[58:59], v[50:51]
	global_store_dwordx4 v[28:29], v[8:11], off
	v_add_f64 v[6:7], v[26:27], v[18:19]
                                        ; implicit-def: $vgpr26_vgpr27
                                        ; implicit-def: $vgpr16
	s_nop 0
	v_add_f64 v[8:9], v[38:39], -v[62:63]
	v_add_f64 v[10:11], v[60:61], -v[64:65]
	global_store_dwordx4 v[44:45], v[8:11], off
	global_store_dwordx4 v[46:47], v[4:7], off
                                        ; implicit-def: $vgpr8_vgpr9
	s_nop 1
	v_fma_f64 v[4:5], -v[0:1], v[32:33], v[52:53]
	v_mul_f64 v[0:1], v[34:35], -v[0:1]
	v_fma_f64 v[2:3], -v[2:3], v[32:33], v[0:1]
	v_mul_f64 v[0:1], v[24:25], -v[14:15]
	v_mul_f64 v[6:7], v[12:13], v[24:25]
	v_fmac_f64_e32 v[0:1], v[12:13], v[36:37]
	v_fmac_f64_e32 v[6:7], v[14:15], v[36:37]
	v_add_f64 v[0:1], v[4:5], v[0:1]
	v_add_f64 v[2:3], v[2:3], v[6:7]
	global_store_dwordx4 v[48:49], v[0:3], off
                                        ; implicit-def: $vgpr14_vgpr15
                                        ; implicit-def: $vgpr0_vgpr1
                                        ; implicit-def: $vgpr4_vgpr5
                                        ; implicit-def: $vgpr24_vgpr25
.LBB271_11:                             ;   in Loop: Header=BB271_5 Depth=1
	s_or_saveexec_b64 s[2:3], s[2:3]
	v_mov_b64_e32 v[6:7], 0
	v_mov_b32_e32 v17, s25
	v_mov_b64_e32 v[18:19], 0
	s_xor_b64 exec, exec, s[2:3]
	s_cbranch_execz .LBB271_4
; %bb.12:                               ;   in Loop: Header=BB271_5 Depth=1
	v_mov_b32_e32 v17, v23
	v_lshl_add_u64 v[40:41], v[22:23], 4, s[4:5]
	v_lshl_add_u64 v[42:43], v[16:17], 4, s[4:5]
	global_load_dwordx4 v[32:35], v[40:41], off
	global_load_dwordx4 v[36:39], v[42:43], off
	v_mul_f64 v[6:7], v[14:15], v[14:15]
	v_fmac_f64_e32 v[6:7], v[12:13], v[12:13]
	v_div_scale_f64 v[18:19], s[18:19], v[6:7], v[6:7], 1.0
	v_rcp_f64_e32 v[28:29], v[18:19]
	v_fma_f64 v[16:17], 0, v[14:15], v[12:13]
	v_fma_f64 v[12:13], v[12:13], 0, -v[14:15]
	v_div_scale_f64 v[14:15], vcc, 1.0, v[6:7], 1.0
	v_fma_f64 v[44:45], -v[18:19], v[28:29], 1.0
	v_fmac_f64_e32 v[28:29], v[28:29], v[44:45]
	v_fma_f64 v[44:45], -v[18:19], v[28:29], 1.0
	v_fmac_f64_e32 v[28:29], v[28:29], v[44:45]
	v_mul_f64 v[44:45], v[14:15], v[28:29]
	v_fma_f64 v[14:15], -v[18:19], v[44:45], v[14:15]
	v_div_fmas_f64 v[14:15], v[14:15], v[28:29], v[44:45]
	v_div_fixup_f64 v[14:15], v[14:15], v[6:7], 1.0
	v_mul_f64 v[28:29], v[12:13], v[14:15]
	v_mul_f64 v[6:7], v[16:17], v[14:15]
	s_waitcnt vmcnt(1)
	v_mul_f64 v[16:17], v[28:29], -v[34:35]
	v_mul_f64 v[18:19], v[28:29], v[32:33]
	s_waitcnt vmcnt(0)
	v_mul_f64 v[12:13], v[28:29], -v[38:39]
	v_mul_f64 v[14:15], v[28:29], v[36:37]
	v_fmac_f64_e32 v[16:17], v[32:33], v[6:7]
	v_fmac_f64_e32 v[18:19], v[34:35], v[6:7]
	;; [unrolled: 1-line block ×4, first 2 shown]
	global_store_dwordx4 v[40:41], v[16:19], off
	global_store_dwordx4 v[42:43], v[12:15], off
	s_and_saveexec_b64 s[18:19], s[0:1]
	s_cbranch_execz .LBB271_3
; %bb.13:                               ;   in Loop: Header=BB271_5 Depth=1
	v_add_u32_e32 v31, v30, v21
	v_add_u32_e32 v22, s23, v31
	v_lshl_add_u64 v[40:41], v[22:23], 4, s[4:5]
	v_add_u32_e32 v22, s24, v31
	global_load_dwordx4 v[32:35], v[40:41], off
	v_lshl_add_u64 v[42:43], v[22:23], 4, s[4:5]
	global_load_dwordx4 v[36:39], v[42:43], off
	s_waitcnt vmcnt(1)
	v_fma_f64 v[32:33], -v[0:1], v[16:17], v[32:33]
	v_fma_f64 v[16:17], -v[2:3], v[16:17], v[34:35]
	;; [unrolled: 1-line block ×3, first 2 shown]
	s_waitcnt vmcnt(0)
	v_fma_f64 v[16:17], -v[0:1], v[12:13], v[36:37]
	v_fma_f64 v[12:13], -v[2:3], v[12:13], v[38:39]
	v_fmac_f64_e32 v[32:33], v[2:3], v[18:19]
	v_fmac_f64_e32 v[16:17], v[2:3], v[14:15]
	v_fma_f64 v[18:19], -v[0:1], v[14:15], v[12:13]
	global_store_dwordx4 v[40:41], v[32:35], off
	global_store_dwordx4 v[42:43], v[16:19], off
	s_branch .LBB271_3
.LBB271_14:
	s_or_b64 exec, exec, s[16:17]
	s_branch .LBB271_16
.LBB271_15:
	v_mov_b32_e32 v21, 0
.LBB271_16:
	v_subrev_u32_e32 v2, s20, v21
	v_add_u32_e32 v0, v2, v20
	v_ashrrev_i32_e32 v1, 31, v0
	s_waitcnt lgkmcnt(0)
	v_lshl_add_u64 v[0:1], v[0:1], 2, s[12:13]
	buffer_wbl2 sc1
	s_waitcnt vmcnt(0)
	buffer_inv sc1
	global_load_dword v0, v[0:1], off
	s_waitcnt vmcnt(0)
	v_mul_lo_u32 v0, v0, s20
	v_sub_u32_e32 v8, v2, v0
	v_cmp_lt_i32_e32 vcc, -1, v8
	s_and_b64 exec, exec, vcc
	s_cbranch_execz .LBB271_23
; %bb.17:
	s_lshl_b32 s8, s22, 1
	s_add_i32 s9, s8, s21
	s_and_b32 s10, s21, -2
	s_mov_b64 s[0:1], 0
	v_mov_b32_e32 v5, 0
	s_branch .LBB271_19
.LBB271_18:                             ;   in Loop: Header=BB271_19 Depth=1
	s_or_b64 exec, exec, s[2:3]
	v_sub_u32_e32 v8, v8, v4
	v_cmp_gt_i32_e32 vcc, 0, v8
	s_or_b64 s[0:1], vcc, s[0:1]
	s_andn2_b64 exec, exec, s[0:1]
	s_cbranch_execz .LBB271_23
.LBB271_19:                             ; =>This Inner Loop Header: Depth=1
	v_add_u32_e32 v6, v8, v20
	v_ashrrev_i32_e32 v7, 31, v6
	s_waitcnt vmcnt(0)
	v_lshl_add_u64 v[0:1], v[6:7], 2, s[12:13]
	global_load_dword v4, v[0:1], off
	v_lshl_add_u64 v[0:1], v[6:7], 4, s[6:7]
	global_load_dwordx4 v[0:3], v[0:1], off
	s_waitcnt vmcnt(1)
	v_cmp_ne_u32_e32 vcc, 1, v4
	s_and_saveexec_b64 s[2:3], vcc
	s_xor_b64 s[2:3], exec, s[2:3]
	s_cbranch_execz .LBB271_21
; %bb.20:                               ;   in Loop: Header=BB271_19 Depth=1
	v_add_u32_e32 v7, v30, v8
	v_add_u32_e32 v4, s8, v7
	v_lshl_add_u64 v[18:19], v[4:5], 4, s[4:5]
	v_add_u32_e32 v4, s9, v7
	v_lshl_add_u64 v[26:27], v[4:5], 4, s[4:5]
	;; [unrolled: 2-line block ×3, first 2 shown]
	global_load_dwordx4 v[10:13], v[28:29], off
	global_load_dwordx4 v[14:17], v[18:19], off
	;; [unrolled: 1-line block ×3, first 2 shown]
	v_add_u32_e32 v4, s9, v6
	v_lshl_add_u64 v[6:7], v[4:5], 4, s[4:5]
	v_subrev_u32_e32 v4, s20, v8
	v_add_u32_e32 v18, v4, v20
	v_ashrrev_i32_e32 v19, 31, v18
	v_add_u32_e32 v4, s8, v18
	v_lshl_add_u64 v[26:27], v[18:19], 4, s[6:7]
	v_lshl_add_u64 v[32:33], v[4:5], 4, s[4:5]
	v_add_u32_e32 v4, s9, v18
	s_waitcnt vmcnt(1)
	v_fma_f64 v[10:11], -v[0:1], v[14:15], v[10:11]
	v_fma_f64 v[12:13], -v[2:3], v[14:15], v[12:13]
	v_fmac_f64_e32 v[10:11], v[2:3], v[16:17]
	v_fma_f64 v[12:13], -v[0:1], v[16:17], v[12:13]
	global_store_dwordx4 v[28:29], v[10:13], off
	global_load_dwordx4 v[10:13], v[6:7], off
	s_nop 0
	global_load_dwordx4 v[26:29], v[26:27], off
	s_waitcnt vmcnt(1)
	v_fma_f64 v[10:11], -v[0:1], v[22:23], v[10:11]
	v_fma_f64 v[12:13], -v[2:3], v[22:23], v[12:13]
	v_fmac_f64_e32 v[10:11], v[2:3], v[24:25]
	v_fma_f64 v[12:13], -v[0:1], v[24:25], v[12:13]
	global_store_dwordx4 v[6:7], v[10:13], off
	global_load_dwordx4 v[0:3], v[32:33], off
	v_lshl_add_u64 v[6:7], v[4:5], 4, s[4:5]
	s_waitcnt vmcnt(0)
	v_fma_f64 v[0:1], -v[26:27], v[14:15], v[0:1]
	v_fma_f64 v[2:3], -v[28:29], v[14:15], v[2:3]
	v_fmac_f64_e32 v[0:1], v[28:29], v[16:17]
	v_fma_f64 v[2:3], -v[26:27], v[16:17], v[2:3]
	global_store_dwordx4 v[32:33], v[0:3], off
	global_load_dwordx4 v[0:3], v[6:7], off
	s_waitcnt vmcnt(0)
	v_fma_f64 v[0:1], -v[26:27], v[22:23], v[0:1]
	v_fma_f64 v[2:3], -v[28:29], v[22:23], v[2:3]
	v_fmac_f64_e32 v[0:1], v[28:29], v[24:25]
	v_fma_f64 v[2:3], -v[26:27], v[24:25], v[2:3]
	global_store_dwordx4 v[6:7], v[0:3], off
                                        ; implicit-def: $vgpr6
                                        ; implicit-def: $vgpr0_vgpr1
.LBB271_21:                             ;   in Loop: Header=BB271_19 Depth=1
	s_or_saveexec_b64 s[2:3], s[2:3]
	v_mov_b32_e32 v4, s10
	s_xor_b64 exec, exec, s[2:3]
	s_cbranch_execz .LBB271_18
; %bb.22:                               ;   in Loop: Header=BB271_19 Depth=1
	v_add_u32_e32 v7, v30, v8
	v_add_u32_e32 v4, s8, v7
	v_lshl_add_u64 v[18:19], v[4:5], 4, s[4:5]
	v_add_u32_e32 v4, s8, v6
	v_lshl_add_u64 v[22:23], v[4:5], 4, s[4:5]
	global_load_dwordx4 v[10:13], v[18:19], off
	global_load_dwordx4 v[14:17], v[22:23], off
	v_add_u32_e32 v4, s9, v7
	v_lshl_add_u64 v[18:19], v[4:5], 4, s[4:5]
	v_add_u32_e32 v4, s9, v6
	v_lshl_add_u64 v[6:7], v[4:5], 4, s[4:5]
	v_mov_b32_e32 v4, s20
	s_waitcnt vmcnt(0)
	v_fma_f64 v[14:15], -v[0:1], v[10:11], v[14:15]
	v_fma_f64 v[10:11], -v[2:3], v[10:11], v[16:17]
	v_fmac_f64_e32 v[14:15], v[2:3], v[12:13]
	v_fma_f64 v[16:17], -v[0:1], v[12:13], v[10:11]
	global_store_dwordx4 v[22:23], v[14:17], off
	global_load_dwordx4 v[10:13], v[18:19], off
	s_nop 0
	global_load_dwordx4 v[14:17], v[6:7], off
	s_waitcnt vmcnt(0)
	v_fma_f64 v[14:15], -v[0:1], v[10:11], v[14:15]
	v_fma_f64 v[10:11], -v[2:3], v[10:11], v[16:17]
	v_fmac_f64_e32 v[14:15], v[2:3], v[12:13]
	v_fma_f64 v[16:17], -v[0:1], v[12:13], v[10:11]
	global_store_dwordx4 v[6:7], v[14:17], off
	s_branch .LBB271_18
.LBB271_23:
	s_endpgm
	.section	.rodata,"a",@progbits
	.p2align	6, 0x0
	.amdhsa_kernel _ZN9rocsparseL19gtsv_LBM_rhs_kernelILj256ELj2ELj2E21rocsparse_complex_numIdEEEviiiPKT2_S5_S5_PS3_S5_PKi
		.amdhsa_group_segment_fixed_size 0
		.amdhsa_private_segment_fixed_size 0
		.amdhsa_kernarg_size 64
		.amdhsa_user_sgpr_count 2
		.amdhsa_user_sgpr_dispatch_ptr 0
		.amdhsa_user_sgpr_queue_ptr 0
		.amdhsa_user_sgpr_kernarg_segment_ptr 1
		.amdhsa_user_sgpr_dispatch_id 0
		.amdhsa_user_sgpr_kernarg_preload_length 0
		.amdhsa_user_sgpr_kernarg_preload_offset 0
		.amdhsa_user_sgpr_private_segment_size 0
		.amdhsa_uses_dynamic_stack 0
		.amdhsa_enable_private_segment 0
		.amdhsa_system_sgpr_workgroup_id_x 1
		.amdhsa_system_sgpr_workgroup_id_y 1
		.amdhsa_system_sgpr_workgroup_id_z 0
		.amdhsa_system_sgpr_workgroup_info 0
		.amdhsa_system_vgpr_workitem_id 0
		.amdhsa_next_free_vgpr 66
		.amdhsa_next_free_sgpr 26
		.amdhsa_accum_offset 68
		.amdhsa_reserve_vcc 1
		.amdhsa_float_round_mode_32 0
		.amdhsa_float_round_mode_16_64 0
		.amdhsa_float_denorm_mode_32 3
		.amdhsa_float_denorm_mode_16_64 3
		.amdhsa_dx10_clamp 1
		.amdhsa_ieee_mode 1
		.amdhsa_fp16_overflow 0
		.amdhsa_tg_split 0
		.amdhsa_exception_fp_ieee_invalid_op 0
		.amdhsa_exception_fp_denorm_src 0
		.amdhsa_exception_fp_ieee_div_zero 0
		.amdhsa_exception_fp_ieee_overflow 0
		.amdhsa_exception_fp_ieee_underflow 0
		.amdhsa_exception_fp_ieee_inexact 0
		.amdhsa_exception_int_div_zero 0
	.end_amdhsa_kernel
	.section	.text._ZN9rocsparseL19gtsv_LBM_rhs_kernelILj256ELj2ELj2E21rocsparse_complex_numIdEEEviiiPKT2_S5_S5_PS3_S5_PKi,"axG",@progbits,_ZN9rocsparseL19gtsv_LBM_rhs_kernelILj256ELj2ELj2E21rocsparse_complex_numIdEEEviiiPKT2_S5_S5_PS3_S5_PKi,comdat
.Lfunc_end271:
	.size	_ZN9rocsparseL19gtsv_LBM_rhs_kernelILj256ELj2ELj2E21rocsparse_complex_numIdEEEviiiPKT2_S5_S5_PS3_S5_PKi, .Lfunc_end271-_ZN9rocsparseL19gtsv_LBM_rhs_kernelILj256ELj2ELj2E21rocsparse_complex_numIdEEEviiiPKT2_S5_S5_PS3_S5_PKi
                                        ; -- End function
	.set _ZN9rocsparseL19gtsv_LBM_rhs_kernelILj256ELj2ELj2E21rocsparse_complex_numIdEEEviiiPKT2_S5_S5_PS3_S5_PKi.num_vgpr, 66
	.set _ZN9rocsparseL19gtsv_LBM_rhs_kernelILj256ELj2ELj2E21rocsparse_complex_numIdEEEviiiPKT2_S5_S5_PS3_S5_PKi.num_agpr, 0
	.set _ZN9rocsparseL19gtsv_LBM_rhs_kernelILj256ELj2ELj2E21rocsparse_complex_numIdEEEviiiPKT2_S5_S5_PS3_S5_PKi.numbered_sgpr, 26
	.set _ZN9rocsparseL19gtsv_LBM_rhs_kernelILj256ELj2ELj2E21rocsparse_complex_numIdEEEviiiPKT2_S5_S5_PS3_S5_PKi.num_named_barrier, 0
	.set _ZN9rocsparseL19gtsv_LBM_rhs_kernelILj256ELj2ELj2E21rocsparse_complex_numIdEEEviiiPKT2_S5_S5_PS3_S5_PKi.private_seg_size, 0
	.set _ZN9rocsparseL19gtsv_LBM_rhs_kernelILj256ELj2ELj2E21rocsparse_complex_numIdEEEviiiPKT2_S5_S5_PS3_S5_PKi.uses_vcc, 1
	.set _ZN9rocsparseL19gtsv_LBM_rhs_kernelILj256ELj2ELj2E21rocsparse_complex_numIdEEEviiiPKT2_S5_S5_PS3_S5_PKi.uses_flat_scratch, 0
	.set _ZN9rocsparseL19gtsv_LBM_rhs_kernelILj256ELj2ELj2E21rocsparse_complex_numIdEEEviiiPKT2_S5_S5_PS3_S5_PKi.has_dyn_sized_stack, 0
	.set _ZN9rocsparseL19gtsv_LBM_rhs_kernelILj256ELj2ELj2E21rocsparse_complex_numIdEEEviiiPKT2_S5_S5_PS3_S5_PKi.has_recursion, 0
	.set _ZN9rocsparseL19gtsv_LBM_rhs_kernelILj256ELj2ELj2E21rocsparse_complex_numIdEEEviiiPKT2_S5_S5_PS3_S5_PKi.has_indirect_call, 0
	.section	.AMDGPU.csdata,"",@progbits
; Kernel info:
; codeLenInByte = 2200
; TotalNumSgprs: 32
; NumVgprs: 66
; NumAgprs: 0
; TotalNumVgprs: 66
; ScratchSize: 0
; MemoryBound: 1
; FloatMode: 240
; IeeeMode: 1
; LDSByteSize: 0 bytes/workgroup (compile time only)
; SGPRBlocks: 3
; VGPRBlocks: 8
; NumSGPRsForWavesPerEU: 32
; NumVGPRsForWavesPerEU: 66
; AccumOffset: 68
; Occupancy: 7
; WaveLimiterHint : 0
; COMPUTE_PGM_RSRC2:SCRATCH_EN: 0
; COMPUTE_PGM_RSRC2:USER_SGPR: 2
; COMPUTE_PGM_RSRC2:TRAP_HANDLER: 0
; COMPUTE_PGM_RSRC2:TGID_X_EN: 1
; COMPUTE_PGM_RSRC2:TGID_Y_EN: 1
; COMPUTE_PGM_RSRC2:TGID_Z_EN: 0
; COMPUTE_PGM_RSRC2:TIDIG_COMP_CNT: 0
; COMPUTE_PGM_RSRC3_GFX90A:ACCUM_OFFSET: 16
; COMPUTE_PGM_RSRC3_GFX90A:TG_SPLIT: 0
	.section	.text._ZN9rocsparseL19gtsv_LBM_rhs_kernelILj256ELj2ELj1E21rocsparse_complex_numIdEEEviiiPKT2_S5_S5_PS3_S5_PKi,"axG",@progbits,_ZN9rocsparseL19gtsv_LBM_rhs_kernelILj256ELj2ELj1E21rocsparse_complex_numIdEEEviiiPKT2_S5_S5_PS3_S5_PKi,comdat
	.globl	_ZN9rocsparseL19gtsv_LBM_rhs_kernelILj256ELj2ELj1E21rocsparse_complex_numIdEEEviiiPKT2_S5_S5_PS3_S5_PKi ; -- Begin function _ZN9rocsparseL19gtsv_LBM_rhs_kernelILj256ELj2ELj1E21rocsparse_complex_numIdEEEviiiPKT2_S5_S5_PS3_S5_PKi
	.p2align	8
	.type	_ZN9rocsparseL19gtsv_LBM_rhs_kernelILj256ELj2ELj1E21rocsparse_complex_numIdEEEviiiPKT2_S5_S5_PS3_S5_PKi,@function
_ZN9rocsparseL19gtsv_LBM_rhs_kernelILj256ELj2ELj1E21rocsparse_complex_numIdEEEviiiPKT2_S5_S5_PS3_S5_PKi: ; @_ZN9rocsparseL19gtsv_LBM_rhs_kernelILj256ELj2ELj1E21rocsparse_complex_numIdEEEviiiPKT2_S5_S5_PS3_S5_PKi
; %bb.0:
	s_load_dword s22, s[0:1], 0x0
	v_lshl_or_b32 v16, s2, 8, v0
	s_waitcnt lgkmcnt(0)
	s_lshr_b32 s20, s22, 1
	v_cmp_gt_i32_e32 vcc, s20, v16
	s_and_saveexec_b64 s[4:5], vcc
	s_cbranch_execz .LBB272_23
; %bb.1:
	s_load_dwordx4 s[4:7], s[0:1], 0x28
	s_load_dwordx2 s[12:13], s[0:1], 0x38
	s_cmp_lt_i32 s22, 1
	s_mul_i32 s21, s22, s3
	s_cbranch_scc1 .LBB272_15
; %bb.2:
	s_load_dwordx4 s[8:11], s[0:1], 0x10
	s_load_dwordx2 s[14:15], s[0:1], 0x20
	v_ashrrev_i32_e32 v17, 31, v16
	v_add_u32_e32 v26, s20, v16
	v_add_u32_e32 v27, s21, v26
	s_waitcnt lgkmcnt(0)
	v_lshl_add_u64 v[0:1], v[16:17], 4, s[10:11]
	global_load_dwordx4 v[12:15], v[0:1], off
	s_and_b32 s23, s22, 0x7ffffffe
	v_mov_b32_e32 v19, 0
	s_mov_b64 s[16:17], 0
	v_mov_b32_e32 v17, 0
	s_branch .LBB272_5
.LBB272_3:                              ;   in Loop: Header=BB272_5 Depth=1
	s_or_b64 exec, exec, s[18:19]
	v_fmac_f64_e32 v[22:23], v[8:9], v[0:1]
	v_fmac_f64_e32 v[20:21], v[10:11], v[0:1]
	v_mul_f64 v[0:1], v[24:25], -v[20:21]
	v_mul_f64 v[8:9], v[24:25], v[22:23]
	v_fmac_f64_e32 v[0:1], v[22:23], v[2:3]
	v_fmac_f64_e32 v[8:9], v[20:21], v[2:3]
	v_add_f64 v[2:3], v[4:5], -v[0:1]
	v_add_f64 v[24:25], v[6:7], -v[8:9]
	v_mov_b32_e32 v28, s20
.LBB272_4:                              ;   in Loop: Header=BB272_5 Depth=1
	s_or_b64 exec, exec, s[2:3]
	v_add_u32_e32 v17, v28, v17
	v_cmp_le_i32_e32 vcc, s22, v17
	s_or_b64 s[16:17], vcc, s[16:17]
	v_mov_b64_e32 v[14:15], v[24:25]
	v_mov_b64_e32 v[12:13], v[2:3]
	s_andn2_b64 exec, exec, s[16:17]
	s_cbranch_execz .LBB272_14
.LBB272_5:                              ; =>This Inner Loop Header: Depth=1
	v_add_u32_e32 v24, v17, v16
	v_ashrrev_i32_e32 v25, 31, v24
	v_lshl_add_u64 v[0:1], v[24:25], 4, s[14:15]
	global_load_dwordx4 v[0:3], v[0:1], off
	v_cmp_gt_u32_e64 s[0:1], s20, v17
	v_mov_b64_e32 v[4:5], 0
	v_add_u32_e32 v20, v26, v17
	v_mov_b64_e32 v[8:9], 0
	v_mov_b64_e32 v[10:11], 0
	s_and_saveexec_b64 s[2:3], s[0:1]
	s_cbranch_execz .LBB272_7
; %bb.6:                                ;   in Loop: Header=BB272_5 Depth=1
	v_ashrrev_i32_e32 v21, 31, v20
	v_lshl_add_u64 v[6:7], v[20:21], 4, s[8:9]
	global_load_dwordx4 v[8:11], v[6:7], off
.LBB272_7:                              ;   in Loop: Header=BB272_5 Depth=1
	s_or_b64 exec, exec, s[2:3]
	v_mov_b64_e32 v[6:7], 0
	s_and_saveexec_b64 s[2:3], s[0:1]
	s_cbranch_execz .LBB272_9
; %bb.8:                                ;   in Loop: Header=BB272_5 Depth=1
	v_ashrrev_i32_e32 v21, 31, v20
	v_lshl_add_u64 v[4:5], v[20:21], 4, s[10:11]
	global_load_dwordx4 v[4:7], v[4:5], off
.LBB272_9:                              ;   in Loop: Header=BB272_5 Depth=1
	s_or_b64 exec, exec, s[2:3]
	v_lshl_add_u64 v[20:21], v[24:25], 2, s[12:13]
	global_load_dword v18, v[20:21], off
	v_cmp_ne_u32_e32 vcc, s20, v17
	s_waitcnt vmcnt(1)
	v_mul_f64 v[22:23], v[2:3], -v[10:11]
	v_mul_f64 v[20:21], v[2:3], v[8:9]
	s_waitcnt vmcnt(0)
	v_cmp_ne_u32_e64 s[2:3], 1, v18
	s_and_b64 s[2:3], vcc, s[2:3]
	v_add_u32_e32 v18, s21, v24
	s_and_saveexec_b64 s[18:19], s[2:3]
	s_xor_b64 s[2:3], exec, s[18:19]
	s_cbranch_execz .LBB272_11
; %bb.10:                               ;   in Loop: Header=BB272_5 Depth=1
	v_lshl_add_u64 v[24:25], v[18:19], 4, s[4:5]
	v_add_u32_e32 v18, v27, v17
	global_load_dwordx4 v[28:31], v[24:25], off
	v_lshl_add_u64 v[36:37], v[18:19], 4, s[4:5]
	global_load_dwordx4 v[32:35], v[36:37], off
	v_mul_f64 v[40:41], v[12:13], v[6:7]
	v_mul_f64 v[38:39], v[6:7], -v[14:15]
	v_fmac_f64_e32 v[20:21], v[10:11], v[0:1]
	v_fmac_f64_e32 v[40:41], v[14:15], v[4:5]
	;; [unrolled: 1-line block ×4, first 2 shown]
	v_add_f64 v[20:21], v[40:41], -v[20:21]
	v_add_f64 v[22:23], v[38:39], -v[22:23]
	v_mul_f64 v[38:39], v[20:21], v[20:21]
	v_fmac_f64_e32 v[38:39], v[22:23], v[22:23]
	v_div_scale_f64 v[42:43], s[18:19], v[38:39], v[38:39], 1.0
	v_rcp_f64_e32 v[44:45], v[42:43]
	v_fma_f64 v[40:41], 0, v[20:21], v[22:23]
	v_fma_f64 v[20:21], v[22:23], 0, -v[20:21]
	v_div_scale_f64 v[22:23], vcc, 1.0, v[38:39], 1.0
	v_fma_f64 v[46:47], -v[42:43], v[44:45], 1.0
	v_fmac_f64_e32 v[44:45], v[44:45], v[46:47]
	v_fma_f64 v[46:47], -v[42:43], v[44:45], 1.0
	v_fmac_f64_e32 v[44:45], v[44:45], v[46:47]
	v_mul_f64 v[46:47], v[22:23], v[44:45]
	v_fma_f64 v[22:23], -v[42:43], v[46:47], v[22:23]
	v_div_fmas_f64 v[22:23], v[22:23], v[44:45], v[46:47]
	v_div_fixup_f64 v[22:23], v[22:23], v[38:39], 1.0
	v_mul_f64 v[20:21], v[20:21], v[22:23]
	v_mul_f64 v[38:39], v[40:41], v[22:23]
	s_waitcnt vmcnt(1)
	v_mul_f64 v[22:23], v[20:21], -v[30:31]
	v_mul_f64 v[40:41], v[20:21], v[28:29]
	v_fmac_f64_e32 v[22:23], v[28:29], v[38:39]
	v_fmac_f64_e32 v[40:41], v[30:31], v[38:39]
	s_waitcnt vmcnt(0)
	v_mul_f64 v[28:29], v[20:21], -v[34:35]
	v_mul_f64 v[20:21], v[20:21], v[32:33]
	v_fmac_f64_e32 v[28:29], v[32:33], v[38:39]
	v_fmac_f64_e32 v[20:21], v[34:35], v[38:39]
	v_mul_f64 v[30:31], v[40:41], -v[6:7]
	v_mul_f64 v[32:33], v[4:5], v[40:41]
	v_mul_f64 v[34:35], v[10:11], v[40:41]
	v_mul_f64 v[38:39], v[40:41], -v[8:9]
	v_fmac_f64_e32 v[30:31], v[4:5], v[22:23]
	v_fmac_f64_e32 v[32:33], v[6:7], v[22:23]
	v_mul_f64 v[4:5], v[20:21], -v[2:3]
	v_mul_f64 v[6:7], v[0:1], v[20:21]
	v_fma_f64 v[8:9], -v[8:9], v[22:23], v[34:35]
	v_fma_f64 v[10:11], -v[10:11], v[22:23], v[38:39]
	v_mul_f64 v[22:23], v[20:21], -v[14:15]
	v_mul_f64 v[20:21], v[12:13], v[20:21]
	v_fmac_f64_e32 v[4:5], v[0:1], v[28:29]
	v_fmac_f64_e32 v[6:7], v[2:3], v[28:29]
	;; [unrolled: 1-line block ×4, first 2 shown]
	v_add_f64 v[0:1], v[30:31], -v[4:5]
	v_add_f64 v[2:3], v[32:33], -v[6:7]
	v_add_f64 v[4:5], v[8:9], v[22:23]
	v_add_f64 v[6:7], v[10:11], v[20:21]
	global_store_dwordx4 v[24:25], v[0:3], off
	global_store_dwordx4 v[36:37], v[4:7], off
                                        ; implicit-def: $vgpr14_vgpr15
                                        ; implicit-def: $vgpr8_vgpr9
                                        ; implicit-def: $vgpr4_vgpr5
                                        ; implicit-def: $vgpr0_vgpr1
                                        ; implicit-def: $vgpr22_vgpr23
                                        ; implicit-def: $vgpr20_vgpr21
.LBB272_11:                             ;   in Loop: Header=BB272_5 Depth=1
	s_or_saveexec_b64 s[2:3], s[2:3]
	v_mov_b64_e32 v[2:3], 0
	v_mov_b32_e32 v28, s23
	v_mov_b64_e32 v[24:25], 0
	s_xor_b64 exec, exec, s[2:3]
	s_cbranch_execz .LBB272_4
; %bb.12:                               ;   in Loop: Header=BB272_5 Depth=1
	v_lshl_add_u64 v[32:33], v[18:19], 4, s[4:5]
	global_load_dwordx4 v[28:31], v[32:33], off
	v_mul_f64 v[2:3], v[14:15], v[14:15]
	v_fmac_f64_e32 v[2:3], v[12:13], v[12:13]
	v_div_scale_f64 v[34:35], s[18:19], v[2:3], v[2:3], 1.0
	v_rcp_f64_e32 v[36:37], v[34:35]
	v_fma_f64 v[24:25], 0, v[14:15], v[12:13]
	v_fma_f64 v[12:13], v[12:13], 0, -v[14:15]
	v_div_scale_f64 v[14:15], vcc, 1.0, v[2:3], 1.0
	v_fma_f64 v[38:39], -v[34:35], v[36:37], 1.0
	v_fmac_f64_e32 v[36:37], v[36:37], v[38:39]
	v_fma_f64 v[38:39], -v[34:35], v[36:37], 1.0
	v_fmac_f64_e32 v[36:37], v[36:37], v[38:39]
	v_mul_f64 v[38:39], v[14:15], v[36:37]
	v_fma_f64 v[14:15], -v[34:35], v[38:39], v[14:15]
	v_div_fmas_f64 v[14:15], v[14:15], v[36:37], v[38:39]
	v_div_fixup_f64 v[14:15], v[14:15], v[2:3], 1.0
	v_mul_f64 v[2:3], v[24:25], v[14:15]
	v_mul_f64 v[24:25], v[12:13], v[14:15]
	s_waitcnt vmcnt(0)
	v_mul_f64 v[12:13], v[24:25], -v[30:31]
	v_mul_f64 v[14:15], v[24:25], v[28:29]
	v_fmac_f64_e32 v[12:13], v[28:29], v[2:3]
	v_fmac_f64_e32 v[14:15], v[30:31], v[2:3]
	global_store_dwordx4 v[32:33], v[12:15], off
	s_and_saveexec_b64 s[18:19], s[0:1]
	s_cbranch_execz .LBB272_3
; %bb.13:                               ;   in Loop: Header=BB272_5 Depth=1
	v_add_u32_e32 v18, v27, v17
	v_lshl_add_u64 v[32:33], v[18:19], 4, s[4:5]
	global_load_dwordx4 v[28:31], v[32:33], off
	s_waitcnt vmcnt(0)
	v_fma_f64 v[28:29], -v[8:9], v[12:13], v[28:29]
	v_fma_f64 v[12:13], -v[10:11], v[12:13], v[30:31]
	v_fmac_f64_e32 v[28:29], v[10:11], v[14:15]
	v_fma_f64 v[30:31], -v[8:9], v[14:15], v[12:13]
	global_store_dwordx4 v[32:33], v[28:31], off
	s_branch .LBB272_3
.LBB272_14:
	s_or_b64 exec, exec, s[16:17]
	s_branch .LBB272_16
.LBB272_15:
	v_mov_b32_e32 v17, 0
.LBB272_16:
	v_subrev_u32_e32 v2, s20, v17
	v_add_u32_e32 v0, v2, v16
	v_ashrrev_i32_e32 v1, 31, v0
	s_waitcnt lgkmcnt(0)
	v_lshl_add_u64 v[0:1], v[0:1], 2, s[12:13]
	buffer_wbl2 sc1
	s_waitcnt vmcnt(0)
	buffer_inv sc1
	global_load_dword v0, v[0:1], off
	s_waitcnt vmcnt(0)
	v_mul_lo_u32 v0, v0, s20
	v_sub_u32_e32 v8, v2, v0
	v_cmp_lt_i32_e32 vcc, -1, v8
	s_and_b64 exec, exec, vcc
	s_cbranch_execz .LBB272_23
; %bb.17:
	s_add_i32 s0, s21, s20
	v_add_u32_e32 v9, s0, v16
	s_and_b32 s8, s22, -2
	s_mov_b64 s[0:1], 0
	v_mov_b32_e32 v5, 0
	s_branch .LBB272_19
.LBB272_18:                             ;   in Loop: Header=BB272_19 Depth=1
	s_or_b64 exec, exec, s[2:3]
	v_sub_u32_e32 v8, v8, v4
	v_cmp_gt_i32_e32 vcc, 0, v8
	s_or_b64 s[0:1], vcc, s[0:1]
	s_andn2_b64 exec, exec, s[0:1]
	s_cbranch_execz .LBB272_23
.LBB272_19:                             ; =>This Inner Loop Header: Depth=1
	v_add_u32_e32 v6, v8, v16
	v_ashrrev_i32_e32 v7, 31, v6
	s_waitcnt vmcnt(0)
	v_lshl_add_u64 v[0:1], v[6:7], 2, s[12:13]
	global_load_dword v4, v[0:1], off
	v_lshl_add_u64 v[0:1], v[6:7], 4, s[6:7]
	global_load_dwordx4 v[0:3], v[0:1], off
	s_waitcnt vmcnt(1)
	v_cmp_ne_u32_e32 vcc, 1, v4
	s_and_saveexec_b64 s[2:3], vcc
	s_xor_b64 s[2:3], exec, s[2:3]
	s_cbranch_execz .LBB272_21
; %bb.20:                               ;   in Loop: Header=BB272_19 Depth=1
	v_add_u32_e32 v4, v9, v8
	v_lshl_add_u64 v[14:15], v[4:5], 4, s[4:5]
	v_add_u32_e32 v4, s21, v6
	v_lshl_add_u64 v[6:7], v[4:5], 4, s[4:5]
	global_load_dwordx4 v[10:13], v[14:15], off
	global_load_dwordx4 v[18:21], v[6:7], off
	v_subrev_u32_e32 v4, s20, v8
	v_add_u32_e32 v14, v4, v16
	v_ashrrev_i32_e32 v15, 31, v14
	v_add_u32_e32 v4, s21, v14
	v_lshl_add_u64 v[14:15], v[14:15], 4, s[6:7]
	global_load_dwordx4 v[22:25], v[14:15], off
	v_lshl_add_u64 v[26:27], v[4:5], 4, s[4:5]
	s_waitcnt vmcnt(1)
	v_fma_f64 v[18:19], -v[0:1], v[10:11], v[18:19]
	v_fma_f64 v[14:15], -v[2:3], v[10:11], v[20:21]
	v_fmac_f64_e32 v[18:19], v[2:3], v[12:13]
	v_fma_f64 v[20:21], -v[0:1], v[12:13], v[14:15]
	global_store_dwordx4 v[6:7], v[18:21], off
	global_load_dwordx4 v[0:3], v[26:27], off
                                        ; implicit-def: $vgpr6
	s_waitcnt vmcnt(0)
	v_fma_f64 v[0:1], -v[22:23], v[10:11], v[0:1]
	v_fma_f64 v[2:3], -v[24:25], v[10:11], v[2:3]
	v_fmac_f64_e32 v[0:1], v[24:25], v[12:13]
	v_fma_f64 v[2:3], -v[22:23], v[12:13], v[2:3]
	global_store_dwordx4 v[26:27], v[0:3], off
                                        ; implicit-def: $vgpr0_vgpr1
.LBB272_21:                             ;   in Loop: Header=BB272_19 Depth=1
	s_or_saveexec_b64 s[2:3], s[2:3]
	v_mov_b32_e32 v4, s8
	s_xor_b64 exec, exec, s[2:3]
	s_cbranch_execz .LBB272_18
; %bb.22:                               ;   in Loop: Header=BB272_19 Depth=1
	v_add_u32_e32 v4, v9, v8
	v_lshl_add_u64 v[14:15], v[4:5], 4, s[4:5]
	v_add_u32_e32 v4, s21, v6
	v_lshl_add_u64 v[6:7], v[4:5], 4, s[4:5]
	global_load_dwordx4 v[10:13], v[14:15], off
	global_load_dwordx4 v[18:21], v[6:7], off
	v_mov_b32_e32 v4, s20
	s_waitcnt vmcnt(0)
	v_fma_f64 v[18:19], -v[0:1], v[10:11], v[18:19]
	v_fma_f64 v[10:11], -v[2:3], v[10:11], v[20:21]
	v_fmac_f64_e32 v[18:19], v[2:3], v[12:13]
	v_fma_f64 v[20:21], -v[0:1], v[12:13], v[10:11]
	global_store_dwordx4 v[6:7], v[18:21], off
	s_branch .LBB272_18
.LBB272_23:
	s_endpgm
	.section	.rodata,"a",@progbits
	.p2align	6, 0x0
	.amdhsa_kernel _ZN9rocsparseL19gtsv_LBM_rhs_kernelILj256ELj2ELj1E21rocsparse_complex_numIdEEEviiiPKT2_S5_S5_PS3_S5_PKi
		.amdhsa_group_segment_fixed_size 0
		.amdhsa_private_segment_fixed_size 0
		.amdhsa_kernarg_size 64
		.amdhsa_user_sgpr_count 2
		.amdhsa_user_sgpr_dispatch_ptr 0
		.amdhsa_user_sgpr_queue_ptr 0
		.amdhsa_user_sgpr_kernarg_segment_ptr 1
		.amdhsa_user_sgpr_dispatch_id 0
		.amdhsa_user_sgpr_kernarg_preload_length 0
		.amdhsa_user_sgpr_kernarg_preload_offset 0
		.amdhsa_user_sgpr_private_segment_size 0
		.amdhsa_uses_dynamic_stack 0
		.amdhsa_enable_private_segment 0
		.amdhsa_system_sgpr_workgroup_id_x 1
		.amdhsa_system_sgpr_workgroup_id_y 1
		.amdhsa_system_sgpr_workgroup_id_z 0
		.amdhsa_system_sgpr_workgroup_info 0
		.amdhsa_system_vgpr_workitem_id 0
		.amdhsa_next_free_vgpr 48
		.amdhsa_next_free_sgpr 24
		.amdhsa_accum_offset 48
		.amdhsa_reserve_vcc 1
		.amdhsa_float_round_mode_32 0
		.amdhsa_float_round_mode_16_64 0
		.amdhsa_float_denorm_mode_32 3
		.amdhsa_float_denorm_mode_16_64 3
		.amdhsa_dx10_clamp 1
		.amdhsa_ieee_mode 1
		.amdhsa_fp16_overflow 0
		.amdhsa_tg_split 0
		.amdhsa_exception_fp_ieee_invalid_op 0
		.amdhsa_exception_fp_denorm_src 0
		.amdhsa_exception_fp_ieee_div_zero 0
		.amdhsa_exception_fp_ieee_overflow 0
		.amdhsa_exception_fp_ieee_underflow 0
		.amdhsa_exception_fp_ieee_inexact 0
		.amdhsa_exception_int_div_zero 0
	.end_amdhsa_kernel
	.section	.text._ZN9rocsparseL19gtsv_LBM_rhs_kernelILj256ELj2ELj1E21rocsparse_complex_numIdEEEviiiPKT2_S5_S5_PS3_S5_PKi,"axG",@progbits,_ZN9rocsparseL19gtsv_LBM_rhs_kernelILj256ELj2ELj1E21rocsparse_complex_numIdEEEviiiPKT2_S5_S5_PS3_S5_PKi,comdat
.Lfunc_end272:
	.size	_ZN9rocsparseL19gtsv_LBM_rhs_kernelILj256ELj2ELj1E21rocsparse_complex_numIdEEEviiiPKT2_S5_S5_PS3_S5_PKi, .Lfunc_end272-_ZN9rocsparseL19gtsv_LBM_rhs_kernelILj256ELj2ELj1E21rocsparse_complex_numIdEEEviiiPKT2_S5_S5_PS3_S5_PKi
                                        ; -- End function
	.set _ZN9rocsparseL19gtsv_LBM_rhs_kernelILj256ELj2ELj1E21rocsparse_complex_numIdEEEviiiPKT2_S5_S5_PS3_S5_PKi.num_vgpr, 48
	.set _ZN9rocsparseL19gtsv_LBM_rhs_kernelILj256ELj2ELj1E21rocsparse_complex_numIdEEEviiiPKT2_S5_S5_PS3_S5_PKi.num_agpr, 0
	.set _ZN9rocsparseL19gtsv_LBM_rhs_kernelILj256ELj2ELj1E21rocsparse_complex_numIdEEEviiiPKT2_S5_S5_PS3_S5_PKi.numbered_sgpr, 24
	.set _ZN9rocsparseL19gtsv_LBM_rhs_kernelILj256ELj2ELj1E21rocsparse_complex_numIdEEEviiiPKT2_S5_S5_PS3_S5_PKi.num_named_barrier, 0
	.set _ZN9rocsparseL19gtsv_LBM_rhs_kernelILj256ELj2ELj1E21rocsparse_complex_numIdEEEviiiPKT2_S5_S5_PS3_S5_PKi.private_seg_size, 0
	.set _ZN9rocsparseL19gtsv_LBM_rhs_kernelILj256ELj2ELj1E21rocsparse_complex_numIdEEEviiiPKT2_S5_S5_PS3_S5_PKi.uses_vcc, 1
	.set _ZN9rocsparseL19gtsv_LBM_rhs_kernelILj256ELj2ELj1E21rocsparse_complex_numIdEEEviiiPKT2_S5_S5_PS3_S5_PKi.uses_flat_scratch, 0
	.set _ZN9rocsparseL19gtsv_LBM_rhs_kernelILj256ELj2ELj1E21rocsparse_complex_numIdEEEviiiPKT2_S5_S5_PS3_S5_PKi.has_dyn_sized_stack, 0
	.set _ZN9rocsparseL19gtsv_LBM_rhs_kernelILj256ELj2ELj1E21rocsparse_complex_numIdEEEviiiPKT2_S5_S5_PS3_S5_PKi.has_recursion, 0
	.set _ZN9rocsparseL19gtsv_LBM_rhs_kernelILj256ELj2ELj1E21rocsparse_complex_numIdEEEviiiPKT2_S5_S5_PS3_S5_PKi.has_indirect_call, 0
	.section	.AMDGPU.csdata,"",@progbits
; Kernel info:
; codeLenInByte = 1572
; TotalNumSgprs: 30
; NumVgprs: 48
; NumAgprs: 0
; TotalNumVgprs: 48
; ScratchSize: 0
; MemoryBound: 1
; FloatMode: 240
; IeeeMode: 1
; LDSByteSize: 0 bytes/workgroup (compile time only)
; SGPRBlocks: 3
; VGPRBlocks: 5
; NumSGPRsForWavesPerEU: 30
; NumVGPRsForWavesPerEU: 48
; AccumOffset: 48
; Occupancy: 8
; WaveLimiterHint : 0
; COMPUTE_PGM_RSRC2:SCRATCH_EN: 0
; COMPUTE_PGM_RSRC2:USER_SGPR: 2
; COMPUTE_PGM_RSRC2:TRAP_HANDLER: 0
; COMPUTE_PGM_RSRC2:TGID_X_EN: 1
; COMPUTE_PGM_RSRC2:TGID_Y_EN: 1
; COMPUTE_PGM_RSRC2:TGID_Z_EN: 0
; COMPUTE_PGM_RSRC2:TIDIG_COMP_CNT: 0
; COMPUTE_PGM_RSRC3_GFX90A:ACCUM_OFFSET: 11
; COMPUTE_PGM_RSRC3_GFX90A:TG_SPLIT: 0
	.section	.text._ZN9rocsparseL29gtsv_spike_block_level_kernelILj256ELj2E21rocsparse_complex_numIdEEEviiiPT1_PKS3_S6_S4_S4_S4_S4_S4_,"axG",@progbits,_ZN9rocsparseL29gtsv_spike_block_level_kernelILj256ELj2E21rocsparse_complex_numIdEEEviiiPT1_PKS3_S6_S4_S4_S4_S4_S4_,comdat
	.globl	_ZN9rocsparseL29gtsv_spike_block_level_kernelILj256ELj2E21rocsparse_complex_numIdEEEviiiPT1_PKS3_S6_S4_S4_S4_S4_S4_ ; -- Begin function _ZN9rocsparseL29gtsv_spike_block_level_kernelILj256ELj2E21rocsparse_complex_numIdEEEviiiPT1_PKS3_S6_S4_S4_S4_S4_S4_
	.p2align	8
	.type	_ZN9rocsparseL29gtsv_spike_block_level_kernelILj256ELj2E21rocsparse_complex_numIdEEEviiiPT1_PKS3_S6_S4_S4_S4_S4_S4_,@function
_ZN9rocsparseL29gtsv_spike_block_level_kernelILj256ELj2E21rocsparse_complex_numIdEEEviiiPT1_PKS3_S6_S4_S4_S4_S4_S4_: ; @_ZN9rocsparseL29gtsv_spike_block_level_kernelILj256ELj2E21rocsparse_complex_numIdEEEviiiPT1_PKS3_S6_S4_S4_S4_S4_S4_
; %bb.0:
	s_load_dword s20, s[0:1], 0x0
	s_load_dwordx2 s[8:9], s[0:1], 0x18
	v_lshl_or_b32 v6, s2, 8, v0
	v_mov_b64_e32 v[2:3], 0
	v_mov_b64_e32 v[8:9], 0
	s_waitcnt lgkmcnt(0)
	s_lshr_b32 s14, s20, 1
	v_cmp_gt_i32_e64 s[4:5], s14, v6
	v_mov_b64_e32 v[10:11], 0
	s_and_saveexec_b64 s[6:7], s[4:5]
	s_cbranch_execz .LBB273_2
; %bb.1:
	v_ashrrev_i32_e32 v7, 31, v6
	v_lshl_add_u64 v[4:5], v[6:7], 4, s[8:9]
	global_load_dwordx4 v[8:11], v[4:5], off
.LBB273_2:
	s_or_b64 exec, exec, s[6:7]
	s_load_dwordx2 s[6:7], s[0:1], 0x20
	v_lshlrev_b32_e32 v1, 4, v0
	v_or_b32_e32 v12, 0x2000, v1
	s_waitcnt vmcnt(0)
	ds_write_b128 v1, v[8:11] offset:8192
	v_add_u32_e32 v8, s14, v6
	v_mov_b64_e32 v[4:5], 0
	s_and_saveexec_b64 s[10:11], s[4:5]
	s_cbranch_execz .LBB273_4
; %bb.3:
	v_mov_b32_e32 v9, 0
	v_lshl_add_u64 v[2:3], v[8:9], 4, s[8:9]
	global_load_dwordx4 v[2:5], v[2:3], off
.LBB273_4:
	s_or_b64 exec, exec, s[10:11]
	s_waitcnt vmcnt(0)
	ds_write_b128 v12, v[2:5] offset:4096
	v_mov_b64_e32 v[2:3], 0
	v_mov_b64_e32 v[14:15], 0
	;; [unrolled: 1-line block ×3, first 2 shown]
	s_and_saveexec_b64 s[8:9], s[4:5]
	s_cbranch_execz .LBB273_6
; %bb.5:
	v_ashrrev_i32_e32 v7, 31, v6
	s_waitcnt lgkmcnt(0)
	v_lshl_add_u64 v[4:5], v[6:7], 4, s[6:7]
	global_load_dwordx4 v[14:17], v[4:5], off
.LBB273_6:
	s_or_b64 exec, exec, s[8:9]
	s_load_dwordx2 s[16:17], s[0:1], 0x10
	v_mov_b64_e32 v[4:5], 0
	s_waitcnt vmcnt(0)
	ds_write_b128 v1, v[14:17]
	s_and_saveexec_b64 s[8:9], s[4:5]
	s_cbranch_execz .LBB273_8
; %bb.7:
	v_mov_b32_e32 v9, 0
	s_waitcnt lgkmcnt(0)
	v_lshl_add_u64 v[2:3], v[8:9], 4, s[6:7]
	global_load_dwordx4 v[2:5], v[2:3], off
.LBB273_8:
	s_or_b64 exec, exec, s[8:9]
	s_mul_i32 s20, s20, s3
	s_waitcnt vmcnt(0)
	ds_write_b128 v1, v[2:5] offset:4096
	v_mov_b64_e32 v[2:3], 0
	v_add_u32_e32 v10, s20, v6
	v_mov_b64_e32 v[14:15], 0
	v_mov_b64_e32 v[16:17], 0
	s_waitcnt lgkmcnt(0)
	s_and_saveexec_b64 s[6:7], s[4:5]
	s_cbranch_execz .LBB273_10
; %bb.9:
	v_ashrrev_i32_e32 v11, 31, v10
	v_lshl_add_u64 v[4:5], v[10:11], 4, s[16:17]
	global_load_dwordx4 v[14:17], v[4:5], off
.LBB273_10:
	s_or_b64 exec, exec, s[6:7]
	s_load_dwordx2 s[6:7], s[0:1], 0x48
	s_load_dwordx4 s[8:11], s[0:1], 0x38
	v_or_b32_e32 v11, 0x4000, v1
	v_mov_b64_e32 v[4:5], 0
	s_waitcnt vmcnt(0)
	ds_write_b128 v1, v[14:17] offset:16384
	s_and_saveexec_b64 s[12:13], s[4:5]
	s_cbranch_execz .LBB273_12
; %bb.11:
	s_add_i32 s14, s20, s14
	v_add_u32_e32 v2, s14, v6
	v_mov_b32_e32 v3, 0
	v_lshl_add_u64 v[2:3], v[2:3], 4, s[16:17]
	global_load_dwordx4 v[2:5], v[2:3], off
.LBB273_12:
	s_or_b64 exec, exec, s[12:13]
	s_load_dwordx4 s[12:15], s[0:1], 0x28
	v_add_u32_e32 v15, 0x1000, v12
	v_or_b32_e32 v14, 0x1000, v1
	v_add_u32_e32 v13, 0x1000, v11
	s_mov_b32 s21, 2
	s_waitcnt vmcnt(0)
	ds_write_b128 v11, v[2:5] offset:4096
	s_waitcnt lgkmcnt(0)
	s_barrier
	s_branch .LBB273_14
.LBB273_13:                             ;   in Loop: Header=BB273_14 Depth=1
	s_or_b64 exec, exec, s[18:19]
	s_lshl_b32 s18, s21, 1
	s_cmpk_lt_u32 s21, 0x81
	s_mov_b32 s21, s18
	s_waitcnt lgkmcnt(0)
	s_barrier
	s_cbranch_scc0 .LBB273_16
.LBB273_14:                             ; =>This Inner Loop Header: Depth=1
	s_ff1_i32_b32 s18, s21
	s_lshr_b32 s18, 0x100, s18
	v_cmp_gt_u32_e32 vcc, s18, v0
	s_and_saveexec_b64 s[18:19], vcc
	s_cbranch_execz .LBB273_13
; %bb.15:                               ;   in Loop: Header=BB273_14 Depth=1
	v_mul_lo_u32 v7, s21, v0
	s_lshr_b32 s22, s21, 1
	v_add_u32_e32 v9, s22, v7
	v_lshlrev_b32_e32 v48, 4, v9
	ds_read_b128 v[16:19], v48 offset:8192
	ds_read_b128 v[2:5], v48 offset:4080
	ds_read_b128 v[20:23], v48
	ds_read_b128 v[24:27], v48 offset:12272
	v_lshlrev_b32_e32 v7, 4, v7
	v_add_lshl_u32 v9, v9, s22, 4
	s_waitcnt lgkmcnt(2)
	v_mul_f64 v[30:31], v[4:5], v[16:17]
	v_mul_f64 v[28:29], v[4:5], -v[18:19]
	v_fmac_f64_e32 v[30:31], v[18:19], v[2:3]
	v_fmac_f64_e32 v[28:29], v[16:17], v[2:3]
	v_add_f64 v[38:39], -v[30:31], 0
	v_add_f64 v[36:37], -v[28:29], 1.0
	v_mul_f64 v[28:29], v[38:39], v[38:39]
	v_fmac_f64_e32 v[28:29], v[36:37], v[36:37]
	v_div_scale_f64 v[30:31], s[24:25], v[28:29], v[28:29], 1.0
	v_rcp_f64_e32 v[32:33], v[30:31]
	v_fma_f64 v[42:43], 0, v[38:39], v[36:37]
	v_fma_f64 v[36:37], v[36:37], 0, -v[38:39]
	v_fma_f64 v[34:35], -v[30:31], v[32:33], 1.0
	v_fmac_f64_e32 v[32:33], v[32:33], v[34:35]
	v_fma_f64 v[34:35], -v[30:31], v[32:33], 1.0
	v_fmac_f64_e32 v[32:33], v[32:33], v[34:35]
	v_div_scale_f64 v[34:35], vcc, 1.0, v[28:29], 1.0
	v_mul_f64 v[40:41], v[34:35], v[32:33]
	v_fma_f64 v[30:31], -v[30:31], v[40:41], v[34:35]
	s_nop 1
	v_div_fmas_f64 v[30:31], v[30:31], v[32:33], v[40:41]
	v_div_fixup_f64 v[40:41], v[30:31], v[28:29], 1.0
	ds_read_b128 v[28:31], v48 offset:20464
	ds_read_b128 v[32:35], v48 offset:16384
	v_mul_f64 v[46:47], v[36:37], v[40:41]
	v_mul_f64 v[44:45], v[42:43], v[40:41]
	s_waitcnt lgkmcnt(0)
	v_mul_f64 v[36:37], v[34:35], -v[4:5]
	v_mul_f64 v[38:39], v[2:3], v[34:35]
	v_fmac_f64_e32 v[36:37], v[2:3], v[32:33]
	v_fmac_f64_e32 v[38:39], v[4:5], v[32:33]
	v_add_f64 v[40:41], v[28:29], -v[36:37]
	v_add_f64 v[42:43], v[30:31], -v[38:39]
	v_mul_f64 v[36:37], v[46:47], -v[42:43]
	v_mul_f64 v[38:39], v[46:47], v[40:41]
	v_fmac_f64_e32 v[36:37], v[40:41], v[44:45]
	v_fmac_f64_e32 v[38:39], v[42:43], v[44:45]
	ds_write_b128 v48, v[36:39] offset:20464
	v_mul_f64 v[36:37], v[18:19], -v[30:31]
	v_fmac_f64_e32 v[36:37], v[28:29], v[16:17]
	v_mul_f64 v[28:29], v[18:19], v[28:29]
	v_fmac_f64_e32 v[28:29], v[30:31], v[16:17]
	v_add_f64 v[30:31], v[32:33], -v[36:37]
	v_add_f64 v[32:33], v[34:35], -v[28:29]
	v_mul_f64 v[28:29], v[46:47], -v[32:33]
	v_fmac_f64_e32 v[28:29], v[30:31], v[44:45]
	v_mul_f64 v[30:31], v[30:31], v[46:47]
	v_mul_f64 v[40:41], v[18:19], -v[26:27]
	v_mul_f64 v[18:19], v[18:19], v[24:25]
	v_fmac_f64_e32 v[30:31], v[32:33], v[44:45]
	ds_read_b128 v[32:35], v7
	v_fmac_f64_e32 v[18:19], v[26:27], v[16:17]
	v_fmac_f64_e32 v[40:41], v[24:25], v[16:17]
	v_mul_f64 v[16:17], v[46:47], v[18:19]
	v_mul_f64 v[18:19], v[18:19], -v[44:45]
	v_fma_f64 v[16:17], -v[44:45], v[40:41], v[16:17]
	v_fma_f64 v[18:19], -v[46:47], v[40:41], v[18:19]
	v_mul_f64 v[40:41], v[26:27], -v[46:47]
	v_mul_f64 v[42:43], v[44:45], v[26:27]
	v_fmac_f64_e32 v[40:41], v[44:45], v[24:25]
	v_fmac_f64_e32 v[42:43], v[46:47], v[24:25]
	ds_read_b128 v[36:39], v9 offset:12272
	ds_write_b128 v48, v[16:19] offset:8192
	ds_write_b128 v48, v[40:43] offset:12272
	ds_read_b128 v[24:27], v7 offset:8192
	s_waitcnt lgkmcnt(4)
	v_mul_f64 v[40:41], v[30:31], -v[34:35]
	v_fmac_f64_e32 v[40:41], v[32:33], v[28:29]
	v_mul_f64 v[32:33], v[30:31], v[32:33]
	v_mul_f64 v[42:43], v[2:3], v[22:23]
	ds_write_b128 v48, v[28:31] offset:16384
	v_fmac_f64_e32 v[32:33], v[34:35], v[28:29]
	v_mul_f64 v[34:35], v[22:23], -v[4:5]
	v_fmac_f64_e32 v[42:43], v[4:5], v[20:21]
	ds_read_b128 v[28:31], v7 offset:16384
	v_fmac_f64_e32 v[34:35], v[2:3], v[20:21]
	v_mul_f64 v[2:3], v[46:47], v[42:43]
	v_mul_f64 v[4:5], v[42:43], -v[44:45]
	v_fma_f64 v[2:3], -v[44:45], v[34:35], v[2:3]
	v_fma_f64 v[4:5], -v[46:47], v[34:35], v[4:5]
	ds_write_b128 v48, v[2:5] offset:4080
	v_mul_f64 v[2:3], v[22:23], -v[46:47]
	v_mul_f64 v[4:5], v[44:45], v[22:23]
	v_fmac_f64_e32 v[2:3], v[44:45], v[20:21]
	v_fmac_f64_e32 v[4:5], v[46:47], v[20:21]
	ds_write_b128 v48, v[2:5]
	ds_read_b128 v[20:23], v7
	s_waitcnt lgkmcnt(3)
	v_add_f64 v[28:29], v[28:29], -v[40:41]
	v_add_f64 v[30:31], v[30:31], -v[32:33]
	ds_write_b128 v7, v[28:31] offset:16384
	ds_read_b128 v[28:31], v48 offset:20464
	s_waitcnt lgkmcnt(2)
	v_mul_f64 v[32:33], v[4:5], v[22:23]
	v_mul_f64 v[4:5], v[4:5], -v[20:21]
	v_fma_f64 v[32:33], -v[20:21], v[2:3], v[32:33]
	v_fma_f64 v[34:35], -v[22:23], v[2:3], v[4:5]
	ds_write_b128 v7, v[32:35]
	s_waitcnt lgkmcnt(1)
	v_mul_f64 v[32:33], v[30:31], -v[38:39]
	v_fmac_f64_e32 v[32:33], v[36:37], v[28:29]
	v_mul_f64 v[34:35], v[30:31], v[36:37]
	v_mul_f64 v[36:37], v[18:19], -v[22:23]
	v_mul_f64 v[18:19], v[18:19], v[20:21]
	v_fmac_f64_e32 v[36:37], v[20:21], v[16:17]
	v_fmac_f64_e32 v[18:19], v[22:23], v[16:17]
	ds_read_b128 v[2:5], v9 offset:4080
	v_fmac_f64_e32 v[34:35], v[38:39], v[28:29]
	ds_read_b128 v[28:31], v9 offset:20464
	v_add_f64 v[16:17], v[24:25], -v[36:37]
	v_add_f64 v[18:19], v[26:27], -v[18:19]
	ds_write_b128 v7, v[16:19] offset:8192
	ds_read_b128 v[16:19], v9 offset:12272
	ds_read_b128 v[20:23], v48 offset:4080
	s_waitcnt lgkmcnt(3)
	v_add_f64 v[24:25], v[28:29], -v[32:33]
	v_add_f64 v[26:27], v[30:31], -v[34:35]
	ds_write_b128 v9, v[24:27] offset:20464
	ds_read_b128 v[24:27], v48 offset:12272
	s_waitcnt lgkmcnt(2)
	v_mul_f64 v[28:29], v[18:19], -v[22:23]
	v_fmac_f64_e32 v[28:29], v[20:21], v[16:17]
	v_mul_f64 v[20:21], v[18:19], v[20:21]
	v_fmac_f64_e32 v[20:21], v[22:23], v[16:17]
	v_add_f64 v[2:3], v[2:3], -v[28:29]
	v_add_f64 v[4:5], v[4:5], -v[20:21]
	ds_write_b128 v9, v[2:5] offset:4080
	s_waitcnt lgkmcnt(1)
	v_mul_f64 v[2:3], v[18:19], v[26:27]
	v_mul_f64 v[4:5], v[26:27], -v[16:17]
	v_fma_f64 v[2:3], -v[16:17], v[24:25], v[2:3]
	v_fma_f64 v[4:5], -v[18:19], v[24:25], v[4:5]
	ds_write_b128 v9, v[2:5] offset:12272
	s_branch .LBB273_13
.LBB273_16:
	s_and_saveexec_b64 s[18:19], s[4:5]
	s_cbranch_execnz .LBB273_19
; %bb.17:
	s_or_b64 exec, exec, s[18:19]
	v_cmp_eq_u32_e32 vcc, 0, v0
	s_and_saveexec_b64 s[4:5], vcc
	s_cbranch_execnz .LBB273_22
.LBB273_18:
	s_endpgm
.LBB273_19:
	s_cmp_lg_u32 s3, 0
	s_cbranch_scc1 .LBB273_21
; %bb.20:
	v_mov_b32_e32 v9, 0
	v_lshlrev_b64 v[2:3], 4, v[8:9]
	v_lshl_add_u64 v[28:29], s[14:15], 0, v[2:3]
	v_lshl_add_u64 v[32:33], s[12:13], 0, v[2:3]
	ds_read2_b64 v[2:5], v12 offset1:1
	ds_read2_b64 v[16:19], v15 offset1:1
	;; [unrolled: 1-line block ×4, first 2 shown]
	v_ashrrev_i32_e32 v7, 31, v6
	v_lshlrev_b64 v[6:7], 4, v[6:7]
	v_lshl_add_u64 v[30:31], s[14:15], 0, v[6:7]
	v_lshl_add_u64 v[6:7], s[12:13], 0, v[6:7]
	s_waitcnt lgkmcnt(3)
	global_store_dwordx4 v[6:7], v[2:5], off
	s_waitcnt lgkmcnt(2)
	global_store_dwordx4 v[32:33], v[16:19], off
	;; [unrolled: 2-line block ×4, first 2 shown]
.LBB273_21:
	ds_read2_b64 v[2:5], v11 offset1:1
	v_add_u32_e32 v12, s20, v8
	ds_read2_b64 v[6:9], v13 offset1:1
	v_ashrrev_i32_e32 v11, 31, v10
	v_lshl_add_u64 v[10:11], v[10:11], 4, s[16:17]
	v_mov_b32_e32 v13, 0
	s_waitcnt lgkmcnt(1)
	global_store_dwordx4 v[10:11], v[2:5], off
	s_nop 1
	v_lshl_add_u64 v[2:3], v[12:13], 4, s[16:17]
	s_waitcnt lgkmcnt(0)
	global_store_dwordx4 v[2:3], v[6:9], off
	s_or_b64 exec, exec, s[18:19]
	v_cmp_eq_u32_e32 vcc, 0, v0
	s_and_saveexec_b64 s[4:5], vcc
	s_cbranch_execz .LBB273_18
.LBB273_22:
	s_cmp_eq_u32 s3, 0
	s_cbranch_scc1 .LBB273_26
; %bb.23:
	s_load_dword s12, s[0:1], 0x50
	s_cbranch_execnz .LBB273_25
.LBB273_24:
	v_mov_b32_e32 v8, 0
	ds_read_b128 v[0:3], v8 offset:8192
	ds_read_b128 v[4:7], v8 offset:16368
	s_waitcnt lgkmcnt(0)
	s_load_dword s12, s[0:1], 0x50
	s_mov_b32 s4, s3
	s_ashr_i32 s3, s2, 31
	s_lshl_b64 s[14:15], s[2:3], 4
	s_add_u32 s0, s10, s14
	s_addc_u32 s1, s11, s15
	global_store_dwordx4 v8, v[0:3], s[0:1]
	s_waitcnt lgkmcnt(0)
	s_add_i32 s0, s12, s2
	s_mov_b32 s1, 0
	s_lshl_b64 s[0:1], s[0:1], 4
	s_mov_b32 s3, s4
	s_add_u32 s4, s10, s0
	s_addc_u32 s5, s11, s1
	ds_read_b128 v[0:3], v8
	global_store_dwordx4 v8, v[4:7], s[4:5]
	ds_read_b128 v[4:7], v8 offset:8176
	s_add_u32 s4, s6, s14
	s_addc_u32 s5, s7, s15
	s_add_u32 s0, s6, s0
	s_addc_u32 s1, s7, s1
	s_waitcnt lgkmcnt(1)
	global_store_dwordx4 v8, v[0:3], s[4:5]
	s_waitcnt lgkmcnt(0)
	global_store_dwordx4 v8, v[4:7], s[0:1]
.LBB273_25:
	s_waitcnt lgkmcnt(0)
	s_mul_i32 s0, s12, s3
	s_lshl_b32 s0, s0, 1
	s_add_i32 s0, s0, s2
	s_mov_b32 s1, 0
	v_mov_b32_e32 v8, 0
	s_lshl_b64 s[2:3], s[0:1], 4
	ds_read_b128 v[0:3], v8 offset:16384
	ds_read_b128 v[4:7], v8 offset:24560
	s_add_u32 s2, s8, s2
	s_addc_u32 s3, s9, s3
	s_add_i32 s0, s0, s12
	s_lshl_b64 s[0:1], s[0:1], 4
	s_add_u32 s0, s8, s0
	s_addc_u32 s1, s9, s1
	s_waitcnt lgkmcnt(1)
	global_store_dwordx4 v8, v[0:3], s[2:3]
	s_waitcnt lgkmcnt(0)
	global_store_dwordx4 v8, v[4:7], s[0:1]
	s_endpgm
.LBB273_26:
                                        ; implicit-def: $sgpr12
	s_branch .LBB273_24
	.section	.rodata,"a",@progbits
	.p2align	6, 0x0
	.amdhsa_kernel _ZN9rocsparseL29gtsv_spike_block_level_kernelILj256ELj2E21rocsparse_complex_numIdEEEviiiPT1_PKS3_S6_S4_S4_S4_S4_S4_
		.amdhsa_group_segment_fixed_size 24576
		.amdhsa_private_segment_fixed_size 0
		.amdhsa_kernarg_size 336
		.amdhsa_user_sgpr_count 2
		.amdhsa_user_sgpr_dispatch_ptr 0
		.amdhsa_user_sgpr_queue_ptr 0
		.amdhsa_user_sgpr_kernarg_segment_ptr 1
		.amdhsa_user_sgpr_dispatch_id 0
		.amdhsa_user_sgpr_kernarg_preload_length 0
		.amdhsa_user_sgpr_kernarg_preload_offset 0
		.amdhsa_user_sgpr_private_segment_size 0
		.amdhsa_uses_dynamic_stack 0
		.amdhsa_enable_private_segment 0
		.amdhsa_system_sgpr_workgroup_id_x 1
		.amdhsa_system_sgpr_workgroup_id_y 1
		.amdhsa_system_sgpr_workgroup_id_z 0
		.amdhsa_system_sgpr_workgroup_info 0
		.amdhsa_system_vgpr_workitem_id 0
		.amdhsa_next_free_vgpr 73
		.amdhsa_next_free_sgpr 91
		.amdhsa_accum_offset 52
		.amdhsa_reserve_vcc 1
		.amdhsa_float_round_mode_32 0
		.amdhsa_float_round_mode_16_64 0
		.amdhsa_float_denorm_mode_32 3
		.amdhsa_float_denorm_mode_16_64 3
		.amdhsa_dx10_clamp 1
		.amdhsa_ieee_mode 1
		.amdhsa_fp16_overflow 0
		.amdhsa_tg_split 0
		.amdhsa_exception_fp_ieee_invalid_op 0
		.amdhsa_exception_fp_denorm_src 0
		.amdhsa_exception_fp_ieee_div_zero 0
		.amdhsa_exception_fp_ieee_overflow 0
		.amdhsa_exception_fp_ieee_underflow 0
		.amdhsa_exception_fp_ieee_inexact 0
		.amdhsa_exception_int_div_zero 0
	.end_amdhsa_kernel
	.section	.text._ZN9rocsparseL29gtsv_spike_block_level_kernelILj256ELj2E21rocsparse_complex_numIdEEEviiiPT1_PKS3_S6_S4_S4_S4_S4_S4_,"axG",@progbits,_ZN9rocsparseL29gtsv_spike_block_level_kernelILj256ELj2E21rocsparse_complex_numIdEEEviiiPT1_PKS3_S6_S4_S4_S4_S4_S4_,comdat
.Lfunc_end273:
	.size	_ZN9rocsparseL29gtsv_spike_block_level_kernelILj256ELj2E21rocsparse_complex_numIdEEEviiiPT1_PKS3_S6_S4_S4_S4_S4_S4_, .Lfunc_end273-_ZN9rocsparseL29gtsv_spike_block_level_kernelILj256ELj2E21rocsparse_complex_numIdEEEviiiPT1_PKS3_S6_S4_S4_S4_S4_S4_
                                        ; -- End function
	.set _ZN9rocsparseL29gtsv_spike_block_level_kernelILj256ELj2E21rocsparse_complex_numIdEEEviiiPT1_PKS3_S6_S4_S4_S4_S4_S4_.num_vgpr, 49
	.set _ZN9rocsparseL29gtsv_spike_block_level_kernelILj256ELj2E21rocsparse_complex_numIdEEEviiiPT1_PKS3_S6_S4_S4_S4_S4_S4_.num_agpr, 0
	.set _ZN9rocsparseL29gtsv_spike_block_level_kernelILj256ELj2E21rocsparse_complex_numIdEEEviiiPT1_PKS3_S6_S4_S4_S4_S4_S4_.numbered_sgpr, 26
	.set _ZN9rocsparseL29gtsv_spike_block_level_kernelILj256ELj2E21rocsparse_complex_numIdEEEviiiPT1_PKS3_S6_S4_S4_S4_S4_S4_.num_named_barrier, 0
	.set _ZN9rocsparseL29gtsv_spike_block_level_kernelILj256ELj2E21rocsparse_complex_numIdEEEviiiPT1_PKS3_S6_S4_S4_S4_S4_S4_.private_seg_size, 0
	.set _ZN9rocsparseL29gtsv_spike_block_level_kernelILj256ELj2E21rocsparse_complex_numIdEEEviiiPT1_PKS3_S6_S4_S4_S4_S4_S4_.uses_vcc, 1
	.set _ZN9rocsparseL29gtsv_spike_block_level_kernelILj256ELj2E21rocsparse_complex_numIdEEEviiiPT1_PKS3_S6_S4_S4_S4_S4_S4_.uses_flat_scratch, 0
	.set _ZN9rocsparseL29gtsv_spike_block_level_kernelILj256ELj2E21rocsparse_complex_numIdEEEviiiPT1_PKS3_S6_S4_S4_S4_S4_S4_.has_dyn_sized_stack, 0
	.set _ZN9rocsparseL29gtsv_spike_block_level_kernelILj256ELj2E21rocsparse_complex_numIdEEEviiiPT1_PKS3_S6_S4_S4_S4_S4_S4_.has_recursion, 0
	.set _ZN9rocsparseL29gtsv_spike_block_level_kernelILj256ELj2E21rocsparse_complex_numIdEEEviiiPT1_PKS3_S6_S4_S4_S4_S4_S4_.has_indirect_call, 0
	.section	.AMDGPU.csdata,"",@progbits
; Kernel info:
; codeLenInByte = 2048
; TotalNumSgprs: 32
; NumVgprs: 49
; NumAgprs: 0
; TotalNumVgprs: 49
; ScratchSize: 0
; MemoryBound: 1
; FloatMode: 240
; IeeeMode: 1
; LDSByteSize: 24576 bytes/workgroup (compile time only)
; SGPRBlocks: 12
; VGPRBlocks: 9
; NumSGPRsForWavesPerEU: 97
; NumVGPRsForWavesPerEU: 73
; AccumOffset: 52
; Occupancy: 6
; WaveLimiterHint : 0
; COMPUTE_PGM_RSRC2:SCRATCH_EN: 0
; COMPUTE_PGM_RSRC2:USER_SGPR: 2
; COMPUTE_PGM_RSRC2:TRAP_HANDLER: 0
; COMPUTE_PGM_RSRC2:TGID_X_EN: 1
; COMPUTE_PGM_RSRC2:TGID_Y_EN: 1
; COMPUTE_PGM_RSRC2:TGID_Z_EN: 0
; COMPUTE_PGM_RSRC2:TIDIG_COMP_CNT: 0
; COMPUTE_PGM_RSRC3_GFX90A:ACCUM_OFFSET: 12
; COMPUTE_PGM_RSRC3_GFX90A:TG_SPLIT: 0
	.section	.text._ZN9rocsparseL34gtsv_solve_spike_grid_level_kernelILj2E21rocsparse_complex_numIdEEEviiiPT0_PKS3_S6_,"axG",@progbits,_ZN9rocsparseL34gtsv_solve_spike_grid_level_kernelILj2E21rocsparse_complex_numIdEEEviiiPT0_PKS3_S6_,comdat
	.globl	_ZN9rocsparseL34gtsv_solve_spike_grid_level_kernelILj2E21rocsparse_complex_numIdEEEviiiPT0_PKS3_S6_ ; -- Begin function _ZN9rocsparseL34gtsv_solve_spike_grid_level_kernelILj2E21rocsparse_complex_numIdEEEviiiPT0_PKS3_S6_
	.p2align	8
	.type	_ZN9rocsparseL34gtsv_solve_spike_grid_level_kernelILj2E21rocsparse_complex_numIdEEEviiiPT0_PKS3_S6_,@function
_ZN9rocsparseL34gtsv_solve_spike_grid_level_kernelILj2E21rocsparse_complex_numIdEEEviiiPT0_PKS3_S6_: ; @_ZN9rocsparseL34gtsv_solve_spike_grid_level_kernelILj2E21rocsparse_complex_numIdEEEviiiPT0_PKS3_S6_
; %bb.0:
	s_load_dwordx4 s[4:7], s[0:1], 0x10
	s_load_dwordx2 s[8:9], s[0:1], 0x20
	v_lshl_or_b32 v10, s3, 2, v0
	v_mov_b32_e32 v11, 0
	v_lshlrev_b32_e32 v1, 4, v0
	s_waitcnt lgkmcnt(0)
	v_lshl_add_u64 v[8:9], v[10:11], 4, s[4:5]
	v_or_b32_e32 v10, 2, v10
	global_load_dwordx4 v[2:5], v1, s[6:7]
	global_load_dwordx4 v[16:19], v1, s[6:7] offset:32
	global_load_dwordx4 v[20:23], v1, s[8:9]
	global_load_dwordx4 v[24:27], v1, s[8:9] offset:32
	v_lshl_add_u64 v[12:13], v[10:11], 4, s[4:5]
	global_load_dwordx4 v[28:31], v[8:9], off
	global_load_dwordx4 v[32:35], v[12:13], off
	v_or_b32_e32 v14, 0x80, v1
	v_or_b32_e32 v10, 0xa0, v1
	v_cmp_eq_u32_e32 vcc, 0, v0
	s_waitcnt vmcnt(5)
	ds_write2_b64 v1, v[2:3], v[4:5] offset0:8 offset1:9
	s_waitcnt vmcnt(4)
	ds_write2_b64 v1, v[16:17], v[18:19] offset0:12 offset1:13
	s_waitcnt vmcnt(3)
	ds_write2_b64 v1, v[20:21], v[22:23] offset1:1
	s_waitcnt vmcnt(2)
	ds_write2_b64 v1, v[24:25], v[26:27] offset0:4 offset1:5
	s_waitcnt vmcnt(1)
	ds_write2_b64 v1, v[28:29], v[30:31] offset0:16 offset1:17
	;; [unrolled: 2-line block ×3, first 2 shown]
	s_waitcnt lgkmcnt(0)
	; wave barrier
	s_and_saveexec_b64 s[0:1], vcc
	s_cbranch_execz .LBB274_2
; %bb.1:
	ds_read_b128 v[4:7], v11 offset:32
	ds_read_b128 v[0:3], v11 offset:80
	ds_read_b128 v[16:19], v11 offset:64
	ds_read_b128 v[20:23], v11 offset:48
	s_waitcnt lgkmcnt(2)
	v_mul_f64 v[26:27], v[6:7], v[0:1]
	v_mul_f64 v[24:25], v[6:7], -v[2:3]
	v_fmac_f64_e32 v[26:27], v[2:3], v[4:5]
	v_fmac_f64_e32 v[24:25], v[0:1], v[4:5]
	v_add_f64 v[38:39], -v[26:27], 0
	v_add_f64 v[36:37], -v[24:25], 1.0
	v_mul_f64 v[32:33], v[38:39], v[38:39]
	v_fmac_f64_e32 v[32:33], v[36:37], v[36:37]
	v_div_scale_f64 v[34:35], s[2:3], v[32:33], v[32:33], 1.0
	v_rcp_f64_e32 v[40:41], v[34:35]
	ds_read_b128 v[24:27], v11
	ds_read_b128 v[28:31], v11 offset:16
	v_fma_f64 v[42:43], -v[34:35], v[40:41], 1.0
	v_fmac_f64_e32 v[40:41], v[40:41], v[42:43]
	v_fma_f64 v[42:43], -v[34:35], v[40:41], 1.0
	v_fmac_f64_e32 v[40:41], v[40:41], v[42:43]
	v_div_scale_f64 v[42:43], vcc, 1.0, v[32:33], 1.0
	v_mul_f64 v[44:45], v[42:43], v[40:41]
	v_fma_f64 v[34:35], -v[34:35], v[44:45], v[42:43]
	s_nop 1
	v_div_fmas_f64 v[34:35], v[34:35], v[40:41], v[44:45]
	v_div_fixup_f64 v[40:41], v[34:35], v[32:33], 1.0
	v_fma_f64 v[32:33], 0, v[38:39], v[36:37]
	v_mul_f64 v[52:53], v[32:33], v[40:41]
	ds_read_b128 v[32:35], v11 offset:144
	v_fma_f64 v[36:37], v[36:37], 0, -v[38:39]
	v_mul_f64 v[54:55], v[36:37], v[40:41]
	ds_read_b128 v[36:39], v11 offset:160
	ds_read_b128 v[40:43], v11 offset:128
	;; [unrolled: 1-line block ×3, first 2 shown]
	s_waitcnt lgkmcnt(3)
	v_mul_f64 v[50:51], v[4:5], v[34:35]
	v_mul_f64 v[48:49], v[34:35], -v[6:7]
	v_fmac_f64_e32 v[50:51], v[6:7], v[32:33]
	v_fmac_f64_e32 v[48:49], v[4:5], v[32:33]
	s_waitcnt lgkmcnt(2)
	v_add_f64 v[58:59], v[38:39], -v[50:51]
	v_add_f64 v[56:57], v[36:37], -v[48:49]
	v_mul_f64 v[48:49], v[54:55], -v[58:59]
	v_fmac_f64_e32 v[48:49], v[56:57], v[52:53]
	v_mul_f64 v[50:51], v[54:55], v[56:57]
	v_mul_f64 v[56:57], v[2:3], -v[38:39]
	v_fmac_f64_e32 v[56:57], v[36:37], v[0:1]
	v_mul_f64 v[36:37], v[36:37], v[2:3]
	v_fmac_f64_e32 v[36:37], v[38:39], v[0:1]
	v_add_f64 v[38:39], v[32:33], -v[56:57]
	v_add_f64 v[36:37], v[34:35], -v[36:37]
	v_mul_f64 v[34:35], v[54:55], v[38:39]
	v_mul_f64 v[32:33], v[54:55], -v[36:37]
	v_fmac_f64_e32 v[34:35], v[36:37], v[52:53]
	v_fmac_f64_e32 v[32:33], v[38:39], v[52:53]
	v_mul_f64 v[36:37], v[34:35], -v[26:27]
	v_mul_f64 v[38:39], v[24:25], v[34:35]
	ds_write_b128 v11, v[32:35] offset:144
	v_fmac_f64_e32 v[36:37], v[24:25], v[32:33]
	v_fmac_f64_e32 v[38:39], v[26:27], v[32:33]
	ds_read_b128 v[32:35], v11 offset:112
	v_fmac_f64_e32 v[50:51], v[58:59], v[52:53]
	s_waitcnt lgkmcnt(3)
	v_add_f64 v[36:37], v[40:41], -v[36:37]
	v_add_f64 v[38:39], v[42:43], -v[38:39]
	ds_write_b128 v11, v[36:39] offset:128
	ds_read_b128 v[36:39], v11 offset:96
	s_waitcnt lgkmcnt(2)
	v_mul_f64 v[40:41], v[50:51], -v[34:35]
	v_mul_f64 v[42:43], v[50:51], v[32:33]
	v_fmac_f64_e32 v[40:41], v[32:33], v[48:49]
	v_fmac_f64_e32 v[42:43], v[34:35], v[48:49]
	v_add_f64 v[40:41], v[44:45], -v[40:41]
	v_add_f64 v[42:43], v[46:47], -v[42:43]
	ds_write_b128 v11, v[40:43] offset:176
	v_mul_f64 v[42:43], v[4:5], v[30:31]
	v_mul_f64 v[40:41], v[30:31], -v[6:7]
	v_fmac_f64_e32 v[42:43], v[6:7], v[28:29]
	v_fmac_f64_e32 v[40:41], v[4:5], v[28:29]
	v_mul_f64 v[4:5], v[54:55], v[42:43]
	v_mul_f64 v[6:7], v[42:43], -v[52:53]
	v_fma_f64 v[4:5], -v[52:53], v[40:41], v[4:5]
	v_fma_f64 v[6:7], -v[54:55], v[40:41], v[6:7]
	v_mul_f64 v[40:41], v[30:31], -v[54:55]
	v_mul_f64 v[42:43], v[52:53], v[30:31]
	v_fmac_f64_e32 v[40:41], v[52:53], v[28:29]
	v_fmac_f64_e32 v[42:43], v[54:55], v[28:29]
	s_waitcnt lgkmcnt(1)
	v_mul_f64 v[28:29], v[2:3], -v[38:39]
	v_mul_f64 v[2:3], v[2:3], v[36:37]
	v_fmac_f64_e32 v[2:3], v[38:39], v[0:1]
	v_fmac_f64_e32 v[28:29], v[36:37], v[0:1]
	v_mul_f64 v[0:1], v[54:55], v[2:3]
	v_mul_f64 v[2:3], v[2:3], -v[52:53]
	v_fma_f64 v[0:1], -v[52:53], v[28:29], v[0:1]
	v_fma_f64 v[2:3], -v[54:55], v[28:29], v[2:3]
	v_mul_f64 v[28:29], v[38:39], -v[54:55]
	v_mul_f64 v[30:31], v[52:53], v[38:39]
	ds_write_b128 v11, v[0:3] offset:80
	v_fmac_f64_e32 v[28:29], v[52:53], v[36:37]
	v_fmac_f64_e32 v[30:31], v[54:55], v[36:37]
	v_mul_f64 v[36:37], v[2:3], -v[26:27]
	v_mul_f64 v[2:3], v[24:25], v[2:3]
	v_fmac_f64_e32 v[36:37], v[24:25], v[0:1]
	v_fmac_f64_e32 v[2:3], v[26:27], v[0:1]
	v_add_f64 v[0:1], v[16:17], -v[36:37]
	v_add_f64 v[2:3], v[18:19], -v[2:3]
	ds_write_b128 v11, v[0:3] offset:64
	v_mul_f64 v[0:1], v[26:27], v[42:43]
	v_mul_f64 v[2:3], v[42:43], -v[24:25]
	v_fma_f64 v[0:1], -v[24:25], v[40:41], v[0:1]
	v_fma_f64 v[2:3], -v[26:27], v[40:41], v[2:3]
	ds_write_b128 v11, v[0:3]
	v_mul_f64 v[0:1], v[34:35], -v[6:7]
	v_mul_f64 v[2:3], v[4:5], v[34:35]
	v_fmac_f64_e32 v[0:1], v[4:5], v[32:33]
	v_fmac_f64_e32 v[2:3], v[6:7], v[32:33]
	v_add_f64 v[0:1], v[20:21], -v[0:1]
	v_add_f64 v[2:3], v[22:23], -v[2:3]
	ds_write_b128 v11, v[0:3] offset:48
	v_mul_f64 v[0:1], v[34:35], v[30:31]
	v_mul_f64 v[2:3], v[30:31], -v[32:33]
	v_fma_f64 v[0:1], -v[32:33], v[28:29], v[0:1]
	v_fma_f64 v[2:3], -v[34:35], v[28:29], v[2:3]
	ds_write_b128 v11, v[48:51] offset:160
	ds_write_b128 v11, v[4:7] offset:32
	ds_write_b128 v11, v[40:43] offset:16
	ds_write_b128 v11, v[28:31] offset:96
	ds_write_b128 v11, v[0:3] offset:112
.LBB274_2:
	s_or_b64 exec, exec, s[0:1]
	s_waitcnt lgkmcnt(0)
	; wave barrier
	ds_read2_b64 v[0:3], v14 offset1:1
	ds_read2_b64 v[4:7], v10 offset1:1
	s_waitcnt lgkmcnt(1)
	global_store_dwordx4 v[8:9], v[0:3], off
	s_waitcnt lgkmcnt(0)
	global_store_dwordx4 v[12:13], v[4:7], off
	s_endpgm
	.section	.rodata,"a",@progbits
	.p2align	6, 0x0
	.amdhsa_kernel _ZN9rocsparseL34gtsv_solve_spike_grid_level_kernelILj2E21rocsparse_complex_numIdEEEviiiPT0_PKS3_S6_
		.amdhsa_group_segment_fixed_size 192
		.amdhsa_private_segment_fixed_size 0
		.amdhsa_kernarg_size 40
		.amdhsa_user_sgpr_count 2
		.amdhsa_user_sgpr_dispatch_ptr 0
		.amdhsa_user_sgpr_queue_ptr 0
		.amdhsa_user_sgpr_kernarg_segment_ptr 1
		.amdhsa_user_sgpr_dispatch_id 0
		.amdhsa_user_sgpr_kernarg_preload_length 0
		.amdhsa_user_sgpr_kernarg_preload_offset 0
		.amdhsa_user_sgpr_private_segment_size 0
		.amdhsa_uses_dynamic_stack 0
		.amdhsa_enable_private_segment 0
		.amdhsa_system_sgpr_workgroup_id_x 1
		.amdhsa_system_sgpr_workgroup_id_y 1
		.amdhsa_system_sgpr_workgroup_id_z 0
		.amdhsa_system_sgpr_workgroup_info 0
		.amdhsa_system_vgpr_workitem_id 0
		.amdhsa_next_free_vgpr 60
		.amdhsa_next_free_sgpr 10
		.amdhsa_accum_offset 60
		.amdhsa_reserve_vcc 1
		.amdhsa_float_round_mode_32 0
		.amdhsa_float_round_mode_16_64 0
		.amdhsa_float_denorm_mode_32 3
		.amdhsa_float_denorm_mode_16_64 3
		.amdhsa_dx10_clamp 1
		.amdhsa_ieee_mode 1
		.amdhsa_fp16_overflow 0
		.amdhsa_tg_split 0
		.amdhsa_exception_fp_ieee_invalid_op 0
		.amdhsa_exception_fp_denorm_src 0
		.amdhsa_exception_fp_ieee_div_zero 0
		.amdhsa_exception_fp_ieee_overflow 0
		.amdhsa_exception_fp_ieee_underflow 0
		.amdhsa_exception_fp_ieee_inexact 0
		.amdhsa_exception_int_div_zero 0
	.end_amdhsa_kernel
	.section	.text._ZN9rocsparseL34gtsv_solve_spike_grid_level_kernelILj2E21rocsparse_complex_numIdEEEviiiPT0_PKS3_S6_,"axG",@progbits,_ZN9rocsparseL34gtsv_solve_spike_grid_level_kernelILj2E21rocsparse_complex_numIdEEEviiiPT0_PKS3_S6_,comdat
.Lfunc_end274:
	.size	_ZN9rocsparseL34gtsv_solve_spike_grid_level_kernelILj2E21rocsparse_complex_numIdEEEviiiPT0_PKS3_S6_, .Lfunc_end274-_ZN9rocsparseL34gtsv_solve_spike_grid_level_kernelILj2E21rocsparse_complex_numIdEEEviiiPT0_PKS3_S6_
                                        ; -- End function
	.set _ZN9rocsparseL34gtsv_solve_spike_grid_level_kernelILj2E21rocsparse_complex_numIdEEEviiiPT0_PKS3_S6_.num_vgpr, 60
	.set _ZN9rocsparseL34gtsv_solve_spike_grid_level_kernelILj2E21rocsparse_complex_numIdEEEviiiPT0_PKS3_S6_.num_agpr, 0
	.set _ZN9rocsparseL34gtsv_solve_spike_grid_level_kernelILj2E21rocsparse_complex_numIdEEEviiiPT0_PKS3_S6_.numbered_sgpr, 10
	.set _ZN9rocsparseL34gtsv_solve_spike_grid_level_kernelILj2E21rocsparse_complex_numIdEEEviiiPT0_PKS3_S6_.num_named_barrier, 0
	.set _ZN9rocsparseL34gtsv_solve_spike_grid_level_kernelILj2E21rocsparse_complex_numIdEEEviiiPT0_PKS3_S6_.private_seg_size, 0
	.set _ZN9rocsparseL34gtsv_solve_spike_grid_level_kernelILj2E21rocsparse_complex_numIdEEEviiiPT0_PKS3_S6_.uses_vcc, 1
	.set _ZN9rocsparseL34gtsv_solve_spike_grid_level_kernelILj2E21rocsparse_complex_numIdEEEviiiPT0_PKS3_S6_.uses_flat_scratch, 0
	.set _ZN9rocsparseL34gtsv_solve_spike_grid_level_kernelILj2E21rocsparse_complex_numIdEEEviiiPT0_PKS3_S6_.has_dyn_sized_stack, 0
	.set _ZN9rocsparseL34gtsv_solve_spike_grid_level_kernelILj2E21rocsparse_complex_numIdEEEviiiPT0_PKS3_S6_.has_recursion, 0
	.set _ZN9rocsparseL34gtsv_solve_spike_grid_level_kernelILj2E21rocsparse_complex_numIdEEEviiiPT0_PKS3_S6_.has_indirect_call, 0
	.section	.AMDGPU.csdata,"",@progbits
; Kernel info:
; codeLenInByte = 1152
; TotalNumSgprs: 16
; NumVgprs: 60
; NumAgprs: 0
; TotalNumVgprs: 60
; ScratchSize: 0
; MemoryBound: 0
; FloatMode: 240
; IeeeMode: 1
; LDSByteSize: 192 bytes/workgroup (compile time only)
; SGPRBlocks: 1
; VGPRBlocks: 7
; NumSGPRsForWavesPerEU: 16
; NumVGPRsForWavesPerEU: 60
; AccumOffset: 60
; Occupancy: 8
; WaveLimiterHint : 0
; COMPUTE_PGM_RSRC2:SCRATCH_EN: 0
; COMPUTE_PGM_RSRC2:USER_SGPR: 2
; COMPUTE_PGM_RSRC2:TRAP_HANDLER: 0
; COMPUTE_PGM_RSRC2:TGID_X_EN: 1
; COMPUTE_PGM_RSRC2:TGID_Y_EN: 1
; COMPUTE_PGM_RSRC2:TGID_Z_EN: 0
; COMPUTE_PGM_RSRC2:TIDIG_COMP_CNT: 0
; COMPUTE_PGM_RSRC3_GFX90A:ACCUM_OFFSET: 14
; COMPUTE_PGM_RSRC3_GFX90A:TG_SPLIT: 0
	.section	.text._ZN9rocsparseL34gtsv_solve_spike_grid_level_kernelILj4E21rocsparse_complex_numIdEEEviiiPT0_PKS3_S6_,"axG",@progbits,_ZN9rocsparseL34gtsv_solve_spike_grid_level_kernelILj4E21rocsparse_complex_numIdEEEviiiPT0_PKS3_S6_,comdat
	.globl	_ZN9rocsparseL34gtsv_solve_spike_grid_level_kernelILj4E21rocsparse_complex_numIdEEEviiiPT0_PKS3_S6_ ; -- Begin function _ZN9rocsparseL34gtsv_solve_spike_grid_level_kernelILj4E21rocsparse_complex_numIdEEEviiiPT0_PKS3_S6_
	.p2align	8
	.type	_ZN9rocsparseL34gtsv_solve_spike_grid_level_kernelILj4E21rocsparse_complex_numIdEEEviiiPT0_PKS3_S6_,@function
_ZN9rocsparseL34gtsv_solve_spike_grid_level_kernelILj4E21rocsparse_complex_numIdEEEviiiPT0_PKS3_S6_: ; @_ZN9rocsparseL34gtsv_solve_spike_grid_level_kernelILj4E21rocsparse_complex_numIdEEEviiiPT0_PKS3_S6_
; %bb.0:
	s_load_dwordx4 s[4:7], s[0:1], 0x10
	s_load_dwordx2 s[8:9], s[0:1], 0x20
	v_lshl_or_b32 v12, s3, 3, v0
	v_mov_b32_e32 v13, 0
	v_lshlrev_b32_e32 v14, 4, v0
	s_waitcnt lgkmcnt(0)
	v_lshl_add_u64 v[10:11], v[12:13], 4, s[4:5]
	v_or_b32_e32 v12, 4, v12
	global_load_dwordx4 v[2:5], v14, s[6:7]
	global_load_dwordx4 v[6:9], v14, s[6:7] offset:64
	global_load_dwordx4 v[16:19], v14, s[8:9]
	global_load_dwordx4 v[20:23], v14, s[8:9] offset:64
	v_lshl_add_u64 v[12:13], v[12:13], 4, s[4:5]
	global_load_dwordx4 v[24:27], v[10:11], off
	global_load_dwordx4 v[28:31], v[12:13], off
	v_or_b32_e32 v1, 0x100, v14
	v_cmp_gt_u32_e64 s[0:1], 2, v0
	s_waitcnt vmcnt(5)
	ds_write2_b64 v14, v[2:3], v[4:5] offset0:16 offset1:17
	s_waitcnt vmcnt(4)
	ds_write2_b64 v14, v[6:7], v[8:9] offset0:24 offset1:25
	s_waitcnt vmcnt(3)
	ds_write2_b64 v14, v[16:17], v[18:19] offset1:1
	s_waitcnt vmcnt(2)
	ds_write2_b64 v14, v[20:21], v[22:23] offset0:8 offset1:9
	s_waitcnt vmcnt(1)
	ds_write2_b64 v14, v[24:25], v[26:27] offset0:32 offset1:33
	;; [unrolled: 2-line block ×3, first 2 shown]
	s_waitcnt lgkmcnt(0)
	; wave barrier
	s_and_saveexec_b64 s[2:3], s[0:1]
	s_cbranch_execz .LBB275_2
; %bb.1:
	v_or_b32_e32 v2, 0x80, v14
	v_add_u32_e32 v15, v2, v14
	v_add_u32_e32 v60, v14, v14
	ds_read_b128 v[2:5], v15 offset:16
	ds_read_b128 v[6:9], v60 offset:64
	;; [unrolled: 1-line block ×3, first 2 shown]
	ds_read_b128 v[20:23], v15
	v_add_u32_e32 v61, v1, v14
	s_waitcnt lgkmcnt(2)
	v_mul_f64 v[26:27], v[8:9], v[2:3]
	v_mul_f64 v[24:25], v[8:9], -v[4:5]
	v_fmac_f64_e32 v[26:27], v[4:5], v[6:7]
	v_fmac_f64_e32 v[24:25], v[2:3], v[6:7]
	v_add_f64 v[34:35], -v[26:27], 0
	v_add_f64 v[32:33], -v[24:25], 1.0
	v_mul_f64 v[24:25], v[34:35], v[34:35]
	v_fmac_f64_e32 v[24:25], v[32:33], v[32:33]
	v_div_scale_f64 v[26:27], s[4:5], v[24:25], v[24:25], 1.0
	v_rcp_f64_e32 v[28:29], v[26:27]
	v_fma_f64 v[38:39], 0, v[34:35], v[32:33]
	v_fma_f64 v[32:33], v[32:33], 0, -v[34:35]
	v_fma_f64 v[30:31], -v[26:27], v[28:29], 1.0
	v_fmac_f64_e32 v[28:29], v[28:29], v[30:31]
	v_fma_f64 v[30:31], -v[26:27], v[28:29], 1.0
	v_fmac_f64_e32 v[28:29], v[28:29], v[30:31]
	v_div_scale_f64 v[30:31], vcc, 1.0, v[24:25], 1.0
	v_mul_f64 v[36:37], v[30:31], v[28:29]
	v_fma_f64 v[26:27], -v[26:27], v[36:37], v[30:31]
	s_nop 1
	v_div_fmas_f64 v[26:27], v[26:27], v[28:29], v[36:37]
	v_div_fixup_f64 v[36:37], v[26:27], v[24:25], 1.0
	ds_read_b128 v[24:27], v61
	ds_read_b128 v[28:31], v61 offset:16
	v_mul_f64 v[54:55], v[32:33], v[36:37]
	ds_read_b128 v[32:35], v61 offset:64
	v_mul_f64 v[52:53], v[38:39], v[36:37]
	ds_read_b128 v[36:39], v61 offset:80
	s_waitcnt lgkmcnt(2)
	v_mul_f64 v[42:43], v[6:7], v[30:31]
	v_mul_f64 v[40:41], v[30:31], -v[8:9]
	v_fmac_f64_e32 v[42:43], v[8:9], v[28:29]
	v_fmac_f64_e32 v[40:41], v[6:7], v[28:29]
	s_waitcnt lgkmcnt(1)
	v_add_f64 v[46:47], v[34:35], -v[42:43]
	v_add_f64 v[44:45], v[32:33], -v[40:41]
	v_mul_f64 v[40:41], v[54:55], -v[46:47]
	v_fmac_f64_e32 v[40:41], v[44:45], v[52:53]
	v_mul_f64 v[42:43], v[54:55], v[44:45]
	v_mul_f64 v[44:45], v[4:5], -v[34:35]
	v_fmac_f64_e32 v[44:45], v[32:33], v[2:3]
	v_mul_f64 v[32:33], v[4:5], v[32:33]
	v_fmac_f64_e32 v[32:33], v[34:35], v[2:3]
	v_fmac_f64_e32 v[42:43], v[46:47], v[52:53]
	v_add_f64 v[46:47], v[30:31], -v[32:33]
	ds_read_b128 v[32:35], v60
	v_add_f64 v[44:45], v[28:29], -v[44:45]
	v_mul_f64 v[28:29], v[54:55], -v[46:47]
	v_mul_f64 v[30:31], v[44:45], v[54:55]
	v_fmac_f64_e32 v[28:29], v[44:45], v[52:53]
	v_fmac_f64_e32 v[30:31], v[46:47], v[52:53]
	ds_write_b128 v61, v[28:31] offset:16
	ds_read_b128 v[44:47], v60 offset:16
	s_waitcnt lgkmcnt(2)
	v_mul_f64 v[56:57], v[30:31], -v[34:35]
	v_mul_f64 v[58:59], v[30:31], v[32:33]
	v_fmac_f64_e32 v[56:57], v[32:33], v[28:29]
	v_fmac_f64_e32 v[58:59], v[34:35], v[28:29]
	ds_read_b128 v[28:31], v15 offset:64
	ds_read_b128 v[48:51], v15 offset:80
	v_add_f64 v[24:25], v[24:25], -v[56:57]
	v_add_f64 v[26:27], v[26:27], -v[58:59]
	ds_write_b128 v61, v[24:27]
	ds_write_b128 v61, v[40:43] offset:64
	s_waitcnt lgkmcnt(2)
	v_mul_f64 v[24:25], v[42:43], -v[50:51]
	v_fmac_f64_e32 v[24:25], v[48:49], v[40:41]
	v_mul_f64 v[26:27], v[42:43], v[48:49]
	v_add_f64 v[24:25], v[36:37], -v[24:25]
	v_mul_f64 v[36:37], v[4:5], -v[30:31]
	v_mul_f64 v[4:5], v[4:5], v[28:29]
	v_fmac_f64_e32 v[26:27], v[50:51], v[40:41]
	v_fmac_f64_e32 v[4:5], v[30:31], v[2:3]
	v_add_f64 v[26:27], v[38:39], -v[26:27]
	v_fmac_f64_e32 v[36:37], v[28:29], v[2:3]
	v_mul_f64 v[2:3], v[54:55], v[4:5]
	v_mul_f64 v[4:5], v[4:5], -v[52:53]
	ds_write_b128 v61, v[24:27] offset:80
	v_mul_f64 v[26:27], v[6:7], v[46:47]
	v_fma_f64 v[2:3], -v[52:53], v[36:37], v[2:3]
	v_fma_f64 v[4:5], -v[54:55], v[36:37], v[4:5]
	v_mul_f64 v[36:37], v[30:31], -v[54:55]
	v_mul_f64 v[38:39], v[52:53], v[30:31]
	v_mul_f64 v[24:25], v[46:47], -v[8:9]
	v_fmac_f64_e32 v[26:27], v[8:9], v[44:45]
	ds_write_b128 v15, v[2:5] offset:16
	v_fmac_f64_e32 v[36:37], v[52:53], v[28:29]
	v_fmac_f64_e32 v[38:39], v[54:55], v[28:29]
	v_mul_f64 v[28:29], v[4:5], -v[34:35]
	v_mul_f64 v[4:5], v[4:5], v[32:33]
	v_fmac_f64_e32 v[24:25], v[6:7], v[44:45]
	v_mul_f64 v[6:7], v[54:55], v[26:27]
	v_mul_f64 v[8:9], v[26:27], -v[52:53]
	v_mul_f64 v[26:27], v[52:53], v[46:47]
	v_fmac_f64_e32 v[28:29], v[32:33], v[2:3]
	v_fmac_f64_e32 v[4:5], v[34:35], v[2:3]
	v_fma_f64 v[6:7], -v[52:53], v[24:25], v[6:7]
	v_fma_f64 v[8:9], -v[54:55], v[24:25], v[8:9]
	v_mul_f64 v[24:25], v[46:47], -v[54:55]
	v_fmac_f64_e32 v[26:27], v[54:55], v[44:45]
	v_add_f64 v[2:3], v[20:21], -v[28:29]
	v_add_f64 v[4:5], v[22:23], -v[4:5]
	v_fmac_f64_e32 v[24:25], v[52:53], v[44:45]
	ds_write_b128 v15, v[2:5]
	v_mul_f64 v[2:3], v[26:27], v[34:35]
	v_mul_f64 v[4:5], v[26:27], -v[32:33]
	v_fma_f64 v[2:3], -v[32:33], v[24:25], v[2:3]
	v_fma_f64 v[4:5], -v[34:35], v[24:25], v[4:5]
	ds_write_b128 v60, v[2:5]
	v_mul_f64 v[2:3], v[50:51], -v[8:9]
	v_mul_f64 v[4:5], v[50:51], v[6:7]
	v_fmac_f64_e32 v[2:3], v[6:7], v[48:49]
	v_fmac_f64_e32 v[4:5], v[8:9], v[48:49]
	v_add_f64 v[2:3], v[16:17], -v[2:3]
	v_add_f64 v[4:5], v[18:19], -v[4:5]
	ds_write_b128 v60, v[2:5] offset:80
	v_mul_f64 v[2:3], v[50:51], v[38:39]
	v_mul_f64 v[4:5], v[38:39], -v[48:49]
	v_fma_f64 v[2:3], -v[48:49], v[36:37], v[2:3]
	v_fma_f64 v[4:5], -v[50:51], v[36:37], v[4:5]
	ds_write_b128 v60, v[6:9] offset:64
	ds_write_b128 v60, v[24:27] offset:16
	;; [unrolled: 1-line block ×4, first 2 shown]
.LBB275_2:
	s_or_b64 exec, exec, s[2:3]
	v_cmp_eq_u32_e64 s[2:3], 0, v0
	s_waitcnt lgkmcnt(0)
	; wave barrier
	s_and_saveexec_b64 s[4:5], s[2:3]
	s_cbranch_execz .LBB275_4
; %bb.3:
	v_mov_b32_e32 v15, 0
	ds_read_b128 v[6:9], v15 offset:80
	ds_read_b128 v[2:5], v15 offset:160
	;; [unrolled: 1-line block ×4, first 2 shown]
	s_waitcnt lgkmcnt(2)
	v_mul_f64 v[26:27], v[8:9], v[2:3]
	v_mul_f64 v[24:25], v[8:9], -v[4:5]
	v_fmac_f64_e32 v[26:27], v[4:5], v[6:7]
	v_fmac_f64_e32 v[24:25], v[2:3], v[6:7]
	v_add_f64 v[30:31], -v[26:27], 0
	v_add_f64 v[28:29], -v[24:25], 1.0
	v_mul_f64 v[24:25], v[30:31], v[30:31]
	v_fmac_f64_e32 v[24:25], v[28:29], v[28:29]
	v_div_scale_f64 v[26:27], s[6:7], v[24:25], v[24:25], 1.0
	v_rcp_f64_e32 v[32:33], v[26:27]
	s_nop 0
	v_fma_f64 v[34:35], -v[26:27], v[32:33], 1.0
	v_fmac_f64_e32 v[32:33], v[32:33], v[34:35]
	v_fma_f64 v[34:35], -v[26:27], v[32:33], 1.0
	v_fmac_f64_e32 v[32:33], v[32:33], v[34:35]
	v_div_scale_f64 v[34:35], vcc, 1.0, v[24:25], 1.0
	v_mul_f64 v[36:37], v[34:35], v[32:33]
	v_fma_f64 v[26:27], -v[26:27], v[36:37], v[34:35]
	s_nop 1
	v_div_fmas_f64 v[26:27], v[26:27], v[32:33], v[36:37]
	v_div_fixup_f64 v[32:33], v[26:27], v[24:25], 1.0
	v_fma_f64 v[24:25], 0, v[30:31], v[28:29]
	v_mul_f64 v[48:49], v[24:25], v[32:33]
	ds_read_b128 v[24:27], v15 offset:288
	v_fma_f64 v[28:29], v[28:29], 0, -v[30:31]
	v_mul_f64 v[50:51], v[28:29], v[32:33]
	ds_read_b128 v[28:31], v15 offset:336
	ds_read_b128 v[32:35], v15 offset:256
	;; [unrolled: 1-line block ×3, first 2 shown]
	s_waitcnt lgkmcnt(3)
	v_mul_f64 v[42:43], v[6:7], v[26:27]
	v_mul_f64 v[40:41], v[26:27], -v[8:9]
	v_fmac_f64_e32 v[42:43], v[8:9], v[24:25]
	v_fmac_f64_e32 v[40:41], v[6:7], v[24:25]
	s_waitcnt lgkmcnt(2)
	v_add_f64 v[46:47], v[30:31], -v[42:43]
	v_add_f64 v[44:45], v[28:29], -v[40:41]
	v_mul_f64 v[40:41], v[50:51], -v[46:47]
	v_fmac_f64_e32 v[40:41], v[44:45], v[48:49]
	v_mul_f64 v[42:43], v[50:51], v[44:45]
	v_mul_f64 v[44:45], v[4:5], -v[30:31]
	v_fmac_f64_e32 v[44:45], v[28:29], v[2:3]
	v_mul_f64 v[28:29], v[4:5], v[28:29]
	v_fmac_f64_e32 v[28:29], v[30:31], v[2:3]
	v_fmac_f64_e32 v[42:43], v[46:47], v[48:49]
	v_add_f64 v[46:47], v[26:27], -v[28:29]
	ds_read_b128 v[28:31], v15
	v_add_f64 v[44:45], v[24:25], -v[44:45]
	v_mul_f64 v[26:27], v[44:45], v[50:51]
	v_mul_f64 v[24:25], v[50:51], -v[46:47]
	v_fmac_f64_e32 v[26:27], v[46:47], v[48:49]
	v_fmac_f64_e32 v[24:25], v[44:45], v[48:49]
	ds_read_b128 v[44:47], v15 offset:32
	s_waitcnt lgkmcnt(1)
	v_mul_f64 v[52:53], v[26:27], -v[30:31]
	v_mul_f64 v[54:55], v[26:27], v[28:29]
	v_fmac_f64_e32 v[52:53], v[28:29], v[24:25]
	v_fmac_f64_e32 v[54:55], v[30:31], v[24:25]
	ds_write_b128 v15, v[24:27] offset:288
	ds_read_b128 v[24:27], v15 offset:240
	v_add_f64 v[32:33], v[32:33], -v[52:53]
	v_add_f64 v[34:35], v[34:35], -v[54:55]
	ds_write_b128 v15, v[32:35] offset:256
	ds_read_b128 v[32:35], v15 offset:208
	ds_write_b128 v15, v[40:43] offset:336
	s_waitcnt lgkmcnt(3)
	v_mul_f64 v[52:53], v[42:43], -v[26:27]
	v_mul_f64 v[42:43], v[42:43], v[24:25]
	v_fmac_f64_e32 v[52:53], v[24:25], v[40:41]
	v_fmac_f64_e32 v[42:43], v[26:27], v[40:41]
	s_waitcnt lgkmcnt(1)
	v_mul_f64 v[40:41], v[4:5], -v[34:35]
	v_mul_f64 v[4:5], v[4:5], v[32:33]
	v_fmac_f64_e32 v[4:5], v[34:35], v[2:3]
	v_add_f64 v[36:37], v[36:37], -v[52:53]
	v_add_f64 v[38:39], v[38:39], -v[42:43]
	v_fmac_f64_e32 v[40:41], v[32:33], v[2:3]
	v_mul_f64 v[2:3], v[50:51], v[4:5]
	v_mul_f64 v[4:5], v[4:5], -v[48:49]
	ds_write_b128 v15, v[36:39] offset:368
	v_mul_f64 v[38:39], v[6:7], v[46:47]
	v_fma_f64 v[2:3], -v[48:49], v[40:41], v[2:3]
	v_fma_f64 v[4:5], -v[50:51], v[40:41], v[4:5]
	v_mul_f64 v[40:41], v[34:35], -v[50:51]
	v_mul_f64 v[42:43], v[48:49], v[34:35]
	v_mul_f64 v[36:37], v[46:47], -v[8:9]
	v_fmac_f64_e32 v[38:39], v[8:9], v[44:45]
	ds_write_b128 v15, v[2:5] offset:160
	v_fmac_f64_e32 v[40:41], v[48:49], v[32:33]
	v_fmac_f64_e32 v[42:43], v[50:51], v[32:33]
	v_mul_f64 v[32:33], v[4:5], -v[30:31]
	v_mul_f64 v[4:5], v[4:5], v[28:29]
	v_fmac_f64_e32 v[36:37], v[6:7], v[44:45]
	v_mul_f64 v[6:7], v[50:51], v[38:39]
	v_mul_f64 v[8:9], v[38:39], -v[48:49]
	v_mul_f64 v[38:39], v[48:49], v[46:47]
	v_fmac_f64_e32 v[32:33], v[28:29], v[2:3]
	v_fmac_f64_e32 v[4:5], v[30:31], v[2:3]
	v_fma_f64 v[6:7], -v[48:49], v[36:37], v[6:7]
	v_fma_f64 v[8:9], -v[50:51], v[36:37], v[8:9]
	v_mul_f64 v[36:37], v[46:47], -v[50:51]
	v_fmac_f64_e32 v[38:39], v[50:51], v[44:45]
	v_add_f64 v[2:3], v[16:17], -v[32:33]
	v_add_f64 v[4:5], v[18:19], -v[4:5]
	v_fmac_f64_e32 v[36:37], v[48:49], v[44:45]
	ds_write_b128 v15, v[2:5] offset:128
	v_mul_f64 v[2:3], v[38:39], v[30:31]
	v_mul_f64 v[4:5], v[38:39], -v[28:29]
	v_fma_f64 v[2:3], -v[28:29], v[36:37], v[2:3]
	v_fma_f64 v[4:5], -v[30:31], v[36:37], v[4:5]
	ds_write_b128 v15, v[2:5]
	v_mul_f64 v[2:3], v[26:27], -v[8:9]
	v_mul_f64 v[4:5], v[26:27], v[6:7]
	v_fmac_f64_e32 v[2:3], v[6:7], v[24:25]
	v_fmac_f64_e32 v[4:5], v[8:9], v[24:25]
	v_add_f64 v[2:3], v[20:21], -v[2:3]
	v_add_f64 v[4:5], v[22:23], -v[4:5]
	ds_write_b128 v15, v[2:5] offset:112
	v_mul_f64 v[2:3], v[26:27], v[42:43]
	v_mul_f64 v[4:5], v[42:43], -v[24:25]
	v_fma_f64 v[2:3], -v[24:25], v[40:41], v[2:3]
	v_fma_f64 v[4:5], -v[26:27], v[40:41], v[4:5]
	ds_write_b128 v15, v[6:9] offset:80
	ds_write_b128 v15, v[36:39] offset:32
	;; [unrolled: 1-line block ×4, first 2 shown]
.LBB275_4:
	s_or_b64 exec, exec, s[4:5]
	v_or_b32_e32 v2, 0x140, v14
	s_waitcnt lgkmcnt(0)
	; wave barrier
	s_and_saveexec_b64 s[4:5], s[0:1]
	s_cbranch_execz .LBB275_6
; %bb.5:
	v_lshlrev_b32_e32 v3, 1, v0
	v_max_u32_e32 v3, 1, v3
	v_lshlrev_b32_e32 v3, 4, v3
	v_lshlrev_b32_e32 v0, 5, v0
	ds_read_b128 v[4:7], v3 offset:304
	ds_read_b128 v[14:17], v0 offset:192
	v_mov_b32_e32 v8, 0x130
	v_mov_b32_e32 v9, 0x120
	v_cndmask_b32_e64 v34, v8, v9, s[2:3]
	ds_read_b128 v[18:21], v34
	ds_read_b128 v[22:25], v0 offset:144
	s_waitcnt lgkmcnt(2)
	v_mul_f64 v[30:31], v[6:7], -v[16:17]
	ds_read_b128 v[26:29], v0 offset:320
	v_mul_f64 v[32:33], v[6:7], v[14:15]
	ds_read_b128 v[6:9], v0 offset:64
	v_fmac_f64_e32 v[30:31], v[14:15], v[4:5]
	v_fmac_f64_e32 v[32:33], v[16:17], v[4:5]
	ds_read_b128 v[14:17], v0 offset:272
	s_waitcnt lgkmcnt(2)
	v_add_f64 v[4:5], v[26:27], -v[30:31]
	v_add_f64 v[26:27], v[28:29], -v[32:33]
	s_waitcnt lgkmcnt(1)
	v_mul_f64 v[28:29], v[20:21], -v[8:9]
	v_fmac_f64_e32 v[28:29], v[6:7], v[18:19]
	v_mul_f64 v[6:7], v[20:21], v[6:7]
	v_fmac_f64_e32 v[6:7], v[8:9], v[18:19]
	v_add_f64 v[4:5], v[4:5], -v[28:29]
	v_add_f64 v[6:7], v[26:27], -v[6:7]
	ds_write_b128 v0, v[4:7] offset:320
	ds_read_b128 v[4:7], v3 offset:304
	ds_read_b128 v[18:21], v0 offset:16
	s_waitcnt lgkmcnt(1)
	v_mul_f64 v[8:9], v[6:7], -v[24:25]
	v_mul_f64 v[6:7], v[6:7], v[22:23]
	v_fmac_f64_e32 v[8:9], v[22:23], v[4:5]
	v_fmac_f64_e32 v[6:7], v[24:25], v[4:5]
	v_add_f64 v[4:5], v[14:15], -v[8:9]
	v_add_f64 v[6:7], v[16:17], -v[6:7]
	ds_write_b128 v0, v[4:7] offset:272
	ds_read_b128 v[14:17], v34
	s_waitcnt lgkmcnt(0)
	v_mul_f64 v[8:9], v[16:17], -v[20:21]
	v_mul_f64 v[16:17], v[16:17], v[18:19]
	v_fmac_f64_e32 v[8:9], v[18:19], v[14:15]
	v_fmac_f64_e32 v[16:17], v[20:21], v[14:15]
	v_add_f64 v[4:5], v[4:5], -v[8:9]
	v_add_f64 v[6:7], v[6:7], -v[16:17]
	ds_write_b128 v0, v[4:7] offset:272
.LBB275_6:
	s_or_b64 exec, exec, s[4:5]
	s_waitcnt lgkmcnt(0)
	; wave barrier
	ds_read2_b64 v[4:7], v1 offset1:1
	ds_read2_b64 v[0:3], v2 offset1:1
	s_waitcnt lgkmcnt(1)
	global_store_dwordx4 v[10:11], v[4:7], off
	s_waitcnt lgkmcnt(0)
	global_store_dwordx4 v[12:13], v[0:3], off
	s_endpgm
	.section	.rodata,"a",@progbits
	.p2align	6, 0x0
	.amdhsa_kernel _ZN9rocsparseL34gtsv_solve_spike_grid_level_kernelILj4E21rocsparse_complex_numIdEEEviiiPT0_PKS3_S6_
		.amdhsa_group_segment_fixed_size 384
		.amdhsa_private_segment_fixed_size 0
		.amdhsa_kernarg_size 40
		.amdhsa_user_sgpr_count 2
		.amdhsa_user_sgpr_dispatch_ptr 0
		.amdhsa_user_sgpr_queue_ptr 0
		.amdhsa_user_sgpr_kernarg_segment_ptr 1
		.amdhsa_user_sgpr_dispatch_id 0
		.amdhsa_user_sgpr_kernarg_preload_length 0
		.amdhsa_user_sgpr_kernarg_preload_offset 0
		.amdhsa_user_sgpr_private_segment_size 0
		.amdhsa_uses_dynamic_stack 0
		.amdhsa_enable_private_segment 0
		.amdhsa_system_sgpr_workgroup_id_x 1
		.amdhsa_system_sgpr_workgroup_id_y 1
		.amdhsa_system_sgpr_workgroup_id_z 0
		.amdhsa_system_sgpr_workgroup_info 0
		.amdhsa_system_vgpr_workitem_id 0
		.amdhsa_next_free_vgpr 62
		.amdhsa_next_free_sgpr 10
		.amdhsa_accum_offset 64
		.amdhsa_reserve_vcc 1
		.amdhsa_float_round_mode_32 0
		.amdhsa_float_round_mode_16_64 0
		.amdhsa_float_denorm_mode_32 3
		.amdhsa_float_denorm_mode_16_64 3
		.amdhsa_dx10_clamp 1
		.amdhsa_ieee_mode 1
		.amdhsa_fp16_overflow 0
		.amdhsa_tg_split 0
		.amdhsa_exception_fp_ieee_invalid_op 0
		.amdhsa_exception_fp_denorm_src 0
		.amdhsa_exception_fp_ieee_div_zero 0
		.amdhsa_exception_fp_ieee_overflow 0
		.amdhsa_exception_fp_ieee_underflow 0
		.amdhsa_exception_fp_ieee_inexact 0
		.amdhsa_exception_int_div_zero 0
	.end_amdhsa_kernel
	.section	.text._ZN9rocsparseL34gtsv_solve_spike_grid_level_kernelILj4E21rocsparse_complex_numIdEEEviiiPT0_PKS3_S6_,"axG",@progbits,_ZN9rocsparseL34gtsv_solve_spike_grid_level_kernelILj4E21rocsparse_complex_numIdEEEviiiPT0_PKS3_S6_,comdat
.Lfunc_end275:
	.size	_ZN9rocsparseL34gtsv_solve_spike_grid_level_kernelILj4E21rocsparse_complex_numIdEEEviiiPT0_PKS3_S6_, .Lfunc_end275-_ZN9rocsparseL34gtsv_solve_spike_grid_level_kernelILj4E21rocsparse_complex_numIdEEEviiiPT0_PKS3_S6_
                                        ; -- End function
	.set _ZN9rocsparseL34gtsv_solve_spike_grid_level_kernelILj4E21rocsparse_complex_numIdEEEviiiPT0_PKS3_S6_.num_vgpr, 62
	.set _ZN9rocsparseL34gtsv_solve_spike_grid_level_kernelILj4E21rocsparse_complex_numIdEEEviiiPT0_PKS3_S6_.num_agpr, 0
	.set _ZN9rocsparseL34gtsv_solve_spike_grid_level_kernelILj4E21rocsparse_complex_numIdEEEviiiPT0_PKS3_S6_.numbered_sgpr, 10
	.set _ZN9rocsparseL34gtsv_solve_spike_grid_level_kernelILj4E21rocsparse_complex_numIdEEEviiiPT0_PKS3_S6_.num_named_barrier, 0
	.set _ZN9rocsparseL34gtsv_solve_spike_grid_level_kernelILj4E21rocsparse_complex_numIdEEEviiiPT0_PKS3_S6_.private_seg_size, 0
	.set _ZN9rocsparseL34gtsv_solve_spike_grid_level_kernelILj4E21rocsparse_complex_numIdEEEviiiPT0_PKS3_S6_.uses_vcc, 1
	.set _ZN9rocsparseL34gtsv_solve_spike_grid_level_kernelILj4E21rocsparse_complex_numIdEEEviiiPT0_PKS3_S6_.uses_flat_scratch, 0
	.set _ZN9rocsparseL34gtsv_solve_spike_grid_level_kernelILj4E21rocsparse_complex_numIdEEEviiiPT0_PKS3_S6_.has_dyn_sized_stack, 0
	.set _ZN9rocsparseL34gtsv_solve_spike_grid_level_kernelILj4E21rocsparse_complex_numIdEEEviiiPT0_PKS3_S6_.has_recursion, 0
	.set _ZN9rocsparseL34gtsv_solve_spike_grid_level_kernelILj4E21rocsparse_complex_numIdEEEviiiPT0_PKS3_S6_.has_indirect_call, 0
	.section	.AMDGPU.csdata,"",@progbits
; Kernel info:
; codeLenInByte = 2436
; TotalNumSgprs: 16
; NumVgprs: 62
; NumAgprs: 0
; TotalNumVgprs: 62
; ScratchSize: 0
; MemoryBound: 0
; FloatMode: 240
; IeeeMode: 1
; LDSByteSize: 384 bytes/workgroup (compile time only)
; SGPRBlocks: 1
; VGPRBlocks: 7
; NumSGPRsForWavesPerEU: 16
; NumVGPRsForWavesPerEU: 62
; AccumOffset: 64
; Occupancy: 8
; WaveLimiterHint : 0
; COMPUTE_PGM_RSRC2:SCRATCH_EN: 0
; COMPUTE_PGM_RSRC2:USER_SGPR: 2
; COMPUTE_PGM_RSRC2:TRAP_HANDLER: 0
; COMPUTE_PGM_RSRC2:TGID_X_EN: 1
; COMPUTE_PGM_RSRC2:TGID_Y_EN: 1
; COMPUTE_PGM_RSRC2:TGID_Z_EN: 0
; COMPUTE_PGM_RSRC2:TIDIG_COMP_CNT: 0
; COMPUTE_PGM_RSRC3_GFX90A:ACCUM_OFFSET: 15
; COMPUTE_PGM_RSRC3_GFX90A:TG_SPLIT: 0
	.section	.text._ZN9rocsparseL34gtsv_solve_spike_grid_level_kernelILj8E21rocsparse_complex_numIdEEEviiiPT0_PKS3_S6_,"axG",@progbits,_ZN9rocsparseL34gtsv_solve_spike_grid_level_kernelILj8E21rocsparse_complex_numIdEEEviiiPT0_PKS3_S6_,comdat
	.globl	_ZN9rocsparseL34gtsv_solve_spike_grid_level_kernelILj8E21rocsparse_complex_numIdEEEviiiPT0_PKS3_S6_ ; -- Begin function _ZN9rocsparseL34gtsv_solve_spike_grid_level_kernelILj8E21rocsparse_complex_numIdEEEviiiPT0_PKS3_S6_
	.p2align	8
	.type	_ZN9rocsparseL34gtsv_solve_spike_grid_level_kernelILj8E21rocsparse_complex_numIdEEEviiiPT0_PKS3_S6_,@function
_ZN9rocsparseL34gtsv_solve_spike_grid_level_kernelILj8E21rocsparse_complex_numIdEEEviiiPT0_PKS3_S6_: ; @_ZN9rocsparseL34gtsv_solve_spike_grid_level_kernelILj8E21rocsparse_complex_numIdEEEviiiPT0_PKS3_S6_
; %bb.0:
	s_load_dwordx4 s[4:7], s[0:1], 0x10
	s_load_dwordx2 s[8:9], s[0:1], 0x20
	v_lshl_or_b32 v12, s3, 4, v0
	v_mov_b32_e32 v13, 0
	v_lshlrev_b32_e32 v14, 4, v0
	s_waitcnt lgkmcnt(0)
	v_lshl_add_u64 v[10:11], v[12:13], 4, s[4:5]
	v_or_b32_e32 v12, 8, v12
	global_load_dwordx4 v[2:5], v14, s[6:7]
	global_load_dwordx4 v[6:9], v14, s[6:7] offset:128
	global_load_dwordx4 v[16:19], v14, s[8:9]
	global_load_dwordx4 v[20:23], v14, s[8:9] offset:128
	v_lshl_add_u64 v[12:13], v[12:13], 4, s[4:5]
	global_load_dwordx4 v[24:27], v[10:11], off
	global_load_dwordx4 v[28:31], v[12:13], off
	v_or_b32_e32 v1, 0x200, v14
	v_cmp_gt_u32_e64 s[0:1], 4, v0
	s_waitcnt vmcnt(5)
	ds_write2_b64 v14, v[2:3], v[4:5] offset0:32 offset1:33
	s_waitcnt vmcnt(4)
	ds_write2_b64 v14, v[6:7], v[8:9] offset0:48 offset1:49
	s_waitcnt vmcnt(3)
	ds_write2_b64 v14, v[16:17], v[18:19] offset1:1
	s_waitcnt vmcnt(2)
	ds_write2_b64 v14, v[20:21], v[22:23] offset0:16 offset1:17
	s_waitcnt vmcnt(1)
	ds_write2_b64 v14, v[24:25], v[26:27] offset0:64 offset1:65
	s_waitcnt vmcnt(0)
	ds_write2_b64 v14, v[28:29], v[30:31] offset0:80 offset1:81
	s_waitcnt lgkmcnt(0)
	; wave barrier
	s_and_saveexec_b64 s[2:3], s[0:1]
	s_cbranch_execz .LBB276_2
; %bb.1:
	v_or_b32_e32 v2, 0x100, v14
	v_add_u32_e32 v15, v2, v14
	v_add_u32_e32 v56, v14, v14
	ds_read_b128 v[2:5], v15 offset:16
	ds_read_b128 v[6:9], v56 offset:128
	ds_read_b128 v[16:19], v56 offset:144
	ds_read_b128 v[20:23], v15
	v_add_u32_e32 v57, v1, v14
	s_waitcnt lgkmcnt(2)
	v_mul_f64 v[26:27], v[8:9], v[2:3]
	v_mul_f64 v[24:25], v[8:9], -v[4:5]
	v_fmac_f64_e32 v[26:27], v[4:5], v[6:7]
	v_fmac_f64_e32 v[24:25], v[2:3], v[6:7]
	v_add_f64 v[34:35], -v[26:27], 0
	v_add_f64 v[32:33], -v[24:25], 1.0
	v_mul_f64 v[24:25], v[34:35], v[34:35]
	v_fmac_f64_e32 v[24:25], v[32:33], v[32:33]
	v_div_scale_f64 v[26:27], s[4:5], v[24:25], v[24:25], 1.0
	v_rcp_f64_e32 v[28:29], v[26:27]
	v_fma_f64 v[38:39], 0, v[34:35], v[32:33]
	v_fma_f64 v[32:33], v[32:33], 0, -v[34:35]
	v_fma_f64 v[30:31], -v[26:27], v[28:29], 1.0
	v_fmac_f64_e32 v[28:29], v[28:29], v[30:31]
	v_fma_f64 v[30:31], -v[26:27], v[28:29], 1.0
	v_fmac_f64_e32 v[28:29], v[28:29], v[30:31]
	v_div_scale_f64 v[30:31], vcc, 1.0, v[24:25], 1.0
	v_mul_f64 v[36:37], v[30:31], v[28:29]
	v_fma_f64 v[26:27], -v[26:27], v[36:37], v[30:31]
	s_nop 1
	v_div_fmas_f64 v[26:27], v[26:27], v[28:29], v[36:37]
	v_div_fixup_f64 v[36:37], v[26:27], v[24:25], 1.0
	ds_read_b128 v[24:27], v57
	ds_read_b128 v[28:31], v57 offset:16
	v_mul_f64 v[50:51], v[32:33], v[36:37]
	ds_read_b128 v[32:35], v57 offset:128
	v_mul_f64 v[48:49], v[38:39], v[36:37]
	ds_read_b128 v[36:39], v57 offset:144
	s_waitcnt lgkmcnt(2)
	v_mul_f64 v[42:43], v[6:7], v[30:31]
	v_mul_f64 v[40:41], v[30:31], -v[8:9]
	v_fmac_f64_e32 v[42:43], v[8:9], v[28:29]
	v_fmac_f64_e32 v[40:41], v[6:7], v[28:29]
	s_waitcnt lgkmcnt(1)
	v_add_f64 v[46:47], v[34:35], -v[42:43]
	v_add_f64 v[44:45], v[32:33], -v[40:41]
	v_mul_f64 v[40:41], v[50:51], -v[46:47]
	v_fmac_f64_e32 v[40:41], v[44:45], v[48:49]
	v_mul_f64 v[42:43], v[50:51], v[44:45]
	v_mul_f64 v[44:45], v[4:5], -v[34:35]
	v_fmac_f64_e32 v[44:45], v[32:33], v[2:3]
	v_mul_f64 v[32:33], v[4:5], v[32:33]
	v_fmac_f64_e32 v[32:33], v[34:35], v[2:3]
	v_fmac_f64_e32 v[42:43], v[46:47], v[48:49]
	v_add_f64 v[46:47], v[30:31], -v[32:33]
	ds_read_b128 v[32:35], v56
	v_add_f64 v[44:45], v[28:29], -v[44:45]
	v_mul_f64 v[30:31], v[44:45], v[50:51]
	v_mul_f64 v[28:29], v[50:51], -v[46:47]
	v_fmac_f64_e32 v[30:31], v[46:47], v[48:49]
	v_fmac_f64_e32 v[28:29], v[44:45], v[48:49]
	ds_read_b128 v[44:47], v56 offset:16
	s_waitcnt lgkmcnt(1)
	v_mul_f64 v[52:53], v[30:31], -v[34:35]
	v_mul_f64 v[54:55], v[30:31], v[32:33]
	v_fmac_f64_e32 v[52:53], v[32:33], v[28:29]
	v_fmac_f64_e32 v[54:55], v[34:35], v[28:29]
	ds_write_b128 v57, v[28:31] offset:16
	ds_read_b128 v[28:31], v15 offset:144
	v_add_f64 v[24:25], v[24:25], -v[52:53]
	v_add_f64 v[26:27], v[26:27], -v[54:55]
	ds_write_b128 v57, v[24:27]
	ds_read_b128 v[24:27], v15 offset:128
	ds_write_b128 v57, v[40:43] offset:128
	s_waitcnt lgkmcnt(3)
	v_mul_f64 v[52:53], v[42:43], -v[30:31]
	v_mul_f64 v[42:43], v[42:43], v[28:29]
	v_fmac_f64_e32 v[52:53], v[28:29], v[40:41]
	v_fmac_f64_e32 v[42:43], v[30:31], v[40:41]
	s_waitcnt lgkmcnt(1)
	v_mul_f64 v[40:41], v[4:5], -v[26:27]
	v_mul_f64 v[4:5], v[4:5], v[24:25]
	v_fmac_f64_e32 v[4:5], v[26:27], v[2:3]
	v_add_f64 v[36:37], v[36:37], -v[52:53]
	v_add_f64 v[38:39], v[38:39], -v[42:43]
	v_fmac_f64_e32 v[40:41], v[24:25], v[2:3]
	v_mul_f64 v[2:3], v[50:51], v[4:5]
	v_mul_f64 v[4:5], v[4:5], -v[48:49]
	ds_write_b128 v57, v[36:39] offset:144
	v_mul_f64 v[38:39], v[6:7], v[46:47]
	v_fma_f64 v[2:3], -v[48:49], v[40:41], v[2:3]
	v_fma_f64 v[4:5], -v[50:51], v[40:41], v[4:5]
	v_mul_f64 v[40:41], v[26:27], -v[50:51]
	v_mul_f64 v[42:43], v[48:49], v[26:27]
	v_mul_f64 v[36:37], v[46:47], -v[8:9]
	v_fmac_f64_e32 v[38:39], v[8:9], v[44:45]
	ds_write_b128 v15, v[2:5] offset:16
	v_fmac_f64_e32 v[40:41], v[48:49], v[24:25]
	v_fmac_f64_e32 v[42:43], v[50:51], v[24:25]
	v_mul_f64 v[24:25], v[4:5], -v[34:35]
	v_mul_f64 v[4:5], v[4:5], v[32:33]
	v_fmac_f64_e32 v[36:37], v[6:7], v[44:45]
	v_mul_f64 v[6:7], v[50:51], v[38:39]
	v_mul_f64 v[8:9], v[38:39], -v[48:49]
	v_mul_f64 v[38:39], v[48:49], v[46:47]
	v_fmac_f64_e32 v[24:25], v[32:33], v[2:3]
	v_fmac_f64_e32 v[4:5], v[34:35], v[2:3]
	v_fma_f64 v[6:7], -v[48:49], v[36:37], v[6:7]
	v_fma_f64 v[8:9], -v[50:51], v[36:37], v[8:9]
	v_mul_f64 v[36:37], v[46:47], -v[50:51]
	v_fmac_f64_e32 v[38:39], v[50:51], v[44:45]
	v_add_f64 v[2:3], v[20:21], -v[24:25]
	v_add_f64 v[4:5], v[22:23], -v[4:5]
	v_fmac_f64_e32 v[36:37], v[48:49], v[44:45]
	ds_write_b128 v15, v[2:5]
	v_mul_f64 v[2:3], v[38:39], v[34:35]
	v_mul_f64 v[4:5], v[38:39], -v[32:33]
	v_fma_f64 v[2:3], -v[32:33], v[36:37], v[2:3]
	v_fma_f64 v[4:5], -v[34:35], v[36:37], v[4:5]
	ds_write_b128 v56, v[2:5]
	v_mul_f64 v[2:3], v[30:31], -v[8:9]
	v_mul_f64 v[4:5], v[30:31], v[6:7]
	v_fmac_f64_e32 v[2:3], v[6:7], v[28:29]
	v_fmac_f64_e32 v[4:5], v[8:9], v[28:29]
	v_add_f64 v[2:3], v[16:17], -v[2:3]
	v_add_f64 v[4:5], v[18:19], -v[4:5]
	ds_write_b128 v56, v[2:5] offset:144
	v_mul_f64 v[2:3], v[30:31], v[42:43]
	v_mul_f64 v[4:5], v[42:43], -v[28:29]
	v_fma_f64 v[2:3], -v[28:29], v[40:41], v[2:3]
	v_fma_f64 v[4:5], -v[30:31], v[40:41], v[4:5]
	ds_write_b128 v56, v[6:9] offset:128
	ds_write_b128 v56, v[36:39] offset:16
	;; [unrolled: 1-line block ×4, first 2 shown]
.LBB276_2:
	s_or_b64 exec, exec, s[2:3]
	v_cmp_gt_u32_e64 s[2:3], 2, v0
	v_lshlrev_b32_e32 v15, 6, v0
	s_waitcnt lgkmcnt(0)
	; wave barrier
	s_and_saveexec_b64 s[4:5], s[2:3]
	s_cbranch_execz .LBB276_4
; %bb.3:
	ds_read_b128 v[6:9], v15 offset:144
	ds_read_b128 v[2:5], v15 offset:288
	;; [unrolled: 1-line block ×4, first 2 shown]
	s_waitcnt lgkmcnt(2)
	v_mul_f64 v[26:27], v[8:9], v[2:3]
	v_mul_f64 v[24:25], v[8:9], -v[4:5]
	v_fmac_f64_e32 v[26:27], v[4:5], v[6:7]
	v_fmac_f64_e32 v[24:25], v[2:3], v[6:7]
	v_add_f64 v[30:31], -v[26:27], 0
	v_add_f64 v[28:29], -v[24:25], 1.0
	v_mul_f64 v[24:25], v[30:31], v[30:31]
	v_fmac_f64_e32 v[24:25], v[28:29], v[28:29]
	v_div_scale_f64 v[26:27], s[6:7], v[24:25], v[24:25], 1.0
	v_rcp_f64_e32 v[32:33], v[26:27]
	s_nop 0
	v_fma_f64 v[34:35], -v[26:27], v[32:33], 1.0
	v_fmac_f64_e32 v[32:33], v[32:33], v[34:35]
	v_fma_f64 v[34:35], -v[26:27], v[32:33], 1.0
	v_fmac_f64_e32 v[32:33], v[32:33], v[34:35]
	v_div_scale_f64 v[34:35], vcc, 1.0, v[24:25], 1.0
	v_mul_f64 v[36:37], v[34:35], v[32:33]
	v_fma_f64 v[26:27], -v[26:27], v[36:37], v[34:35]
	s_nop 1
	v_div_fmas_f64 v[26:27], v[26:27], v[32:33], v[36:37]
	v_div_fixup_f64 v[32:33], v[26:27], v[24:25], 1.0
	v_fma_f64 v[24:25], 0, v[30:31], v[28:29]
	v_mul_f64 v[48:49], v[24:25], v[32:33]
	ds_read_b128 v[24:27], v15 offset:544
	v_fma_f64 v[28:29], v[28:29], 0, -v[30:31]
	v_mul_f64 v[50:51], v[28:29], v[32:33]
	ds_read_b128 v[28:31], v15 offset:656
	ds_read_b128 v[32:35], v15 offset:512
	ds_read_b128 v[36:39], v15 offset:688
	s_waitcnt lgkmcnt(3)
	v_mul_f64 v[42:43], v[6:7], v[26:27]
	v_mul_f64 v[40:41], v[26:27], -v[8:9]
	v_fmac_f64_e32 v[42:43], v[8:9], v[24:25]
	v_fmac_f64_e32 v[40:41], v[6:7], v[24:25]
	s_waitcnt lgkmcnt(2)
	v_add_f64 v[46:47], v[30:31], -v[42:43]
	v_add_f64 v[44:45], v[28:29], -v[40:41]
	v_mul_f64 v[40:41], v[50:51], -v[46:47]
	v_fmac_f64_e32 v[40:41], v[44:45], v[48:49]
	v_mul_f64 v[42:43], v[50:51], v[44:45]
	v_mul_f64 v[44:45], v[4:5], -v[30:31]
	v_fmac_f64_e32 v[44:45], v[28:29], v[2:3]
	v_mul_f64 v[28:29], v[4:5], v[28:29]
	v_fmac_f64_e32 v[28:29], v[30:31], v[2:3]
	v_fmac_f64_e32 v[42:43], v[46:47], v[48:49]
	v_add_f64 v[46:47], v[26:27], -v[28:29]
	ds_read_b128 v[28:31], v15
	v_add_f64 v[44:45], v[24:25], -v[44:45]
	v_mul_f64 v[26:27], v[44:45], v[50:51]
	v_mul_f64 v[24:25], v[50:51], -v[46:47]
	v_fmac_f64_e32 v[26:27], v[46:47], v[48:49]
	v_fmac_f64_e32 v[24:25], v[44:45], v[48:49]
	ds_read_b128 v[44:47], v15 offset:32
	s_waitcnt lgkmcnt(1)
	v_mul_f64 v[52:53], v[26:27], -v[30:31]
	v_mul_f64 v[54:55], v[26:27], v[28:29]
	v_fmac_f64_e32 v[52:53], v[28:29], v[24:25]
	v_fmac_f64_e32 v[54:55], v[30:31], v[24:25]
	ds_write_b128 v15, v[24:27] offset:544
	ds_read_b128 v[24:27], v15 offset:432
	v_add_f64 v[32:33], v[32:33], -v[52:53]
	v_add_f64 v[34:35], v[34:35], -v[54:55]
	ds_write_b128 v15, v[32:35] offset:512
	ds_read_b128 v[32:35], v15 offset:400
	ds_write_b128 v15, v[40:43] offset:656
	s_waitcnt lgkmcnt(3)
	v_mul_f64 v[52:53], v[42:43], -v[26:27]
	v_mul_f64 v[42:43], v[42:43], v[24:25]
	v_fmac_f64_e32 v[52:53], v[24:25], v[40:41]
	v_fmac_f64_e32 v[42:43], v[26:27], v[40:41]
	s_waitcnt lgkmcnt(1)
	v_mul_f64 v[40:41], v[4:5], -v[34:35]
	v_mul_f64 v[4:5], v[4:5], v[32:33]
	v_fmac_f64_e32 v[4:5], v[34:35], v[2:3]
	v_add_f64 v[36:37], v[36:37], -v[52:53]
	v_add_f64 v[38:39], v[38:39], -v[42:43]
	v_fmac_f64_e32 v[40:41], v[32:33], v[2:3]
	v_mul_f64 v[2:3], v[50:51], v[4:5]
	v_mul_f64 v[4:5], v[4:5], -v[48:49]
	ds_write_b128 v15, v[36:39] offset:688
	v_mul_f64 v[38:39], v[6:7], v[46:47]
	v_fma_f64 v[2:3], -v[48:49], v[40:41], v[2:3]
	v_fma_f64 v[4:5], -v[50:51], v[40:41], v[4:5]
	v_mul_f64 v[40:41], v[34:35], -v[50:51]
	v_mul_f64 v[42:43], v[48:49], v[34:35]
	v_mul_f64 v[36:37], v[46:47], -v[8:9]
	v_fmac_f64_e32 v[38:39], v[8:9], v[44:45]
	ds_write_b128 v15, v[2:5] offset:288
	v_fmac_f64_e32 v[40:41], v[48:49], v[32:33]
	v_fmac_f64_e32 v[42:43], v[50:51], v[32:33]
	v_mul_f64 v[32:33], v[4:5], -v[30:31]
	v_mul_f64 v[4:5], v[4:5], v[28:29]
	v_fmac_f64_e32 v[36:37], v[6:7], v[44:45]
	v_mul_f64 v[6:7], v[50:51], v[38:39]
	v_mul_f64 v[8:9], v[38:39], -v[48:49]
	v_mul_f64 v[38:39], v[48:49], v[46:47]
	v_fmac_f64_e32 v[32:33], v[28:29], v[2:3]
	v_fmac_f64_e32 v[4:5], v[30:31], v[2:3]
	v_fma_f64 v[6:7], -v[48:49], v[36:37], v[6:7]
	v_fma_f64 v[8:9], -v[50:51], v[36:37], v[8:9]
	v_mul_f64 v[36:37], v[46:47], -v[50:51]
	v_fmac_f64_e32 v[38:39], v[50:51], v[44:45]
	v_add_f64 v[2:3], v[16:17], -v[32:33]
	v_add_f64 v[4:5], v[18:19], -v[4:5]
	v_fmac_f64_e32 v[36:37], v[48:49], v[44:45]
	ds_write_b128 v15, v[2:5] offset:256
	v_mul_f64 v[2:3], v[38:39], v[30:31]
	v_mul_f64 v[4:5], v[38:39], -v[28:29]
	v_fma_f64 v[2:3], -v[28:29], v[36:37], v[2:3]
	v_fma_f64 v[4:5], -v[30:31], v[36:37], v[4:5]
	ds_write_b128 v15, v[2:5]
	v_mul_f64 v[2:3], v[26:27], -v[8:9]
	v_mul_f64 v[4:5], v[26:27], v[6:7]
	v_fmac_f64_e32 v[2:3], v[6:7], v[24:25]
	v_fmac_f64_e32 v[4:5], v[8:9], v[24:25]
	v_add_f64 v[2:3], v[20:21], -v[2:3]
	v_add_f64 v[4:5], v[22:23], -v[4:5]
	ds_write_b128 v15, v[2:5] offset:176
	v_mul_f64 v[2:3], v[26:27], v[42:43]
	v_mul_f64 v[4:5], v[42:43], -v[24:25]
	v_fma_f64 v[2:3], -v[24:25], v[40:41], v[2:3]
	v_fma_f64 v[4:5], -v[26:27], v[40:41], v[4:5]
	ds_write_b128 v15, v[6:9] offset:144
	ds_write_b128 v15, v[36:39] offset:32
	;; [unrolled: 1-line block ×4, first 2 shown]
.LBB276_4:
	s_or_b64 exec, exec, s[4:5]
	v_cmp_eq_u32_e32 vcc, 0, v0
	s_waitcnt lgkmcnt(0)
	; wave barrier
	s_and_saveexec_b64 s[4:5], vcc
	s_cbranch_execz .LBB276_6
; %bb.5:
	v_mov_b32_e32 v56, 0
	ds_read_b128 v[6:9], v56 offset:176
	ds_read_b128 v[2:5], v56 offset:320
	;; [unrolled: 1-line block ×4, first 2 shown]
	s_waitcnt lgkmcnt(2)
	v_mul_f64 v[26:27], v[8:9], v[2:3]
	v_mul_f64 v[24:25], v[8:9], -v[4:5]
	v_fmac_f64_e32 v[26:27], v[4:5], v[6:7]
	v_fmac_f64_e32 v[24:25], v[2:3], v[6:7]
	v_add_f64 v[30:31], -v[26:27], 0
	v_add_f64 v[28:29], -v[24:25], 1.0
	v_mul_f64 v[24:25], v[30:31], v[30:31]
	v_fmac_f64_e32 v[24:25], v[28:29], v[28:29]
	v_div_scale_f64 v[26:27], s[6:7], v[24:25], v[24:25], 1.0
	v_rcp_f64_e32 v[32:33], v[26:27]
	s_nop 0
	v_fma_f64 v[34:35], -v[26:27], v[32:33], 1.0
	v_fmac_f64_e32 v[32:33], v[32:33], v[34:35]
	v_fma_f64 v[34:35], -v[26:27], v[32:33], 1.0
	v_fmac_f64_e32 v[32:33], v[32:33], v[34:35]
	v_div_scale_f64 v[34:35], vcc, 1.0, v[24:25], 1.0
	v_mul_f64 v[36:37], v[34:35], v[32:33]
	v_fma_f64 v[26:27], -v[26:27], v[36:37], v[34:35]
	s_nop 1
	v_div_fmas_f64 v[26:27], v[26:27], v[32:33], v[36:37]
	v_div_fixup_f64 v[32:33], v[26:27], v[24:25], 1.0
	v_fma_f64 v[24:25], 0, v[30:31], v[28:29]
	v_mul_f64 v[48:49], v[24:25], v[32:33]
	ds_read_b128 v[24:27], v56 offset:576
	v_fma_f64 v[28:29], v[28:29], 0, -v[30:31]
	v_mul_f64 v[50:51], v[28:29], v[32:33]
	ds_read_b128 v[28:31], v56 offset:688
	ds_read_b128 v[32:35], v56 offset:512
	;; [unrolled: 1-line block ×3, first 2 shown]
	s_waitcnt lgkmcnt(3)
	v_mul_f64 v[42:43], v[6:7], v[26:27]
	v_mul_f64 v[40:41], v[26:27], -v[8:9]
	v_fmac_f64_e32 v[42:43], v[8:9], v[24:25]
	v_fmac_f64_e32 v[40:41], v[6:7], v[24:25]
	s_waitcnt lgkmcnt(2)
	v_add_f64 v[46:47], v[30:31], -v[42:43]
	v_add_f64 v[44:45], v[28:29], -v[40:41]
	v_mul_f64 v[40:41], v[50:51], -v[46:47]
	v_fmac_f64_e32 v[40:41], v[44:45], v[48:49]
	v_mul_f64 v[42:43], v[50:51], v[44:45]
	v_mul_f64 v[44:45], v[4:5], -v[30:31]
	v_fmac_f64_e32 v[44:45], v[28:29], v[2:3]
	v_mul_f64 v[28:29], v[4:5], v[28:29]
	v_fmac_f64_e32 v[28:29], v[30:31], v[2:3]
	v_fmac_f64_e32 v[42:43], v[46:47], v[48:49]
	v_add_f64 v[46:47], v[26:27], -v[28:29]
	ds_read_b128 v[28:31], v56
	v_add_f64 v[44:45], v[24:25], -v[44:45]
	v_mul_f64 v[26:27], v[44:45], v[50:51]
	v_mul_f64 v[24:25], v[50:51], -v[46:47]
	v_fmac_f64_e32 v[26:27], v[46:47], v[48:49]
	v_fmac_f64_e32 v[24:25], v[44:45], v[48:49]
	ds_read_b128 v[44:47], v56 offset:64
	s_waitcnt lgkmcnt(1)
	v_mul_f64 v[52:53], v[26:27], -v[30:31]
	v_mul_f64 v[54:55], v[26:27], v[28:29]
	v_fmac_f64_e32 v[52:53], v[28:29], v[24:25]
	v_fmac_f64_e32 v[54:55], v[30:31], v[24:25]
	ds_write_b128 v56, v[24:27] offset:576
	ds_read_b128 v[24:27], v56 offset:496
	v_add_f64 v[32:33], v[32:33], -v[52:53]
	v_add_f64 v[34:35], v[34:35], -v[54:55]
	ds_write_b128 v56, v[32:35] offset:512
	ds_read_b128 v[32:35], v56 offset:432
	ds_write_b128 v56, v[40:43] offset:688
	s_waitcnt lgkmcnt(3)
	v_mul_f64 v[52:53], v[42:43], -v[26:27]
	v_mul_f64 v[42:43], v[42:43], v[24:25]
	v_fmac_f64_e32 v[52:53], v[24:25], v[40:41]
	v_fmac_f64_e32 v[42:43], v[26:27], v[40:41]
	s_waitcnt lgkmcnt(1)
	v_mul_f64 v[40:41], v[4:5], -v[34:35]
	v_mul_f64 v[4:5], v[4:5], v[32:33]
	v_fmac_f64_e32 v[4:5], v[34:35], v[2:3]
	v_add_f64 v[36:37], v[36:37], -v[52:53]
	v_add_f64 v[38:39], v[38:39], -v[42:43]
	v_fmac_f64_e32 v[40:41], v[32:33], v[2:3]
	v_mul_f64 v[2:3], v[50:51], v[4:5]
	v_mul_f64 v[4:5], v[4:5], -v[48:49]
	ds_write_b128 v56, v[36:39] offset:752
	v_mul_f64 v[38:39], v[6:7], v[46:47]
	v_fma_f64 v[2:3], -v[48:49], v[40:41], v[2:3]
	v_fma_f64 v[4:5], -v[50:51], v[40:41], v[4:5]
	v_mul_f64 v[40:41], v[34:35], -v[50:51]
	v_mul_f64 v[42:43], v[48:49], v[34:35]
	v_mul_f64 v[36:37], v[46:47], -v[8:9]
	v_fmac_f64_e32 v[38:39], v[8:9], v[44:45]
	ds_write_b128 v56, v[2:5] offset:320
	v_fmac_f64_e32 v[40:41], v[48:49], v[32:33]
	v_fmac_f64_e32 v[42:43], v[50:51], v[32:33]
	v_mul_f64 v[32:33], v[4:5], -v[30:31]
	v_mul_f64 v[4:5], v[4:5], v[28:29]
	v_fmac_f64_e32 v[36:37], v[6:7], v[44:45]
	v_mul_f64 v[6:7], v[50:51], v[38:39]
	v_mul_f64 v[8:9], v[38:39], -v[48:49]
	v_mul_f64 v[38:39], v[48:49], v[46:47]
	v_fmac_f64_e32 v[32:33], v[28:29], v[2:3]
	v_fmac_f64_e32 v[4:5], v[30:31], v[2:3]
	v_fma_f64 v[6:7], -v[48:49], v[36:37], v[6:7]
	v_fma_f64 v[8:9], -v[50:51], v[36:37], v[8:9]
	v_mul_f64 v[36:37], v[46:47], -v[50:51]
	v_fmac_f64_e32 v[38:39], v[50:51], v[44:45]
	v_add_f64 v[2:3], v[16:17], -v[32:33]
	v_add_f64 v[4:5], v[18:19], -v[4:5]
	v_fmac_f64_e32 v[36:37], v[48:49], v[44:45]
	ds_write_b128 v56, v[2:5] offset:256
	v_mul_f64 v[2:3], v[38:39], v[30:31]
	v_mul_f64 v[4:5], v[38:39], -v[28:29]
	v_fma_f64 v[2:3], -v[28:29], v[36:37], v[2:3]
	v_fma_f64 v[4:5], -v[30:31], v[36:37], v[4:5]
	ds_write_b128 v56, v[2:5]
	v_mul_f64 v[2:3], v[26:27], -v[8:9]
	v_mul_f64 v[4:5], v[26:27], v[6:7]
	v_fmac_f64_e32 v[2:3], v[6:7], v[24:25]
	v_fmac_f64_e32 v[4:5], v[8:9], v[24:25]
	v_add_f64 v[2:3], v[20:21], -v[2:3]
	v_add_f64 v[4:5], v[22:23], -v[4:5]
	ds_write_b128 v56, v[2:5] offset:240
	v_mul_f64 v[2:3], v[26:27], v[42:43]
	v_mul_f64 v[4:5], v[42:43], -v[24:25]
	v_fma_f64 v[2:3], -v[24:25], v[40:41], v[2:3]
	v_fma_f64 v[4:5], -v[26:27], v[40:41], v[4:5]
	ds_write_b128 v56, v[6:9] offset:176
	ds_write_b128 v56, v[36:39] offset:64
	ds_write_b128 v56, v[40:43] offset:432
	ds_write_b128 v56, v[2:5] offset:496
.LBB276_6:
	s_or_b64 exec, exec, s[4:5]
	s_waitcnt lgkmcnt(0)
	; wave barrier
	s_and_saveexec_b64 s[4:5], s[2:3]
	s_cbranch_execz .LBB276_8
; %bb.7:
	v_lshlrev_b32_e32 v16, 2, v0
	v_max_u32_e32 v2, 1, v16
	v_lshlrev_b32_e32 v32, 4, v2
	ds_read_b128 v[2:5], v32 offset:624
	ds_read_b128 v[6:9], v15 offset:400
	v_min_u32_e32 v16, 3, v16
	v_lshlrev_b32_e32 v33, 4, v16
	ds_read_b128 v[16:19], v33 offset:576
	ds_read_b128 v[20:23], v15 offset:544
	;; [unrolled: 1-line block ×3, first 2 shown]
	s_waitcnt lgkmcnt(3)
	v_mul_f64 v[28:29], v[4:5], -v[8:9]
	v_fmac_f64_e32 v[28:29], v[6:7], v[2:3]
	v_mul_f64 v[30:31], v[4:5], v[6:7]
	ds_read_b128 v[4:7], v15 offset:144
	v_fmac_f64_e32 v[30:31], v[8:9], v[2:3]
	s_waitcnt lgkmcnt(1)
	v_add_f64 v[2:3], v[24:25], -v[28:29]
	v_add_f64 v[8:9], v[26:27], -v[30:31]
	ds_read_b128 v[24:27], v15 offset:288
	s_waitcnt lgkmcnt(1)
	v_mul_f64 v[28:29], v[18:19], -v[6:7]
	v_fmac_f64_e32 v[28:29], v[4:5], v[16:17]
	v_mul_f64 v[4:5], v[18:19], v[4:5]
	v_fmac_f64_e32 v[4:5], v[6:7], v[16:17]
	v_add_f64 v[2:3], v[2:3], -v[28:29]
	v_add_f64 v[4:5], v[8:9], -v[4:5]
	ds_write_b128 v15, v[2:5] offset:656
	ds_read_b128 v[2:5], v32 offset:624
	ds_read_b128 v[6:9], v15 offset:32
	s_waitcnt lgkmcnt(1)
	v_mul_f64 v[16:17], v[4:5], -v[26:27]
	v_mul_f64 v[4:5], v[4:5], v[24:25]
	v_fmac_f64_e32 v[16:17], v[24:25], v[2:3]
	v_fmac_f64_e32 v[4:5], v[26:27], v[2:3]
	v_add_f64 v[2:3], v[20:21], -v[16:17]
	v_add_f64 v[4:5], v[22:23], -v[4:5]
	ds_write_b128 v15, v[2:5] offset:544
	ds_read_b128 v[16:19], v33 offset:576
	s_waitcnt lgkmcnt(0)
	v_mul_f64 v[20:21], v[18:19], -v[8:9]
	v_fmac_f64_e32 v[20:21], v[6:7], v[16:17]
	v_mul_f64 v[6:7], v[18:19], v[6:7]
	v_fmac_f64_e32 v[6:7], v[8:9], v[16:17]
	v_add_f64 v[2:3], v[2:3], -v[20:21]
	v_add_f64 v[4:5], v[4:5], -v[6:7]
	ds_write_b128 v15, v[2:5] offset:544
.LBB276_8:
	s_or_b64 exec, exec, s[4:5]
	v_or_b32_e32 v2, 0x280, v14
	s_waitcnt lgkmcnt(0)
	; wave barrier
	s_and_saveexec_b64 s[2:3], s[0:1]
	s_cbranch_execz .LBB276_10
; %bb.9:
	v_lshlrev_b32_e32 v3, 1, v0
	v_max_u32_e32 v4, 1, v3
	v_lshlrev_b32_e32 v34, 4, v4
	v_lshlrev_b32_e32 v0, 5, v0
	ds_read_b128 v[4:7], v34 offset:624
	ds_read_b128 v[14:17], v0 offset:384
	v_min_u32_e32 v3, 5, v3
	v_lshlrev_b32_e32 v3, 4, v3
	ds_read_b128 v[18:21], v3 offset:544
	ds_read_b128 v[22:25], v0 offset:272
	;; [unrolled: 1-line block ×3, first 2 shown]
	s_waitcnt lgkmcnt(3)
	v_mul_f64 v[8:9], v[6:7], -v[16:17]
	v_mul_f64 v[30:31], v[6:7], v[14:15]
	v_fmac_f64_e32 v[8:9], v[14:15], v[4:5]
	v_fmac_f64_e32 v[30:31], v[16:17], v[4:5]
	ds_read_b128 v[4:7], v0 offset:128
	ds_read_b128 v[14:17], v0 offset:528
	s_waitcnt lgkmcnt(2)
	v_add_f64 v[8:9], v[26:27], -v[8:9]
	v_add_f64 v[30:31], v[28:29], -v[30:31]
	ds_read_b128 v[26:29], v0 offset:16
	s_waitcnt lgkmcnt(2)
	v_mul_f64 v[32:33], v[20:21], -v[6:7]
	v_mul_f64 v[20:21], v[20:21], v[4:5]
	v_fmac_f64_e32 v[32:33], v[4:5], v[18:19]
	v_fmac_f64_e32 v[20:21], v[6:7], v[18:19]
	v_add_f64 v[4:5], v[8:9], -v[32:33]
	v_add_f64 v[6:7], v[30:31], -v[20:21]
	ds_write_b128 v0, v[4:7] offset:640
	ds_read_b128 v[4:7], v34 offset:624
	s_waitcnt lgkmcnt(0)
	v_mul_f64 v[8:9], v[6:7], -v[24:25]
	v_mul_f64 v[6:7], v[6:7], v[22:23]
	v_fmac_f64_e32 v[8:9], v[22:23], v[4:5]
	v_fmac_f64_e32 v[6:7], v[24:25], v[4:5]
	v_add_f64 v[4:5], v[14:15], -v[8:9]
	v_add_f64 v[6:7], v[16:17], -v[6:7]
	ds_write_b128 v0, v[4:7] offset:528
	;; [unrolled: 9-line block ×3, first 2 shown]
.LBB276_10:
	s_or_b64 exec, exec, s[2:3]
	s_waitcnt lgkmcnt(0)
	; wave barrier
	ds_read2_b64 v[4:7], v1 offset1:1
	ds_read2_b64 v[0:3], v2 offset1:1
	s_waitcnt lgkmcnt(1)
	global_store_dwordx4 v[10:11], v[4:7], off
	s_waitcnt lgkmcnt(0)
	global_store_dwordx4 v[12:13], v[0:3], off
	s_endpgm
	.section	.rodata,"a",@progbits
	.p2align	6, 0x0
	.amdhsa_kernel _ZN9rocsparseL34gtsv_solve_spike_grid_level_kernelILj8E21rocsparse_complex_numIdEEEviiiPT0_PKS3_S6_
		.amdhsa_group_segment_fixed_size 768
		.amdhsa_private_segment_fixed_size 0
		.amdhsa_kernarg_size 40
		.amdhsa_user_sgpr_count 2
		.amdhsa_user_sgpr_dispatch_ptr 0
		.amdhsa_user_sgpr_queue_ptr 0
		.amdhsa_user_sgpr_kernarg_segment_ptr 1
		.amdhsa_user_sgpr_dispatch_id 0
		.amdhsa_user_sgpr_kernarg_preload_length 0
		.amdhsa_user_sgpr_kernarg_preload_offset 0
		.amdhsa_user_sgpr_private_segment_size 0
		.amdhsa_uses_dynamic_stack 0
		.amdhsa_enable_private_segment 0
		.amdhsa_system_sgpr_workgroup_id_x 1
		.amdhsa_system_sgpr_workgroup_id_y 1
		.amdhsa_system_sgpr_workgroup_id_z 0
		.amdhsa_system_sgpr_workgroup_info 0
		.amdhsa_system_vgpr_workitem_id 0
		.amdhsa_next_free_vgpr 58
		.amdhsa_next_free_sgpr 10
		.amdhsa_accum_offset 60
		.amdhsa_reserve_vcc 1
		.amdhsa_float_round_mode_32 0
		.amdhsa_float_round_mode_16_64 0
		.amdhsa_float_denorm_mode_32 3
		.amdhsa_float_denorm_mode_16_64 3
		.amdhsa_dx10_clamp 1
		.amdhsa_ieee_mode 1
		.amdhsa_fp16_overflow 0
		.amdhsa_tg_split 0
		.amdhsa_exception_fp_ieee_invalid_op 0
		.amdhsa_exception_fp_denorm_src 0
		.amdhsa_exception_fp_ieee_div_zero 0
		.amdhsa_exception_fp_ieee_overflow 0
		.amdhsa_exception_fp_ieee_underflow 0
		.amdhsa_exception_fp_ieee_inexact 0
		.amdhsa_exception_int_div_zero 0
	.end_amdhsa_kernel
	.section	.text._ZN9rocsparseL34gtsv_solve_spike_grid_level_kernelILj8E21rocsparse_complex_numIdEEEviiiPT0_PKS3_S6_,"axG",@progbits,_ZN9rocsparseL34gtsv_solve_spike_grid_level_kernelILj8E21rocsparse_complex_numIdEEEviiiPT0_PKS3_S6_,comdat
.Lfunc_end276:
	.size	_ZN9rocsparseL34gtsv_solve_spike_grid_level_kernelILj8E21rocsparse_complex_numIdEEEviiiPT0_PKS3_S6_, .Lfunc_end276-_ZN9rocsparseL34gtsv_solve_spike_grid_level_kernelILj8E21rocsparse_complex_numIdEEEviiiPT0_PKS3_S6_
                                        ; -- End function
	.set _ZN9rocsparseL34gtsv_solve_spike_grid_level_kernelILj8E21rocsparse_complex_numIdEEEviiiPT0_PKS3_S6_.num_vgpr, 58
	.set _ZN9rocsparseL34gtsv_solve_spike_grid_level_kernelILj8E21rocsparse_complex_numIdEEEviiiPT0_PKS3_S6_.num_agpr, 0
	.set _ZN9rocsparseL34gtsv_solve_spike_grid_level_kernelILj8E21rocsparse_complex_numIdEEEviiiPT0_PKS3_S6_.numbered_sgpr, 10
	.set _ZN9rocsparseL34gtsv_solve_spike_grid_level_kernelILj8E21rocsparse_complex_numIdEEEviiiPT0_PKS3_S6_.num_named_barrier, 0
	.set _ZN9rocsparseL34gtsv_solve_spike_grid_level_kernelILj8E21rocsparse_complex_numIdEEEviiiPT0_PKS3_S6_.private_seg_size, 0
	.set _ZN9rocsparseL34gtsv_solve_spike_grid_level_kernelILj8E21rocsparse_complex_numIdEEEviiiPT0_PKS3_S6_.uses_vcc, 1
	.set _ZN9rocsparseL34gtsv_solve_spike_grid_level_kernelILj8E21rocsparse_complex_numIdEEEviiiPT0_PKS3_S6_.uses_flat_scratch, 0
	.set _ZN9rocsparseL34gtsv_solve_spike_grid_level_kernelILj8E21rocsparse_complex_numIdEEEviiiPT0_PKS3_S6_.has_dyn_sized_stack, 0
	.set _ZN9rocsparseL34gtsv_solve_spike_grid_level_kernelILj8E21rocsparse_complex_numIdEEEviiiPT0_PKS3_S6_.has_recursion, 0
	.set _ZN9rocsparseL34gtsv_solve_spike_grid_level_kernelILj8E21rocsparse_complex_numIdEEEviiiPT0_PKS3_S6_.has_indirect_call, 0
	.section	.AMDGPU.csdata,"",@progbits
; Kernel info:
; codeLenInByte = 3664
; TotalNumSgprs: 16
; NumVgprs: 58
; NumAgprs: 0
; TotalNumVgprs: 58
; ScratchSize: 0
; MemoryBound: 0
; FloatMode: 240
; IeeeMode: 1
; LDSByteSize: 768 bytes/workgroup (compile time only)
; SGPRBlocks: 1
; VGPRBlocks: 7
; NumSGPRsForWavesPerEU: 16
; NumVGPRsForWavesPerEU: 58
; AccumOffset: 60
; Occupancy: 8
; WaveLimiterHint : 0
; COMPUTE_PGM_RSRC2:SCRATCH_EN: 0
; COMPUTE_PGM_RSRC2:USER_SGPR: 2
; COMPUTE_PGM_RSRC2:TRAP_HANDLER: 0
; COMPUTE_PGM_RSRC2:TGID_X_EN: 1
; COMPUTE_PGM_RSRC2:TGID_Y_EN: 1
; COMPUTE_PGM_RSRC2:TGID_Z_EN: 0
; COMPUTE_PGM_RSRC2:TIDIG_COMP_CNT: 0
; COMPUTE_PGM_RSRC3_GFX90A:ACCUM_OFFSET: 14
; COMPUTE_PGM_RSRC3_GFX90A:TG_SPLIT: 0
	.section	.text._ZN9rocsparseL34gtsv_solve_spike_grid_level_kernelILj16E21rocsparse_complex_numIdEEEviiiPT0_PKS3_S6_,"axG",@progbits,_ZN9rocsparseL34gtsv_solve_spike_grid_level_kernelILj16E21rocsparse_complex_numIdEEEviiiPT0_PKS3_S6_,comdat
	.globl	_ZN9rocsparseL34gtsv_solve_spike_grid_level_kernelILj16E21rocsparse_complex_numIdEEEviiiPT0_PKS3_S6_ ; -- Begin function _ZN9rocsparseL34gtsv_solve_spike_grid_level_kernelILj16E21rocsparse_complex_numIdEEEviiiPT0_PKS3_S6_
	.p2align	8
	.type	_ZN9rocsparseL34gtsv_solve_spike_grid_level_kernelILj16E21rocsparse_complex_numIdEEEviiiPT0_PKS3_S6_,@function
_ZN9rocsparseL34gtsv_solve_spike_grid_level_kernelILj16E21rocsparse_complex_numIdEEEviiiPT0_PKS3_S6_: ; @_ZN9rocsparseL34gtsv_solve_spike_grid_level_kernelILj16E21rocsparse_complex_numIdEEEviiiPT0_PKS3_S6_
; %bb.0:
	s_load_dwordx4 s[4:7], s[0:1], 0x10
	s_load_dwordx2 s[8:9], s[0:1], 0x20
	v_lshl_or_b32 v12, s3, 5, v0
	v_mov_b32_e32 v13, 0
	v_lshlrev_b32_e32 v14, 4, v0
	s_waitcnt lgkmcnt(0)
	v_lshl_add_u64 v[10:11], v[12:13], 4, s[4:5]
	v_or_b32_e32 v12, 16, v12
	global_load_dwordx4 v[2:5], v14, s[6:7]
	global_load_dwordx4 v[6:9], v14, s[6:7] offset:256
	global_load_dwordx4 v[16:19], v14, s[8:9]
	global_load_dwordx4 v[20:23], v14, s[8:9] offset:256
	v_lshl_add_u64 v[12:13], v[12:13], 4, s[4:5]
	global_load_dwordx4 v[24:27], v[10:11], off
	global_load_dwordx4 v[28:31], v[12:13], off
	v_or_b32_e32 v1, 0x400, v14
	v_cmp_gt_u32_e64 s[0:1], 8, v0
	s_waitcnt vmcnt(5)
	ds_write2_b64 v14, v[2:3], v[4:5] offset0:64 offset1:65
	s_waitcnt vmcnt(4)
	ds_write2_b64 v14, v[6:7], v[8:9] offset0:96 offset1:97
	s_waitcnt vmcnt(3)
	ds_write2_b64 v14, v[16:17], v[18:19] offset1:1
	s_waitcnt vmcnt(2)
	ds_write2_b64 v14, v[20:21], v[22:23] offset0:32 offset1:33
	s_waitcnt vmcnt(1)
	ds_write2_b64 v14, v[24:25], v[26:27] offset0:128 offset1:129
	;; [unrolled: 2-line block ×3, first 2 shown]
	s_waitcnt lgkmcnt(0)
	; wave barrier
	s_and_saveexec_b64 s[2:3], s[0:1]
	s_cbranch_execz .LBB277_2
; %bb.1:
	v_or_b32_e32 v2, 0x200, v14
	v_add_u32_e32 v15, v2, v14
	v_add_u32_e32 v56, v14, v14
	ds_read_b128 v[2:5], v15 offset:16
	ds_read_b128 v[6:9], v56 offset:256
	;; [unrolled: 1-line block ×3, first 2 shown]
	ds_read_b128 v[20:23], v15
	v_add_u32_e32 v57, v1, v14
	s_waitcnt lgkmcnt(2)
	v_mul_f64 v[26:27], v[8:9], v[2:3]
	v_mul_f64 v[24:25], v[8:9], -v[4:5]
	v_fmac_f64_e32 v[26:27], v[4:5], v[6:7]
	v_fmac_f64_e32 v[24:25], v[2:3], v[6:7]
	v_add_f64 v[34:35], -v[26:27], 0
	v_add_f64 v[32:33], -v[24:25], 1.0
	v_mul_f64 v[24:25], v[34:35], v[34:35]
	v_fmac_f64_e32 v[24:25], v[32:33], v[32:33]
	v_div_scale_f64 v[26:27], s[4:5], v[24:25], v[24:25], 1.0
	v_rcp_f64_e32 v[28:29], v[26:27]
	v_fma_f64 v[38:39], 0, v[34:35], v[32:33]
	v_fma_f64 v[32:33], v[32:33], 0, -v[34:35]
	v_fma_f64 v[30:31], -v[26:27], v[28:29], 1.0
	v_fmac_f64_e32 v[28:29], v[28:29], v[30:31]
	v_fma_f64 v[30:31], -v[26:27], v[28:29], 1.0
	v_fmac_f64_e32 v[28:29], v[28:29], v[30:31]
	v_div_scale_f64 v[30:31], vcc, 1.0, v[24:25], 1.0
	v_mul_f64 v[36:37], v[30:31], v[28:29]
	v_fma_f64 v[26:27], -v[26:27], v[36:37], v[30:31]
	s_nop 1
	v_div_fmas_f64 v[26:27], v[26:27], v[28:29], v[36:37]
	v_div_fixup_f64 v[36:37], v[26:27], v[24:25], 1.0
	ds_read_b128 v[24:27], v57
	ds_read_b128 v[28:31], v57 offset:16
	v_mul_f64 v[50:51], v[32:33], v[36:37]
	ds_read_b128 v[32:35], v57 offset:256
	v_mul_f64 v[48:49], v[38:39], v[36:37]
	ds_read_b128 v[36:39], v57 offset:272
	s_waitcnt lgkmcnt(2)
	v_mul_f64 v[42:43], v[6:7], v[30:31]
	v_mul_f64 v[40:41], v[30:31], -v[8:9]
	v_fmac_f64_e32 v[42:43], v[8:9], v[28:29]
	v_fmac_f64_e32 v[40:41], v[6:7], v[28:29]
	s_waitcnt lgkmcnt(1)
	v_add_f64 v[46:47], v[34:35], -v[42:43]
	v_add_f64 v[44:45], v[32:33], -v[40:41]
	v_mul_f64 v[40:41], v[50:51], -v[46:47]
	v_fmac_f64_e32 v[40:41], v[44:45], v[48:49]
	v_mul_f64 v[42:43], v[50:51], v[44:45]
	v_mul_f64 v[44:45], v[4:5], -v[34:35]
	v_fmac_f64_e32 v[44:45], v[32:33], v[2:3]
	v_mul_f64 v[32:33], v[4:5], v[32:33]
	v_fmac_f64_e32 v[32:33], v[34:35], v[2:3]
	v_fmac_f64_e32 v[42:43], v[46:47], v[48:49]
	v_add_f64 v[46:47], v[30:31], -v[32:33]
	ds_read_b128 v[32:35], v56
	v_add_f64 v[44:45], v[28:29], -v[44:45]
	v_mul_f64 v[30:31], v[44:45], v[50:51]
	v_mul_f64 v[28:29], v[50:51], -v[46:47]
	v_fmac_f64_e32 v[30:31], v[46:47], v[48:49]
	v_fmac_f64_e32 v[28:29], v[44:45], v[48:49]
	ds_read_b128 v[44:47], v56 offset:16
	s_waitcnt lgkmcnt(1)
	v_mul_f64 v[52:53], v[30:31], -v[34:35]
	v_mul_f64 v[54:55], v[30:31], v[32:33]
	v_fmac_f64_e32 v[52:53], v[32:33], v[28:29]
	v_fmac_f64_e32 v[54:55], v[34:35], v[28:29]
	ds_write_b128 v57, v[28:31] offset:16
	ds_read_b128 v[28:31], v15 offset:272
	v_add_f64 v[24:25], v[24:25], -v[52:53]
	v_add_f64 v[26:27], v[26:27], -v[54:55]
	ds_write_b128 v57, v[24:27]
	ds_read_b128 v[24:27], v15 offset:256
	ds_write_b128 v57, v[40:43] offset:256
	s_waitcnt lgkmcnt(3)
	v_mul_f64 v[52:53], v[42:43], -v[30:31]
	v_mul_f64 v[42:43], v[42:43], v[28:29]
	v_fmac_f64_e32 v[52:53], v[28:29], v[40:41]
	v_fmac_f64_e32 v[42:43], v[30:31], v[40:41]
	s_waitcnt lgkmcnt(1)
	v_mul_f64 v[40:41], v[4:5], -v[26:27]
	v_mul_f64 v[4:5], v[4:5], v[24:25]
	v_fmac_f64_e32 v[4:5], v[26:27], v[2:3]
	v_add_f64 v[36:37], v[36:37], -v[52:53]
	v_add_f64 v[38:39], v[38:39], -v[42:43]
	v_fmac_f64_e32 v[40:41], v[24:25], v[2:3]
	v_mul_f64 v[2:3], v[50:51], v[4:5]
	v_mul_f64 v[4:5], v[4:5], -v[48:49]
	ds_write_b128 v57, v[36:39] offset:272
	v_mul_f64 v[38:39], v[6:7], v[46:47]
	v_fma_f64 v[2:3], -v[48:49], v[40:41], v[2:3]
	v_fma_f64 v[4:5], -v[50:51], v[40:41], v[4:5]
	v_mul_f64 v[40:41], v[26:27], -v[50:51]
	v_mul_f64 v[42:43], v[48:49], v[26:27]
	v_mul_f64 v[36:37], v[46:47], -v[8:9]
	v_fmac_f64_e32 v[38:39], v[8:9], v[44:45]
	ds_write_b128 v15, v[2:5] offset:16
	v_fmac_f64_e32 v[40:41], v[48:49], v[24:25]
	v_fmac_f64_e32 v[42:43], v[50:51], v[24:25]
	v_mul_f64 v[24:25], v[4:5], -v[34:35]
	v_mul_f64 v[4:5], v[4:5], v[32:33]
	v_fmac_f64_e32 v[36:37], v[6:7], v[44:45]
	v_mul_f64 v[6:7], v[50:51], v[38:39]
	v_mul_f64 v[8:9], v[38:39], -v[48:49]
	v_mul_f64 v[38:39], v[48:49], v[46:47]
	v_fmac_f64_e32 v[24:25], v[32:33], v[2:3]
	v_fmac_f64_e32 v[4:5], v[34:35], v[2:3]
	v_fma_f64 v[6:7], -v[48:49], v[36:37], v[6:7]
	v_fma_f64 v[8:9], -v[50:51], v[36:37], v[8:9]
	v_mul_f64 v[36:37], v[46:47], -v[50:51]
	v_fmac_f64_e32 v[38:39], v[50:51], v[44:45]
	v_add_f64 v[2:3], v[20:21], -v[24:25]
	v_add_f64 v[4:5], v[22:23], -v[4:5]
	v_fmac_f64_e32 v[36:37], v[48:49], v[44:45]
	ds_write_b128 v15, v[2:5]
	v_mul_f64 v[2:3], v[38:39], v[34:35]
	v_mul_f64 v[4:5], v[38:39], -v[32:33]
	v_fma_f64 v[2:3], -v[32:33], v[36:37], v[2:3]
	v_fma_f64 v[4:5], -v[34:35], v[36:37], v[4:5]
	ds_write_b128 v56, v[2:5]
	v_mul_f64 v[2:3], v[30:31], -v[8:9]
	v_mul_f64 v[4:5], v[30:31], v[6:7]
	v_fmac_f64_e32 v[2:3], v[6:7], v[28:29]
	v_fmac_f64_e32 v[4:5], v[8:9], v[28:29]
	v_add_f64 v[2:3], v[16:17], -v[2:3]
	v_add_f64 v[4:5], v[18:19], -v[4:5]
	ds_write_b128 v56, v[2:5] offset:272
	v_mul_f64 v[2:3], v[30:31], v[42:43]
	v_mul_f64 v[4:5], v[42:43], -v[28:29]
	v_fma_f64 v[2:3], -v[28:29], v[40:41], v[2:3]
	v_fma_f64 v[4:5], -v[30:31], v[40:41], v[4:5]
	ds_write_b128 v56, v[6:9] offset:256
	ds_write_b128 v56, v[36:39] offset:16
	;; [unrolled: 1-line block ×4, first 2 shown]
.LBB277_2:
	s_or_b64 exec, exec, s[2:3]
	v_cmp_gt_u32_e64 s[2:3], 4, v0
	v_lshlrev_b32_e32 v15, 6, v0
	s_waitcnt lgkmcnt(0)
	; wave barrier
	s_and_saveexec_b64 s[4:5], s[2:3]
	s_cbranch_execz .LBB277_4
; %bb.3:
	ds_read_b128 v[6:9], v15 offset:272
	ds_read_b128 v[2:5], v15 offset:544
	;; [unrolled: 1-line block ×4, first 2 shown]
	s_waitcnt lgkmcnt(2)
	v_mul_f64 v[26:27], v[8:9], v[2:3]
	v_mul_f64 v[24:25], v[8:9], -v[4:5]
	v_fmac_f64_e32 v[26:27], v[4:5], v[6:7]
	v_fmac_f64_e32 v[24:25], v[2:3], v[6:7]
	v_add_f64 v[30:31], -v[26:27], 0
	v_add_f64 v[28:29], -v[24:25], 1.0
	v_mul_f64 v[24:25], v[30:31], v[30:31]
	v_fmac_f64_e32 v[24:25], v[28:29], v[28:29]
	v_div_scale_f64 v[26:27], s[6:7], v[24:25], v[24:25], 1.0
	v_rcp_f64_e32 v[32:33], v[26:27]
	s_nop 0
	v_fma_f64 v[34:35], -v[26:27], v[32:33], 1.0
	v_fmac_f64_e32 v[32:33], v[32:33], v[34:35]
	v_fma_f64 v[34:35], -v[26:27], v[32:33], 1.0
	v_fmac_f64_e32 v[32:33], v[32:33], v[34:35]
	v_div_scale_f64 v[34:35], vcc, 1.0, v[24:25], 1.0
	v_mul_f64 v[36:37], v[34:35], v[32:33]
	v_fma_f64 v[26:27], -v[26:27], v[36:37], v[34:35]
	s_nop 1
	v_div_fmas_f64 v[26:27], v[26:27], v[32:33], v[36:37]
	v_div_fixup_f64 v[32:33], v[26:27], v[24:25], 1.0
	v_fma_f64 v[24:25], 0, v[30:31], v[28:29]
	v_mul_f64 v[48:49], v[24:25], v[32:33]
	ds_read_b128 v[24:27], v15 offset:1056
	v_fma_f64 v[28:29], v[28:29], 0, -v[30:31]
	v_mul_f64 v[50:51], v[28:29], v[32:33]
	ds_read_b128 v[28:31], v15 offset:1296
	ds_read_b128 v[32:35], v15 offset:1024
	;; [unrolled: 1-line block ×3, first 2 shown]
	s_waitcnt lgkmcnt(3)
	v_mul_f64 v[42:43], v[6:7], v[26:27]
	v_mul_f64 v[40:41], v[26:27], -v[8:9]
	v_fmac_f64_e32 v[42:43], v[8:9], v[24:25]
	v_fmac_f64_e32 v[40:41], v[6:7], v[24:25]
	s_waitcnt lgkmcnt(2)
	v_add_f64 v[46:47], v[30:31], -v[42:43]
	v_add_f64 v[44:45], v[28:29], -v[40:41]
	v_mul_f64 v[40:41], v[50:51], -v[46:47]
	v_fmac_f64_e32 v[40:41], v[44:45], v[48:49]
	v_mul_f64 v[42:43], v[50:51], v[44:45]
	v_mul_f64 v[44:45], v[4:5], -v[30:31]
	v_fmac_f64_e32 v[44:45], v[28:29], v[2:3]
	v_mul_f64 v[28:29], v[4:5], v[28:29]
	v_fmac_f64_e32 v[28:29], v[30:31], v[2:3]
	v_fmac_f64_e32 v[42:43], v[46:47], v[48:49]
	v_add_f64 v[46:47], v[26:27], -v[28:29]
	ds_read_b128 v[28:31], v15
	v_add_f64 v[44:45], v[24:25], -v[44:45]
	v_mul_f64 v[26:27], v[44:45], v[50:51]
	v_mul_f64 v[24:25], v[50:51], -v[46:47]
	v_fmac_f64_e32 v[26:27], v[46:47], v[48:49]
	v_fmac_f64_e32 v[24:25], v[44:45], v[48:49]
	ds_read_b128 v[44:47], v15 offset:32
	s_waitcnt lgkmcnt(1)
	v_mul_f64 v[52:53], v[26:27], -v[30:31]
	v_mul_f64 v[54:55], v[26:27], v[28:29]
	v_fmac_f64_e32 v[52:53], v[28:29], v[24:25]
	v_fmac_f64_e32 v[54:55], v[30:31], v[24:25]
	ds_write_b128 v15, v[24:27] offset:1056
	ds_read_b128 v[24:27], v15 offset:816
	v_add_f64 v[32:33], v[32:33], -v[52:53]
	v_add_f64 v[34:35], v[34:35], -v[54:55]
	ds_write_b128 v15, v[32:35] offset:1024
	ds_read_b128 v[32:35], v15 offset:784
	ds_write_b128 v15, v[40:43] offset:1296
	s_waitcnt lgkmcnt(3)
	v_mul_f64 v[52:53], v[42:43], -v[26:27]
	v_mul_f64 v[42:43], v[42:43], v[24:25]
	v_fmac_f64_e32 v[52:53], v[24:25], v[40:41]
	v_fmac_f64_e32 v[42:43], v[26:27], v[40:41]
	s_waitcnt lgkmcnt(1)
	v_mul_f64 v[40:41], v[4:5], -v[34:35]
	v_mul_f64 v[4:5], v[4:5], v[32:33]
	v_fmac_f64_e32 v[4:5], v[34:35], v[2:3]
	v_add_f64 v[36:37], v[36:37], -v[52:53]
	v_add_f64 v[38:39], v[38:39], -v[42:43]
	v_fmac_f64_e32 v[40:41], v[32:33], v[2:3]
	v_mul_f64 v[2:3], v[50:51], v[4:5]
	v_mul_f64 v[4:5], v[4:5], -v[48:49]
	ds_write_b128 v15, v[36:39] offset:1328
	v_mul_f64 v[38:39], v[6:7], v[46:47]
	v_fma_f64 v[2:3], -v[48:49], v[40:41], v[2:3]
	v_fma_f64 v[4:5], -v[50:51], v[40:41], v[4:5]
	v_mul_f64 v[40:41], v[34:35], -v[50:51]
	v_mul_f64 v[42:43], v[48:49], v[34:35]
	v_mul_f64 v[36:37], v[46:47], -v[8:9]
	v_fmac_f64_e32 v[38:39], v[8:9], v[44:45]
	ds_write_b128 v15, v[2:5] offset:544
	v_fmac_f64_e32 v[40:41], v[48:49], v[32:33]
	v_fmac_f64_e32 v[42:43], v[50:51], v[32:33]
	v_mul_f64 v[32:33], v[4:5], -v[30:31]
	v_mul_f64 v[4:5], v[4:5], v[28:29]
	v_fmac_f64_e32 v[36:37], v[6:7], v[44:45]
	v_mul_f64 v[6:7], v[50:51], v[38:39]
	v_mul_f64 v[8:9], v[38:39], -v[48:49]
	v_mul_f64 v[38:39], v[48:49], v[46:47]
	v_fmac_f64_e32 v[32:33], v[28:29], v[2:3]
	v_fmac_f64_e32 v[4:5], v[30:31], v[2:3]
	v_fma_f64 v[6:7], -v[48:49], v[36:37], v[6:7]
	v_fma_f64 v[8:9], -v[50:51], v[36:37], v[8:9]
	v_mul_f64 v[36:37], v[46:47], -v[50:51]
	v_fmac_f64_e32 v[38:39], v[50:51], v[44:45]
	v_add_f64 v[2:3], v[16:17], -v[32:33]
	v_add_f64 v[4:5], v[18:19], -v[4:5]
	v_fmac_f64_e32 v[36:37], v[48:49], v[44:45]
	ds_write_b128 v15, v[2:5] offset:512
	v_mul_f64 v[2:3], v[38:39], v[30:31]
	v_mul_f64 v[4:5], v[38:39], -v[28:29]
	v_fma_f64 v[2:3], -v[28:29], v[36:37], v[2:3]
	v_fma_f64 v[4:5], -v[30:31], v[36:37], v[4:5]
	ds_write_b128 v15, v[2:5]
	v_mul_f64 v[2:3], v[26:27], -v[8:9]
	v_mul_f64 v[4:5], v[26:27], v[6:7]
	v_fmac_f64_e32 v[2:3], v[6:7], v[24:25]
	v_fmac_f64_e32 v[4:5], v[8:9], v[24:25]
	v_add_f64 v[2:3], v[20:21], -v[2:3]
	v_add_f64 v[4:5], v[22:23], -v[4:5]
	ds_write_b128 v15, v[2:5] offset:304
	v_mul_f64 v[2:3], v[26:27], v[42:43]
	v_mul_f64 v[4:5], v[42:43], -v[24:25]
	v_fma_f64 v[2:3], -v[24:25], v[40:41], v[2:3]
	v_fma_f64 v[4:5], -v[26:27], v[40:41], v[4:5]
	ds_write_b128 v15, v[6:9] offset:272
	ds_write_b128 v15, v[36:39] offset:32
	;; [unrolled: 1-line block ×4, first 2 shown]
.LBB277_4:
	s_or_b64 exec, exec, s[4:5]
	v_cmp_gt_u32_e64 s[4:5], 2, v0
	v_lshlrev_b32_e32 v16, 7, v0
	s_waitcnt lgkmcnt(0)
	; wave barrier
	s_and_saveexec_b64 s[6:7], s[4:5]
	s_cbranch_execz .LBB277_6
; %bb.5:
	ds_read_b128 v[6:9], v16 offset:304
	ds_read_b128 v[2:5], v16 offset:576
	;; [unrolled: 1-line block ×4, first 2 shown]
	s_waitcnt lgkmcnt(2)
	v_mul_f64 v[28:29], v[8:9], v[2:3]
	v_mul_f64 v[26:27], v[8:9], -v[4:5]
	v_fmac_f64_e32 v[28:29], v[4:5], v[6:7]
	v_fmac_f64_e32 v[26:27], v[2:3], v[6:7]
	v_add_f64 v[32:33], -v[28:29], 0
	v_add_f64 v[30:31], -v[26:27], 1.0
	v_mul_f64 v[26:27], v[32:33], v[32:33]
	v_fmac_f64_e32 v[26:27], v[30:31], v[30:31]
	v_div_scale_f64 v[28:29], s[8:9], v[26:27], v[26:27], 1.0
	v_rcp_f64_e32 v[34:35], v[28:29]
	s_nop 0
	v_fma_f64 v[36:37], -v[28:29], v[34:35], 1.0
	v_fmac_f64_e32 v[34:35], v[34:35], v[36:37]
	v_fma_f64 v[36:37], -v[28:29], v[34:35], 1.0
	v_fmac_f64_e32 v[34:35], v[34:35], v[36:37]
	v_div_scale_f64 v[36:37], vcc, 1.0, v[26:27], 1.0
	v_mul_f64 v[38:39], v[36:37], v[34:35]
	v_fma_f64 v[28:29], -v[28:29], v[38:39], v[36:37]
	s_nop 1
	v_div_fmas_f64 v[28:29], v[28:29], v[34:35], v[38:39]
	v_div_fixup_f64 v[34:35], v[28:29], v[26:27], 1.0
	v_fma_f64 v[26:27], 0, v[32:33], v[30:31]
	v_mul_f64 v[50:51], v[26:27], v[34:35]
	ds_read_b128 v[26:29], v16 offset:1088
	v_fma_f64 v[30:31], v[30:31], 0, -v[32:33]
	v_mul_f64 v[52:53], v[30:31], v[34:35]
	ds_read_b128 v[30:33], v16 offset:1328
	ds_read_b128 v[34:37], v16 offset:1024
	;; [unrolled: 1-line block ×3, first 2 shown]
	s_waitcnt lgkmcnt(3)
	v_mul_f64 v[44:45], v[6:7], v[28:29]
	v_mul_f64 v[42:43], v[28:29], -v[8:9]
	v_fmac_f64_e32 v[44:45], v[8:9], v[26:27]
	v_fmac_f64_e32 v[42:43], v[6:7], v[26:27]
	s_waitcnt lgkmcnt(2)
	v_add_f64 v[48:49], v[32:33], -v[44:45]
	v_add_f64 v[46:47], v[30:31], -v[42:43]
	v_mul_f64 v[42:43], v[52:53], -v[48:49]
	v_fmac_f64_e32 v[42:43], v[46:47], v[50:51]
	v_mul_f64 v[44:45], v[52:53], v[46:47]
	v_mul_f64 v[46:47], v[4:5], -v[32:33]
	v_fmac_f64_e32 v[46:47], v[30:31], v[2:3]
	v_mul_f64 v[30:31], v[4:5], v[30:31]
	v_fmac_f64_e32 v[30:31], v[32:33], v[2:3]
	v_fmac_f64_e32 v[44:45], v[48:49], v[50:51]
	v_add_f64 v[48:49], v[28:29], -v[30:31]
	ds_read_b128 v[30:33], v16
	v_add_f64 v[46:47], v[26:27], -v[46:47]
	v_mul_f64 v[28:29], v[46:47], v[52:53]
	v_mul_f64 v[26:27], v[52:53], -v[48:49]
	v_fmac_f64_e32 v[28:29], v[48:49], v[50:51]
	v_fmac_f64_e32 v[26:27], v[46:47], v[50:51]
	ds_read_b128 v[46:49], v16 offset:64
	s_waitcnt lgkmcnt(1)
	v_mul_f64 v[54:55], v[28:29], -v[32:33]
	v_mul_f64 v[56:57], v[28:29], v[30:31]
	v_fmac_f64_e32 v[54:55], v[30:31], v[26:27]
	v_fmac_f64_e32 v[56:57], v[32:33], v[26:27]
	ds_write_b128 v16, v[26:29] offset:1088
	ds_read_b128 v[26:29], v16 offset:880
	v_add_f64 v[34:35], v[34:35], -v[54:55]
	v_add_f64 v[36:37], v[36:37], -v[56:57]
	ds_write_b128 v16, v[34:37] offset:1024
	ds_read_b128 v[34:37], v16 offset:816
	ds_write_b128 v16, v[42:45] offset:1328
	s_waitcnt lgkmcnt(3)
	v_mul_f64 v[54:55], v[44:45], -v[28:29]
	v_mul_f64 v[44:45], v[44:45], v[26:27]
	v_fmac_f64_e32 v[54:55], v[26:27], v[42:43]
	v_fmac_f64_e32 v[44:45], v[28:29], v[42:43]
	s_waitcnt lgkmcnt(1)
	v_mul_f64 v[42:43], v[4:5], -v[36:37]
	v_mul_f64 v[4:5], v[4:5], v[34:35]
	v_fmac_f64_e32 v[4:5], v[36:37], v[2:3]
	v_add_f64 v[38:39], v[38:39], -v[54:55]
	v_add_f64 v[40:41], v[40:41], -v[44:45]
	v_fmac_f64_e32 v[42:43], v[34:35], v[2:3]
	v_mul_f64 v[2:3], v[52:53], v[4:5]
	v_mul_f64 v[4:5], v[4:5], -v[50:51]
	ds_write_b128 v16, v[38:41] offset:1392
	v_mul_f64 v[40:41], v[6:7], v[48:49]
	v_fma_f64 v[2:3], -v[50:51], v[42:43], v[2:3]
	v_fma_f64 v[4:5], -v[52:53], v[42:43], v[4:5]
	v_mul_f64 v[42:43], v[36:37], -v[52:53]
	v_mul_f64 v[44:45], v[50:51], v[36:37]
	v_mul_f64 v[38:39], v[48:49], -v[8:9]
	v_fmac_f64_e32 v[40:41], v[8:9], v[46:47]
	ds_write_b128 v16, v[2:5] offset:576
	v_fmac_f64_e32 v[42:43], v[50:51], v[34:35]
	v_fmac_f64_e32 v[44:45], v[52:53], v[34:35]
	v_mul_f64 v[34:35], v[4:5], -v[32:33]
	v_mul_f64 v[4:5], v[4:5], v[30:31]
	v_fmac_f64_e32 v[38:39], v[6:7], v[46:47]
	v_mul_f64 v[6:7], v[52:53], v[40:41]
	v_mul_f64 v[8:9], v[40:41], -v[50:51]
	v_mul_f64 v[40:41], v[50:51], v[48:49]
	v_fmac_f64_e32 v[34:35], v[30:31], v[2:3]
	v_fmac_f64_e32 v[4:5], v[32:33], v[2:3]
	v_fma_f64 v[6:7], -v[50:51], v[38:39], v[6:7]
	v_fma_f64 v[8:9], -v[52:53], v[38:39], v[8:9]
	v_mul_f64 v[38:39], v[48:49], -v[52:53]
	v_fmac_f64_e32 v[40:41], v[52:53], v[46:47]
	v_add_f64 v[2:3], v[18:19], -v[34:35]
	v_add_f64 v[4:5], v[20:21], -v[4:5]
	v_fmac_f64_e32 v[38:39], v[50:51], v[46:47]
	ds_write_b128 v16, v[2:5] offset:512
	v_mul_f64 v[2:3], v[40:41], v[32:33]
	v_mul_f64 v[4:5], v[40:41], -v[30:31]
	v_fma_f64 v[2:3], -v[30:31], v[38:39], v[2:3]
	v_fma_f64 v[4:5], -v[32:33], v[38:39], v[4:5]
	ds_write_b128 v16, v[2:5]
	v_mul_f64 v[2:3], v[28:29], -v[8:9]
	v_mul_f64 v[4:5], v[28:29], v[6:7]
	v_fmac_f64_e32 v[2:3], v[6:7], v[26:27]
	v_fmac_f64_e32 v[4:5], v[8:9], v[26:27]
	v_add_f64 v[2:3], v[22:23], -v[2:3]
	v_add_f64 v[4:5], v[24:25], -v[4:5]
	ds_write_b128 v16, v[2:5] offset:368
	v_mul_f64 v[2:3], v[28:29], v[44:45]
	v_mul_f64 v[4:5], v[44:45], -v[26:27]
	v_fma_f64 v[2:3], -v[26:27], v[42:43], v[2:3]
	v_fma_f64 v[4:5], -v[28:29], v[42:43], v[4:5]
	ds_write_b128 v16, v[6:9] offset:304
	ds_write_b128 v16, v[38:41] offset:64
	ds_write_b128 v16, v[42:45] offset:816
	ds_write_b128 v16, v[2:5] offset:880
.LBB277_6:
	s_or_b64 exec, exec, s[6:7]
	v_cmp_eq_u32_e32 vcc, 0, v0
	s_waitcnt lgkmcnt(0)
	; wave barrier
	s_and_saveexec_b64 s[6:7], vcc
	s_cbranch_execz .LBB277_8
; %bb.7:
	v_mov_b32_e32 v17, 0
	ds_read_b128 v[6:9], v17 offset:368
	ds_read_b128 v[2:5], v17 offset:640
	;; [unrolled: 1-line block ×4, first 2 shown]
	s_waitcnt lgkmcnt(2)
	v_mul_f64 v[28:29], v[8:9], v[2:3]
	v_mul_f64 v[26:27], v[8:9], -v[4:5]
	v_fmac_f64_e32 v[28:29], v[4:5], v[6:7]
	v_fmac_f64_e32 v[26:27], v[2:3], v[6:7]
	v_add_f64 v[32:33], -v[28:29], 0
	v_add_f64 v[30:31], -v[26:27], 1.0
	v_mul_f64 v[26:27], v[32:33], v[32:33]
	v_fmac_f64_e32 v[26:27], v[30:31], v[30:31]
	v_div_scale_f64 v[28:29], s[8:9], v[26:27], v[26:27], 1.0
	v_rcp_f64_e32 v[34:35], v[28:29]
	s_nop 0
	v_fma_f64 v[36:37], -v[28:29], v[34:35], 1.0
	v_fmac_f64_e32 v[34:35], v[34:35], v[36:37]
	v_fma_f64 v[36:37], -v[28:29], v[34:35], 1.0
	v_fmac_f64_e32 v[34:35], v[34:35], v[36:37]
	v_div_scale_f64 v[36:37], vcc, 1.0, v[26:27], 1.0
	v_mul_f64 v[38:39], v[36:37], v[34:35]
	v_fma_f64 v[28:29], -v[28:29], v[38:39], v[36:37]
	s_nop 1
	v_div_fmas_f64 v[28:29], v[28:29], v[34:35], v[38:39]
	v_div_fixup_f64 v[34:35], v[28:29], v[26:27], 1.0
	v_fma_f64 v[26:27], 0, v[32:33], v[30:31]
	v_mul_f64 v[50:51], v[26:27], v[34:35]
	ds_read_b128 v[26:29], v17 offset:1152
	v_fma_f64 v[30:31], v[30:31], 0, -v[32:33]
	v_mul_f64 v[52:53], v[30:31], v[34:35]
	ds_read_b128 v[30:33], v17 offset:1392
	ds_read_b128 v[34:37], v17 offset:1024
	;; [unrolled: 1-line block ×3, first 2 shown]
	s_waitcnt lgkmcnt(3)
	v_mul_f64 v[44:45], v[6:7], v[28:29]
	v_mul_f64 v[42:43], v[28:29], -v[8:9]
	v_fmac_f64_e32 v[44:45], v[8:9], v[26:27]
	v_fmac_f64_e32 v[42:43], v[6:7], v[26:27]
	s_waitcnt lgkmcnt(2)
	v_add_f64 v[48:49], v[32:33], -v[44:45]
	v_add_f64 v[46:47], v[30:31], -v[42:43]
	v_mul_f64 v[42:43], v[52:53], -v[48:49]
	v_fmac_f64_e32 v[42:43], v[46:47], v[50:51]
	v_mul_f64 v[44:45], v[52:53], v[46:47]
	v_mul_f64 v[46:47], v[4:5], -v[32:33]
	v_fmac_f64_e32 v[46:47], v[30:31], v[2:3]
	v_mul_f64 v[30:31], v[4:5], v[30:31]
	v_fmac_f64_e32 v[30:31], v[32:33], v[2:3]
	v_fmac_f64_e32 v[44:45], v[48:49], v[50:51]
	v_add_f64 v[48:49], v[28:29], -v[30:31]
	ds_read_b128 v[30:33], v17
	v_add_f64 v[46:47], v[26:27], -v[46:47]
	v_mul_f64 v[28:29], v[46:47], v[52:53]
	v_mul_f64 v[26:27], v[52:53], -v[48:49]
	v_fmac_f64_e32 v[28:29], v[48:49], v[50:51]
	v_fmac_f64_e32 v[26:27], v[46:47], v[50:51]
	ds_read_b128 v[46:49], v17 offset:128
	s_waitcnt lgkmcnt(1)
	v_mul_f64 v[54:55], v[28:29], -v[32:33]
	v_mul_f64 v[56:57], v[28:29], v[30:31]
	v_fmac_f64_e32 v[54:55], v[30:31], v[26:27]
	v_fmac_f64_e32 v[56:57], v[32:33], v[26:27]
	ds_write_b128 v17, v[26:29] offset:1152
	ds_read_b128 v[26:29], v17 offset:1008
	v_add_f64 v[34:35], v[34:35], -v[54:55]
	v_add_f64 v[36:37], v[36:37], -v[56:57]
	ds_write_b128 v17, v[34:37] offset:1024
	ds_read_b128 v[34:37], v17 offset:880
	ds_write_b128 v17, v[42:45] offset:1392
	s_waitcnt lgkmcnt(3)
	v_mul_f64 v[54:55], v[44:45], -v[28:29]
	v_mul_f64 v[44:45], v[44:45], v[26:27]
	v_fmac_f64_e32 v[54:55], v[26:27], v[42:43]
	v_fmac_f64_e32 v[44:45], v[28:29], v[42:43]
	s_waitcnt lgkmcnt(1)
	v_mul_f64 v[42:43], v[4:5], -v[36:37]
	v_mul_f64 v[4:5], v[4:5], v[34:35]
	v_fmac_f64_e32 v[4:5], v[36:37], v[2:3]
	v_add_f64 v[38:39], v[38:39], -v[54:55]
	v_add_f64 v[40:41], v[40:41], -v[44:45]
	v_fmac_f64_e32 v[42:43], v[34:35], v[2:3]
	v_mul_f64 v[2:3], v[52:53], v[4:5]
	v_mul_f64 v[4:5], v[4:5], -v[50:51]
	ds_write_b128 v17, v[38:41] offset:1520
	v_mul_f64 v[40:41], v[6:7], v[48:49]
	v_fma_f64 v[2:3], -v[50:51], v[42:43], v[2:3]
	v_fma_f64 v[4:5], -v[52:53], v[42:43], v[4:5]
	v_mul_f64 v[42:43], v[36:37], -v[52:53]
	v_mul_f64 v[44:45], v[50:51], v[36:37]
	v_mul_f64 v[38:39], v[48:49], -v[8:9]
	v_fmac_f64_e32 v[40:41], v[8:9], v[46:47]
	ds_write_b128 v17, v[2:5] offset:640
	v_fmac_f64_e32 v[42:43], v[50:51], v[34:35]
	v_fmac_f64_e32 v[44:45], v[52:53], v[34:35]
	v_mul_f64 v[34:35], v[4:5], -v[32:33]
	v_mul_f64 v[4:5], v[4:5], v[30:31]
	v_fmac_f64_e32 v[38:39], v[6:7], v[46:47]
	v_mul_f64 v[6:7], v[52:53], v[40:41]
	v_mul_f64 v[8:9], v[40:41], -v[50:51]
	v_mul_f64 v[40:41], v[50:51], v[48:49]
	v_fmac_f64_e32 v[34:35], v[30:31], v[2:3]
	v_fmac_f64_e32 v[4:5], v[32:33], v[2:3]
	v_fma_f64 v[6:7], -v[50:51], v[38:39], v[6:7]
	v_fma_f64 v[8:9], -v[52:53], v[38:39], v[8:9]
	v_mul_f64 v[38:39], v[48:49], -v[52:53]
	v_fmac_f64_e32 v[40:41], v[52:53], v[46:47]
	v_add_f64 v[2:3], v[18:19], -v[34:35]
	v_add_f64 v[4:5], v[20:21], -v[4:5]
	v_fmac_f64_e32 v[38:39], v[50:51], v[46:47]
	ds_write_b128 v17, v[2:5] offset:512
	v_mul_f64 v[2:3], v[40:41], v[32:33]
	v_mul_f64 v[4:5], v[40:41], -v[30:31]
	v_fma_f64 v[2:3], -v[30:31], v[38:39], v[2:3]
	v_fma_f64 v[4:5], -v[32:33], v[38:39], v[4:5]
	ds_write_b128 v17, v[2:5]
	v_mul_f64 v[2:3], v[28:29], -v[8:9]
	v_mul_f64 v[4:5], v[28:29], v[6:7]
	v_fmac_f64_e32 v[2:3], v[6:7], v[26:27]
	v_fmac_f64_e32 v[4:5], v[8:9], v[26:27]
	v_add_f64 v[2:3], v[22:23], -v[2:3]
	v_add_f64 v[4:5], v[24:25], -v[4:5]
	ds_write_b128 v17, v[2:5] offset:496
	v_mul_f64 v[2:3], v[28:29], v[44:45]
	v_mul_f64 v[4:5], v[44:45], -v[26:27]
	v_fma_f64 v[2:3], -v[26:27], v[42:43], v[2:3]
	v_fma_f64 v[4:5], -v[28:29], v[42:43], v[4:5]
	ds_write_b128 v17, v[6:9] offset:368
	ds_write_b128 v17, v[38:41] offset:128
	;; [unrolled: 1-line block ×4, first 2 shown]
.LBB277_8:
	s_or_b64 exec, exec, s[6:7]
	s_waitcnt lgkmcnt(0)
	; wave barrier
	s_and_saveexec_b64 s[6:7], s[4:5]
	s_cbranch_execz .LBB277_10
; %bb.9:
	v_lshlrev_b32_e32 v17, 3, v0
	v_max_u32_e32 v2, 1, v17
	v_lshlrev_b32_e32 v34, 4, v2
	ds_read_b128 v[2:5], v34 offset:1264
	ds_read_b128 v[6:9], v16 offset:816
	v_min_u32_e32 v17, 7, v17
	v_lshlrev_b32_e32 v17, 4, v17
	ds_read_b128 v[18:21], v17 offset:1152
	ds_read_b128 v[22:25], v16 offset:1088
	ds_read_b128 v[26:29], v16 offset:1328
	s_waitcnt lgkmcnt(3)
	v_mul_f64 v[30:31], v[4:5], -v[8:9]
	v_fmac_f64_e32 v[30:31], v[6:7], v[2:3]
	v_mul_f64 v[32:33], v[4:5], v[6:7]
	ds_read_b128 v[4:7], v16 offset:304
	v_fmac_f64_e32 v[32:33], v[8:9], v[2:3]
	s_waitcnt lgkmcnt(1)
	v_add_f64 v[2:3], v[26:27], -v[30:31]
	v_add_f64 v[8:9], v[28:29], -v[32:33]
	ds_read_b128 v[26:29], v16 offset:576
	s_waitcnt lgkmcnt(1)
	v_mul_f64 v[30:31], v[20:21], -v[6:7]
	v_fmac_f64_e32 v[30:31], v[4:5], v[18:19]
	v_mul_f64 v[4:5], v[20:21], v[4:5]
	v_fmac_f64_e32 v[4:5], v[6:7], v[18:19]
	v_add_f64 v[2:3], v[2:3], -v[30:31]
	v_add_f64 v[4:5], v[8:9], -v[4:5]
	ds_write_b128 v16, v[2:5] offset:1328
	ds_read_b128 v[2:5], v34 offset:1264
	ds_read_b128 v[6:9], v16 offset:64
	s_waitcnt lgkmcnt(1)
	v_mul_f64 v[18:19], v[4:5], -v[28:29]
	v_mul_f64 v[4:5], v[4:5], v[26:27]
	v_fmac_f64_e32 v[18:19], v[26:27], v[2:3]
	v_fmac_f64_e32 v[4:5], v[28:29], v[2:3]
	v_add_f64 v[2:3], v[22:23], -v[18:19]
	v_add_f64 v[4:5], v[24:25], -v[4:5]
	ds_write_b128 v16, v[2:5] offset:1088
	ds_read_b128 v[18:21], v17 offset:1152
	s_waitcnt lgkmcnt(0)
	v_mul_f64 v[22:23], v[20:21], -v[8:9]
	v_fmac_f64_e32 v[22:23], v[6:7], v[18:19]
	v_mul_f64 v[6:7], v[20:21], v[6:7]
	v_fmac_f64_e32 v[6:7], v[8:9], v[18:19]
	v_add_f64 v[2:3], v[2:3], -v[22:23]
	v_add_f64 v[4:5], v[4:5], -v[6:7]
	ds_write_b128 v16, v[2:5] offset:1088
.LBB277_10:
	s_or_b64 exec, exec, s[6:7]
	s_waitcnt lgkmcnt(0)
	; wave barrier
	s_and_saveexec_b64 s[4:5], s[2:3]
	s_cbranch_execz .LBB277_12
; %bb.11:
	v_lshlrev_b32_e32 v16, 2, v0
	v_max_u32_e32 v2, 1, v16
	v_lshlrev_b32_e32 v32, 4, v2
	ds_read_b128 v[2:5], v32 offset:1264
	ds_read_b128 v[6:9], v15 offset:784
	v_min_u32_e32 v16, 11, v16
	v_lshlrev_b32_e32 v33, 4, v16
	ds_read_b128 v[16:19], v33 offset:1088
	ds_read_b128 v[20:23], v15 offset:1056
	;; [unrolled: 1-line block ×3, first 2 shown]
	s_waitcnt lgkmcnt(3)
	v_mul_f64 v[28:29], v[4:5], -v[8:9]
	v_fmac_f64_e32 v[28:29], v[6:7], v[2:3]
	v_mul_f64 v[30:31], v[4:5], v[6:7]
	ds_read_b128 v[4:7], v15 offset:272
	v_fmac_f64_e32 v[30:31], v[8:9], v[2:3]
	s_waitcnt lgkmcnt(1)
	v_add_f64 v[2:3], v[24:25], -v[28:29]
	v_add_f64 v[8:9], v[26:27], -v[30:31]
	ds_read_b128 v[24:27], v15 offset:544
	s_waitcnt lgkmcnt(1)
	v_mul_f64 v[28:29], v[18:19], -v[6:7]
	v_fmac_f64_e32 v[28:29], v[4:5], v[16:17]
	v_mul_f64 v[4:5], v[18:19], v[4:5]
	v_fmac_f64_e32 v[4:5], v[6:7], v[16:17]
	v_add_f64 v[2:3], v[2:3], -v[28:29]
	v_add_f64 v[4:5], v[8:9], -v[4:5]
	ds_write_b128 v15, v[2:5] offset:1296
	ds_read_b128 v[2:5], v32 offset:1264
	ds_read_b128 v[6:9], v15 offset:32
	s_waitcnt lgkmcnt(1)
	v_mul_f64 v[16:17], v[4:5], -v[26:27]
	v_mul_f64 v[4:5], v[4:5], v[24:25]
	v_fmac_f64_e32 v[16:17], v[24:25], v[2:3]
	v_fmac_f64_e32 v[4:5], v[26:27], v[2:3]
	v_add_f64 v[2:3], v[20:21], -v[16:17]
	v_add_f64 v[4:5], v[22:23], -v[4:5]
	ds_write_b128 v15, v[2:5] offset:1056
	ds_read_b128 v[16:19], v33 offset:1088
	s_waitcnt lgkmcnt(0)
	v_mul_f64 v[20:21], v[18:19], -v[8:9]
	v_fmac_f64_e32 v[20:21], v[6:7], v[16:17]
	v_mul_f64 v[6:7], v[18:19], v[6:7]
	v_fmac_f64_e32 v[6:7], v[8:9], v[16:17]
	v_add_f64 v[2:3], v[2:3], -v[20:21]
	v_add_f64 v[4:5], v[4:5], -v[6:7]
	ds_write_b128 v15, v[2:5] offset:1056
.LBB277_12:
	s_or_b64 exec, exec, s[4:5]
	v_or_b32_e32 v2, 0x500, v14
	s_waitcnt lgkmcnt(0)
	; wave barrier
	s_and_saveexec_b64 s[2:3], s[0:1]
	s_cbranch_execz .LBB277_14
; %bb.13:
	v_lshlrev_b32_e32 v3, 1, v0
	v_max_u32_e32 v4, 1, v3
	v_lshlrev_b32_e32 v34, 4, v4
	v_lshlrev_b32_e32 v0, 5, v0
	ds_read_b128 v[4:7], v34 offset:1264
	ds_read_b128 v[14:17], v0 offset:768
	v_min_u32_e32 v3, 13, v3
	v_lshlrev_b32_e32 v3, 4, v3
	ds_read_b128 v[18:21], v3 offset:1056
	ds_read_b128 v[22:25], v0 offset:528
	ds_read_b128 v[26:29], v0 offset:1280
	s_waitcnt lgkmcnt(3)
	v_mul_f64 v[8:9], v[6:7], -v[16:17]
	v_mul_f64 v[30:31], v[6:7], v[14:15]
	v_fmac_f64_e32 v[8:9], v[14:15], v[4:5]
	v_fmac_f64_e32 v[30:31], v[16:17], v[4:5]
	ds_read_b128 v[4:7], v0 offset:256
	ds_read_b128 v[14:17], v0 offset:1040
	s_waitcnt lgkmcnt(2)
	v_add_f64 v[8:9], v[26:27], -v[8:9]
	v_add_f64 v[30:31], v[28:29], -v[30:31]
	ds_read_b128 v[26:29], v0 offset:16
	s_waitcnt lgkmcnt(2)
	v_mul_f64 v[32:33], v[20:21], -v[6:7]
	v_mul_f64 v[20:21], v[20:21], v[4:5]
	v_fmac_f64_e32 v[32:33], v[4:5], v[18:19]
	v_fmac_f64_e32 v[20:21], v[6:7], v[18:19]
	v_add_f64 v[4:5], v[8:9], -v[32:33]
	v_add_f64 v[6:7], v[30:31], -v[20:21]
	ds_write_b128 v0, v[4:7] offset:1280
	ds_read_b128 v[4:7], v34 offset:1264
	s_waitcnt lgkmcnt(0)
	v_mul_f64 v[8:9], v[6:7], -v[24:25]
	v_mul_f64 v[6:7], v[6:7], v[22:23]
	v_fmac_f64_e32 v[8:9], v[22:23], v[4:5]
	v_fmac_f64_e32 v[6:7], v[24:25], v[4:5]
	v_add_f64 v[4:5], v[14:15], -v[8:9]
	v_add_f64 v[6:7], v[16:17], -v[6:7]
	ds_write_b128 v0, v[4:7] offset:1040
	;; [unrolled: 9-line block ×3, first 2 shown]
.LBB277_14:
	s_or_b64 exec, exec, s[2:3]
	s_waitcnt lgkmcnt(0)
	; wave barrier
	ds_read2_b64 v[4:7], v1 offset1:1
	ds_read2_b64 v[0:3], v2 offset1:1
	s_waitcnt lgkmcnt(1)
	global_store_dwordx4 v[10:11], v[4:7], off
	s_waitcnt lgkmcnt(0)
	global_store_dwordx4 v[12:13], v[0:3], off
	s_endpgm
	.section	.rodata,"a",@progbits
	.p2align	6, 0x0
	.amdhsa_kernel _ZN9rocsparseL34gtsv_solve_spike_grid_level_kernelILj16E21rocsparse_complex_numIdEEEviiiPT0_PKS3_S6_
		.amdhsa_group_segment_fixed_size 1536
		.amdhsa_private_segment_fixed_size 0
		.amdhsa_kernarg_size 40
		.amdhsa_user_sgpr_count 2
		.amdhsa_user_sgpr_dispatch_ptr 0
		.amdhsa_user_sgpr_queue_ptr 0
		.amdhsa_user_sgpr_kernarg_segment_ptr 1
		.amdhsa_user_sgpr_dispatch_id 0
		.amdhsa_user_sgpr_kernarg_preload_length 0
		.amdhsa_user_sgpr_kernarg_preload_offset 0
		.amdhsa_user_sgpr_private_segment_size 0
		.amdhsa_uses_dynamic_stack 0
		.amdhsa_enable_private_segment 0
		.amdhsa_system_sgpr_workgroup_id_x 1
		.amdhsa_system_sgpr_workgroup_id_y 1
		.amdhsa_system_sgpr_workgroup_id_z 0
		.amdhsa_system_sgpr_workgroup_info 0
		.amdhsa_system_vgpr_workitem_id 0
		.amdhsa_next_free_vgpr 58
		.amdhsa_next_free_sgpr 10
		.amdhsa_accum_offset 60
		.amdhsa_reserve_vcc 1
		.amdhsa_float_round_mode_32 0
		.amdhsa_float_round_mode_16_64 0
		.amdhsa_float_denorm_mode_32 3
		.amdhsa_float_denorm_mode_16_64 3
		.amdhsa_dx10_clamp 1
		.amdhsa_ieee_mode 1
		.amdhsa_fp16_overflow 0
		.amdhsa_tg_split 0
		.amdhsa_exception_fp_ieee_invalid_op 0
		.amdhsa_exception_fp_denorm_src 0
		.amdhsa_exception_fp_ieee_div_zero 0
		.amdhsa_exception_fp_ieee_overflow 0
		.amdhsa_exception_fp_ieee_underflow 0
		.amdhsa_exception_fp_ieee_inexact 0
		.amdhsa_exception_int_div_zero 0
	.end_amdhsa_kernel
	.section	.text._ZN9rocsparseL34gtsv_solve_spike_grid_level_kernelILj16E21rocsparse_complex_numIdEEEviiiPT0_PKS3_S6_,"axG",@progbits,_ZN9rocsparseL34gtsv_solve_spike_grid_level_kernelILj16E21rocsparse_complex_numIdEEEviiiPT0_PKS3_S6_,comdat
.Lfunc_end277:
	.size	_ZN9rocsparseL34gtsv_solve_spike_grid_level_kernelILj16E21rocsparse_complex_numIdEEEviiiPT0_PKS3_S6_, .Lfunc_end277-_ZN9rocsparseL34gtsv_solve_spike_grid_level_kernelILj16E21rocsparse_complex_numIdEEEviiiPT0_PKS3_S6_
                                        ; -- End function
	.set _ZN9rocsparseL34gtsv_solve_spike_grid_level_kernelILj16E21rocsparse_complex_numIdEEEviiiPT0_PKS3_S6_.num_vgpr, 58
	.set _ZN9rocsparseL34gtsv_solve_spike_grid_level_kernelILj16E21rocsparse_complex_numIdEEEviiiPT0_PKS3_S6_.num_agpr, 0
	.set _ZN9rocsparseL34gtsv_solve_spike_grid_level_kernelILj16E21rocsparse_complex_numIdEEEviiiPT0_PKS3_S6_.numbered_sgpr, 10
	.set _ZN9rocsparseL34gtsv_solve_spike_grid_level_kernelILj16E21rocsparse_complex_numIdEEEviiiPT0_PKS3_S6_.num_named_barrier, 0
	.set _ZN9rocsparseL34gtsv_solve_spike_grid_level_kernelILj16E21rocsparse_complex_numIdEEEviiiPT0_PKS3_S6_.private_seg_size, 0
	.set _ZN9rocsparseL34gtsv_solve_spike_grid_level_kernelILj16E21rocsparse_complex_numIdEEEviiiPT0_PKS3_S6_.uses_vcc, 1
	.set _ZN9rocsparseL34gtsv_solve_spike_grid_level_kernelILj16E21rocsparse_complex_numIdEEEviiiPT0_PKS3_S6_.uses_flat_scratch, 0
	.set _ZN9rocsparseL34gtsv_solve_spike_grid_level_kernelILj16E21rocsparse_complex_numIdEEEviiiPT0_PKS3_S6_.has_dyn_sized_stack, 0
	.set _ZN9rocsparseL34gtsv_solve_spike_grid_level_kernelILj16E21rocsparse_complex_numIdEEEviiiPT0_PKS3_S6_.has_recursion, 0
	.set _ZN9rocsparseL34gtsv_solve_spike_grid_level_kernelILj16E21rocsparse_complex_numIdEEEviiiPT0_PKS3_S6_.has_indirect_call, 0
	.section	.AMDGPU.csdata,"",@progbits
; Kernel info:
; codeLenInByte = 4908
; TotalNumSgprs: 16
; NumVgprs: 58
; NumAgprs: 0
; TotalNumVgprs: 58
; ScratchSize: 0
; MemoryBound: 0
; FloatMode: 240
; IeeeMode: 1
; LDSByteSize: 1536 bytes/workgroup (compile time only)
; SGPRBlocks: 1
; VGPRBlocks: 7
; NumSGPRsForWavesPerEU: 16
; NumVGPRsForWavesPerEU: 58
; AccumOffset: 60
; Occupancy: 8
; WaveLimiterHint : 0
; COMPUTE_PGM_RSRC2:SCRATCH_EN: 0
; COMPUTE_PGM_RSRC2:USER_SGPR: 2
; COMPUTE_PGM_RSRC2:TRAP_HANDLER: 0
; COMPUTE_PGM_RSRC2:TGID_X_EN: 1
; COMPUTE_PGM_RSRC2:TGID_Y_EN: 1
; COMPUTE_PGM_RSRC2:TGID_Z_EN: 0
; COMPUTE_PGM_RSRC2:TIDIG_COMP_CNT: 0
; COMPUTE_PGM_RSRC3_GFX90A:ACCUM_OFFSET: 14
; COMPUTE_PGM_RSRC3_GFX90A:TG_SPLIT: 0
	.section	.text._ZN9rocsparseL34gtsv_solve_spike_grid_level_kernelILj32E21rocsparse_complex_numIdEEEviiiPT0_PKS3_S6_,"axG",@progbits,_ZN9rocsparseL34gtsv_solve_spike_grid_level_kernelILj32E21rocsparse_complex_numIdEEEviiiPT0_PKS3_S6_,comdat
	.globl	_ZN9rocsparseL34gtsv_solve_spike_grid_level_kernelILj32E21rocsparse_complex_numIdEEEviiiPT0_PKS3_S6_ ; -- Begin function _ZN9rocsparseL34gtsv_solve_spike_grid_level_kernelILj32E21rocsparse_complex_numIdEEEviiiPT0_PKS3_S6_
	.p2align	8
	.type	_ZN9rocsparseL34gtsv_solve_spike_grid_level_kernelILj32E21rocsparse_complex_numIdEEEviiiPT0_PKS3_S6_,@function
_ZN9rocsparseL34gtsv_solve_spike_grid_level_kernelILj32E21rocsparse_complex_numIdEEEviiiPT0_PKS3_S6_: ; @_ZN9rocsparseL34gtsv_solve_spike_grid_level_kernelILj32E21rocsparse_complex_numIdEEEviiiPT0_PKS3_S6_
; %bb.0:
	s_load_dwordx4 s[4:7], s[0:1], 0x10
	s_load_dwordx2 s[8:9], s[0:1], 0x20
	v_lshl_or_b32 v12, s3, 6, v0
	v_mov_b32_e32 v13, 0
	v_lshlrev_b32_e32 v15, 4, v0
	s_waitcnt lgkmcnt(0)
	v_lshl_add_u64 v[10:11], v[12:13], 4, s[4:5]
	v_or_b32_e32 v12, 32, v12
	global_load_dwordx4 v[2:5], v15, s[6:7]
	global_load_dwordx4 v[6:9], v15, s[6:7] offset:512
	global_load_dwordx4 v[16:19], v15, s[8:9]
	global_load_dwordx4 v[20:23], v15, s[8:9] offset:512
	v_lshl_add_u64 v[12:13], v[12:13], 4, s[4:5]
	global_load_dwordx4 v[24:27], v[10:11], off
	global_load_dwordx4 v[28:31], v[12:13], off
	v_or_b32_e32 v14, 0x800, v15
	v_or_b32_e32 v1, 0xa00, v15
	v_cmp_gt_u32_e64 s[0:1], 16, v0
	s_waitcnt vmcnt(5)
	ds_write2_b64 v15, v[2:3], v[4:5] offset0:128 offset1:129
	s_waitcnt vmcnt(4)
	ds_write2_b64 v15, v[6:7], v[8:9] offset0:192 offset1:193
	s_waitcnt vmcnt(3)
	ds_write2_b64 v15, v[16:17], v[18:19] offset1:1
	s_waitcnt vmcnt(2)
	ds_write2_b64 v15, v[20:21], v[22:23] offset0:64 offset1:65
	s_waitcnt vmcnt(1)
	ds_write2_b64 v14, v[24:25], v[26:27] offset1:1
	s_waitcnt vmcnt(0)
	ds_write2_b64 v1, v[28:29], v[30:31] offset1:1
	s_waitcnt lgkmcnt(0)
	; wave barrier
	s_and_saveexec_b64 s[2:3], s[0:1]
	s_cbranch_execz .LBB278_2
; %bb.1:
	v_or_b32_e32 v2, 0x400, v15
	v_add_u32_e32 v56, v2, v15
	v_add_u32_e32 v57, v15, v15
	ds_read_b128 v[2:5], v56 offset:16
	ds_read_b128 v[6:9], v57 offset:512
	;; [unrolled: 1-line block ×3, first 2 shown]
	ds_read_b128 v[20:23], v56
	v_add_u32_e32 v58, v14, v15
	s_waitcnt lgkmcnt(2)
	v_mul_f64 v[26:27], v[8:9], v[2:3]
	v_mul_f64 v[24:25], v[8:9], -v[4:5]
	v_fmac_f64_e32 v[26:27], v[4:5], v[6:7]
	v_fmac_f64_e32 v[24:25], v[2:3], v[6:7]
	v_add_f64 v[34:35], -v[26:27], 0
	v_add_f64 v[32:33], -v[24:25], 1.0
	v_mul_f64 v[24:25], v[34:35], v[34:35]
	v_fmac_f64_e32 v[24:25], v[32:33], v[32:33]
	v_div_scale_f64 v[26:27], s[4:5], v[24:25], v[24:25], 1.0
	v_rcp_f64_e32 v[28:29], v[26:27]
	v_fma_f64 v[38:39], 0, v[34:35], v[32:33]
	v_fma_f64 v[32:33], v[32:33], 0, -v[34:35]
	v_fma_f64 v[30:31], -v[26:27], v[28:29], 1.0
	v_fmac_f64_e32 v[28:29], v[28:29], v[30:31]
	v_fma_f64 v[30:31], -v[26:27], v[28:29], 1.0
	v_fmac_f64_e32 v[28:29], v[28:29], v[30:31]
	v_div_scale_f64 v[30:31], vcc, 1.0, v[24:25], 1.0
	v_mul_f64 v[36:37], v[30:31], v[28:29]
	v_fma_f64 v[26:27], -v[26:27], v[36:37], v[30:31]
	s_nop 1
	v_div_fmas_f64 v[26:27], v[26:27], v[28:29], v[36:37]
	v_div_fixup_f64 v[36:37], v[26:27], v[24:25], 1.0
	ds_read_b128 v[24:27], v58
	ds_read_b128 v[28:31], v58 offset:16
	v_mul_f64 v[50:51], v[32:33], v[36:37]
	ds_read_b128 v[32:35], v58 offset:512
	v_mul_f64 v[48:49], v[38:39], v[36:37]
	ds_read_b128 v[36:39], v58 offset:528
	s_waitcnt lgkmcnt(2)
	v_mul_f64 v[42:43], v[6:7], v[30:31]
	v_mul_f64 v[40:41], v[30:31], -v[8:9]
	v_fmac_f64_e32 v[42:43], v[8:9], v[28:29]
	v_fmac_f64_e32 v[40:41], v[6:7], v[28:29]
	s_waitcnt lgkmcnt(1)
	v_add_f64 v[46:47], v[34:35], -v[42:43]
	v_add_f64 v[44:45], v[32:33], -v[40:41]
	v_mul_f64 v[40:41], v[50:51], -v[46:47]
	v_fmac_f64_e32 v[40:41], v[44:45], v[48:49]
	v_mul_f64 v[42:43], v[50:51], v[44:45]
	v_mul_f64 v[44:45], v[4:5], -v[34:35]
	v_fmac_f64_e32 v[44:45], v[32:33], v[2:3]
	v_mul_f64 v[32:33], v[4:5], v[32:33]
	v_fmac_f64_e32 v[32:33], v[34:35], v[2:3]
	v_fmac_f64_e32 v[42:43], v[46:47], v[48:49]
	v_add_f64 v[46:47], v[30:31], -v[32:33]
	ds_read_b128 v[32:35], v57
	v_add_f64 v[44:45], v[28:29], -v[44:45]
	v_mul_f64 v[30:31], v[44:45], v[50:51]
	v_mul_f64 v[28:29], v[50:51], -v[46:47]
	v_fmac_f64_e32 v[30:31], v[46:47], v[48:49]
	v_fmac_f64_e32 v[28:29], v[44:45], v[48:49]
	ds_read_b128 v[44:47], v57 offset:16
	s_waitcnt lgkmcnt(1)
	v_mul_f64 v[52:53], v[30:31], -v[34:35]
	v_mul_f64 v[54:55], v[30:31], v[32:33]
	v_fmac_f64_e32 v[52:53], v[32:33], v[28:29]
	v_fmac_f64_e32 v[54:55], v[34:35], v[28:29]
	ds_write_b128 v58, v[28:31] offset:16
	ds_read_b128 v[28:31], v56 offset:528
	v_add_f64 v[24:25], v[24:25], -v[52:53]
	v_add_f64 v[26:27], v[26:27], -v[54:55]
	ds_write_b128 v58, v[24:27]
	ds_read_b128 v[24:27], v56 offset:512
	ds_write_b128 v58, v[40:43] offset:512
	s_waitcnt lgkmcnt(3)
	v_mul_f64 v[52:53], v[42:43], -v[30:31]
	v_mul_f64 v[42:43], v[42:43], v[28:29]
	v_fmac_f64_e32 v[52:53], v[28:29], v[40:41]
	v_fmac_f64_e32 v[42:43], v[30:31], v[40:41]
	s_waitcnt lgkmcnt(1)
	v_mul_f64 v[40:41], v[4:5], -v[26:27]
	v_mul_f64 v[4:5], v[4:5], v[24:25]
	v_fmac_f64_e32 v[4:5], v[26:27], v[2:3]
	v_add_f64 v[36:37], v[36:37], -v[52:53]
	v_add_f64 v[38:39], v[38:39], -v[42:43]
	v_fmac_f64_e32 v[40:41], v[24:25], v[2:3]
	v_mul_f64 v[2:3], v[50:51], v[4:5]
	v_mul_f64 v[4:5], v[4:5], -v[48:49]
	ds_write_b128 v58, v[36:39] offset:528
	v_mul_f64 v[38:39], v[6:7], v[46:47]
	v_fma_f64 v[2:3], -v[48:49], v[40:41], v[2:3]
	v_fma_f64 v[4:5], -v[50:51], v[40:41], v[4:5]
	v_mul_f64 v[40:41], v[26:27], -v[50:51]
	v_mul_f64 v[42:43], v[48:49], v[26:27]
	v_mul_f64 v[36:37], v[46:47], -v[8:9]
	v_fmac_f64_e32 v[38:39], v[8:9], v[44:45]
	ds_write_b128 v56, v[2:5] offset:16
	v_fmac_f64_e32 v[40:41], v[48:49], v[24:25]
	v_fmac_f64_e32 v[42:43], v[50:51], v[24:25]
	v_mul_f64 v[24:25], v[4:5], -v[34:35]
	v_mul_f64 v[4:5], v[4:5], v[32:33]
	v_fmac_f64_e32 v[36:37], v[6:7], v[44:45]
	v_mul_f64 v[6:7], v[50:51], v[38:39]
	v_mul_f64 v[8:9], v[38:39], -v[48:49]
	v_mul_f64 v[38:39], v[48:49], v[46:47]
	v_fmac_f64_e32 v[24:25], v[32:33], v[2:3]
	v_fmac_f64_e32 v[4:5], v[34:35], v[2:3]
	v_fma_f64 v[6:7], -v[48:49], v[36:37], v[6:7]
	v_fma_f64 v[8:9], -v[50:51], v[36:37], v[8:9]
	v_mul_f64 v[36:37], v[46:47], -v[50:51]
	v_fmac_f64_e32 v[38:39], v[50:51], v[44:45]
	v_add_f64 v[2:3], v[20:21], -v[24:25]
	v_add_f64 v[4:5], v[22:23], -v[4:5]
	v_fmac_f64_e32 v[36:37], v[48:49], v[44:45]
	ds_write_b128 v56, v[2:5]
	v_mul_f64 v[2:3], v[38:39], v[34:35]
	v_mul_f64 v[4:5], v[38:39], -v[32:33]
	v_fma_f64 v[2:3], -v[32:33], v[36:37], v[2:3]
	v_fma_f64 v[4:5], -v[34:35], v[36:37], v[4:5]
	ds_write_b128 v57, v[2:5]
	v_mul_f64 v[2:3], v[30:31], -v[8:9]
	v_mul_f64 v[4:5], v[30:31], v[6:7]
	v_fmac_f64_e32 v[2:3], v[6:7], v[28:29]
	v_fmac_f64_e32 v[4:5], v[8:9], v[28:29]
	v_add_f64 v[2:3], v[16:17], -v[2:3]
	v_add_f64 v[4:5], v[18:19], -v[4:5]
	ds_write_b128 v57, v[2:5] offset:528
	v_mul_f64 v[2:3], v[30:31], v[42:43]
	v_mul_f64 v[4:5], v[42:43], -v[28:29]
	v_fma_f64 v[2:3], -v[28:29], v[40:41], v[2:3]
	v_fma_f64 v[4:5], -v[30:31], v[40:41], v[4:5]
	ds_write_b128 v57, v[6:9] offset:512
	ds_write_b128 v57, v[36:39] offset:16
	;; [unrolled: 1-line block ×4, first 2 shown]
.LBB278_2:
	s_or_b64 exec, exec, s[2:3]
	v_cmp_gt_u32_e64 s[2:3], 8, v0
	v_lshlrev_b32_e32 v16, 6, v0
	s_waitcnt lgkmcnt(0)
	; wave barrier
	s_and_saveexec_b64 s[4:5], s[2:3]
	s_cbranch_execz .LBB278_4
; %bb.3:
	ds_read_b128 v[6:9], v16 offset:528
	ds_read_b128 v[2:5], v16 offset:1056
	;; [unrolled: 1-line block ×4, first 2 shown]
	s_waitcnt lgkmcnt(2)
	v_mul_f64 v[28:29], v[8:9], v[2:3]
	v_mul_f64 v[26:27], v[8:9], -v[4:5]
	v_fmac_f64_e32 v[28:29], v[4:5], v[6:7]
	v_fmac_f64_e32 v[26:27], v[2:3], v[6:7]
	v_add_f64 v[32:33], -v[28:29], 0
	v_add_f64 v[30:31], -v[26:27], 1.0
	v_mul_f64 v[26:27], v[32:33], v[32:33]
	v_fmac_f64_e32 v[26:27], v[30:31], v[30:31]
	v_div_scale_f64 v[28:29], s[6:7], v[26:27], v[26:27], 1.0
	v_rcp_f64_e32 v[34:35], v[28:29]
	s_nop 0
	v_fma_f64 v[36:37], -v[28:29], v[34:35], 1.0
	v_fmac_f64_e32 v[34:35], v[34:35], v[36:37]
	v_fma_f64 v[36:37], -v[28:29], v[34:35], 1.0
	v_fmac_f64_e32 v[34:35], v[34:35], v[36:37]
	v_div_scale_f64 v[36:37], vcc, 1.0, v[26:27], 1.0
	v_mul_f64 v[38:39], v[36:37], v[34:35]
	v_fma_f64 v[28:29], -v[28:29], v[38:39], v[36:37]
	s_nop 1
	v_div_fmas_f64 v[28:29], v[28:29], v[34:35], v[38:39]
	v_div_fixup_f64 v[34:35], v[28:29], v[26:27], 1.0
	v_fma_f64 v[26:27], 0, v[32:33], v[30:31]
	v_mul_f64 v[50:51], v[26:27], v[34:35]
	ds_read_b128 v[26:29], v16 offset:2080
	v_fma_f64 v[30:31], v[30:31], 0, -v[32:33]
	v_mul_f64 v[52:53], v[30:31], v[34:35]
	ds_read_b128 v[30:33], v16 offset:2576
	ds_read_b128 v[34:37], v16 offset:2048
	;; [unrolled: 1-line block ×3, first 2 shown]
	s_waitcnt lgkmcnt(3)
	v_mul_f64 v[44:45], v[6:7], v[28:29]
	v_mul_f64 v[42:43], v[28:29], -v[8:9]
	v_fmac_f64_e32 v[44:45], v[8:9], v[26:27]
	v_fmac_f64_e32 v[42:43], v[6:7], v[26:27]
	s_waitcnt lgkmcnt(2)
	v_add_f64 v[48:49], v[32:33], -v[44:45]
	v_add_f64 v[46:47], v[30:31], -v[42:43]
	v_mul_f64 v[42:43], v[52:53], -v[48:49]
	v_fmac_f64_e32 v[42:43], v[46:47], v[50:51]
	v_mul_f64 v[44:45], v[52:53], v[46:47]
	v_mul_f64 v[46:47], v[4:5], -v[32:33]
	v_fmac_f64_e32 v[46:47], v[30:31], v[2:3]
	v_mul_f64 v[30:31], v[4:5], v[30:31]
	v_fmac_f64_e32 v[30:31], v[32:33], v[2:3]
	v_fmac_f64_e32 v[44:45], v[48:49], v[50:51]
	v_add_f64 v[48:49], v[28:29], -v[30:31]
	ds_read_b128 v[30:33], v16
	v_add_f64 v[46:47], v[26:27], -v[46:47]
	v_mul_f64 v[28:29], v[46:47], v[52:53]
	v_mul_f64 v[26:27], v[52:53], -v[48:49]
	v_fmac_f64_e32 v[28:29], v[48:49], v[50:51]
	v_fmac_f64_e32 v[26:27], v[46:47], v[50:51]
	ds_read_b128 v[46:49], v16 offset:32
	s_waitcnt lgkmcnt(1)
	v_mul_f64 v[54:55], v[28:29], -v[32:33]
	v_mul_f64 v[56:57], v[28:29], v[30:31]
	v_fmac_f64_e32 v[54:55], v[30:31], v[26:27]
	v_fmac_f64_e32 v[56:57], v[32:33], v[26:27]
	ds_write_b128 v16, v[26:29] offset:2080
	ds_read_b128 v[26:29], v16 offset:1584
	v_add_f64 v[34:35], v[34:35], -v[54:55]
	v_add_f64 v[36:37], v[36:37], -v[56:57]
	ds_write_b128 v16, v[34:37] offset:2048
	ds_read_b128 v[34:37], v16 offset:1552
	ds_write_b128 v16, v[42:45] offset:2576
	s_waitcnt lgkmcnt(3)
	v_mul_f64 v[54:55], v[44:45], -v[28:29]
	v_mul_f64 v[44:45], v[44:45], v[26:27]
	v_fmac_f64_e32 v[54:55], v[26:27], v[42:43]
	v_fmac_f64_e32 v[44:45], v[28:29], v[42:43]
	s_waitcnt lgkmcnt(1)
	v_mul_f64 v[42:43], v[4:5], -v[36:37]
	v_mul_f64 v[4:5], v[4:5], v[34:35]
	v_fmac_f64_e32 v[4:5], v[36:37], v[2:3]
	v_add_f64 v[38:39], v[38:39], -v[54:55]
	v_add_f64 v[40:41], v[40:41], -v[44:45]
	v_fmac_f64_e32 v[42:43], v[34:35], v[2:3]
	v_mul_f64 v[2:3], v[52:53], v[4:5]
	v_mul_f64 v[4:5], v[4:5], -v[50:51]
	ds_write_b128 v16, v[38:41] offset:2608
	v_mul_f64 v[40:41], v[6:7], v[48:49]
	v_fma_f64 v[2:3], -v[50:51], v[42:43], v[2:3]
	v_fma_f64 v[4:5], -v[52:53], v[42:43], v[4:5]
	v_mul_f64 v[42:43], v[36:37], -v[52:53]
	v_mul_f64 v[44:45], v[50:51], v[36:37]
	v_mul_f64 v[38:39], v[48:49], -v[8:9]
	v_fmac_f64_e32 v[40:41], v[8:9], v[46:47]
	ds_write_b128 v16, v[2:5] offset:1056
	v_fmac_f64_e32 v[42:43], v[50:51], v[34:35]
	v_fmac_f64_e32 v[44:45], v[52:53], v[34:35]
	v_mul_f64 v[34:35], v[4:5], -v[32:33]
	v_mul_f64 v[4:5], v[4:5], v[30:31]
	v_fmac_f64_e32 v[38:39], v[6:7], v[46:47]
	v_mul_f64 v[6:7], v[52:53], v[40:41]
	v_mul_f64 v[8:9], v[40:41], -v[50:51]
	v_mul_f64 v[40:41], v[50:51], v[48:49]
	v_fmac_f64_e32 v[34:35], v[30:31], v[2:3]
	v_fmac_f64_e32 v[4:5], v[32:33], v[2:3]
	v_fma_f64 v[6:7], -v[50:51], v[38:39], v[6:7]
	v_fma_f64 v[8:9], -v[52:53], v[38:39], v[8:9]
	v_mul_f64 v[38:39], v[48:49], -v[52:53]
	v_fmac_f64_e32 v[40:41], v[52:53], v[46:47]
	v_add_f64 v[2:3], v[18:19], -v[34:35]
	v_add_f64 v[4:5], v[20:21], -v[4:5]
	v_fmac_f64_e32 v[38:39], v[50:51], v[46:47]
	ds_write_b128 v16, v[2:5] offset:1024
	v_mul_f64 v[2:3], v[40:41], v[32:33]
	v_mul_f64 v[4:5], v[40:41], -v[30:31]
	v_fma_f64 v[2:3], -v[30:31], v[38:39], v[2:3]
	v_fma_f64 v[4:5], -v[32:33], v[38:39], v[4:5]
	ds_write_b128 v16, v[2:5]
	v_mul_f64 v[2:3], v[28:29], -v[8:9]
	v_mul_f64 v[4:5], v[28:29], v[6:7]
	v_fmac_f64_e32 v[2:3], v[6:7], v[26:27]
	v_fmac_f64_e32 v[4:5], v[8:9], v[26:27]
	v_add_f64 v[2:3], v[22:23], -v[2:3]
	v_add_f64 v[4:5], v[24:25], -v[4:5]
	ds_write_b128 v16, v[2:5] offset:560
	v_mul_f64 v[2:3], v[28:29], v[44:45]
	v_mul_f64 v[4:5], v[44:45], -v[26:27]
	v_fma_f64 v[2:3], -v[26:27], v[42:43], v[2:3]
	v_fma_f64 v[4:5], -v[28:29], v[42:43], v[4:5]
	ds_write_b128 v16, v[6:9] offset:528
	ds_write_b128 v16, v[38:41] offset:32
	;; [unrolled: 1-line block ×4, first 2 shown]
.LBB278_4:
	s_or_b64 exec, exec, s[4:5]
	v_cmp_gt_u32_e64 s[4:5], 4, v0
	v_lshlrev_b32_e32 v17, 7, v0
	s_waitcnt lgkmcnt(0)
	; wave barrier
	s_and_saveexec_b64 s[6:7], s[4:5]
	s_cbranch_execz .LBB278_6
; %bb.5:
	ds_read_b128 v[6:9], v17 offset:560
	ds_read_b128 v[2:5], v17 offset:1088
	ds_read_b128 v[18:21], v17 offset:1024
	ds_read_b128 v[22:25], v17 offset:624
	s_waitcnt lgkmcnt(2)
	v_mul_f64 v[28:29], v[8:9], v[2:3]
	v_mul_f64 v[26:27], v[8:9], -v[4:5]
	v_fmac_f64_e32 v[28:29], v[4:5], v[6:7]
	v_fmac_f64_e32 v[26:27], v[2:3], v[6:7]
	v_add_f64 v[32:33], -v[28:29], 0
	v_add_f64 v[30:31], -v[26:27], 1.0
	v_mul_f64 v[26:27], v[32:33], v[32:33]
	v_fmac_f64_e32 v[26:27], v[30:31], v[30:31]
	v_div_scale_f64 v[28:29], s[8:9], v[26:27], v[26:27], 1.0
	v_rcp_f64_e32 v[34:35], v[28:29]
	s_nop 0
	v_fma_f64 v[36:37], -v[28:29], v[34:35], 1.0
	v_fmac_f64_e32 v[34:35], v[34:35], v[36:37]
	v_fma_f64 v[36:37], -v[28:29], v[34:35], 1.0
	v_fmac_f64_e32 v[34:35], v[34:35], v[36:37]
	v_div_scale_f64 v[36:37], vcc, 1.0, v[26:27], 1.0
	v_mul_f64 v[38:39], v[36:37], v[34:35]
	v_fma_f64 v[28:29], -v[28:29], v[38:39], v[36:37]
	s_nop 1
	v_div_fmas_f64 v[28:29], v[28:29], v[34:35], v[38:39]
	v_div_fixup_f64 v[34:35], v[28:29], v[26:27], 1.0
	v_fma_f64 v[26:27], 0, v[32:33], v[30:31]
	v_mul_f64 v[50:51], v[26:27], v[34:35]
	ds_read_b128 v[26:29], v17 offset:2112
	v_fma_f64 v[30:31], v[30:31], 0, -v[32:33]
	v_mul_f64 v[52:53], v[30:31], v[34:35]
	ds_read_b128 v[30:33], v17 offset:2608
	ds_read_b128 v[34:37], v17 offset:2048
	;; [unrolled: 1-line block ×3, first 2 shown]
	s_waitcnt lgkmcnt(3)
	v_mul_f64 v[44:45], v[6:7], v[28:29]
	v_mul_f64 v[42:43], v[28:29], -v[8:9]
	v_fmac_f64_e32 v[44:45], v[8:9], v[26:27]
	v_fmac_f64_e32 v[42:43], v[6:7], v[26:27]
	s_waitcnt lgkmcnt(2)
	v_add_f64 v[48:49], v[32:33], -v[44:45]
	v_add_f64 v[46:47], v[30:31], -v[42:43]
	v_mul_f64 v[42:43], v[52:53], -v[48:49]
	v_fmac_f64_e32 v[42:43], v[46:47], v[50:51]
	v_mul_f64 v[44:45], v[52:53], v[46:47]
	v_mul_f64 v[46:47], v[4:5], -v[32:33]
	v_fmac_f64_e32 v[46:47], v[30:31], v[2:3]
	v_mul_f64 v[30:31], v[4:5], v[30:31]
	v_fmac_f64_e32 v[30:31], v[32:33], v[2:3]
	v_fmac_f64_e32 v[44:45], v[48:49], v[50:51]
	v_add_f64 v[48:49], v[28:29], -v[30:31]
	ds_read_b128 v[30:33], v17
	v_add_f64 v[46:47], v[26:27], -v[46:47]
	v_mul_f64 v[28:29], v[46:47], v[52:53]
	v_mul_f64 v[26:27], v[52:53], -v[48:49]
	v_fmac_f64_e32 v[28:29], v[48:49], v[50:51]
	v_fmac_f64_e32 v[26:27], v[46:47], v[50:51]
	ds_read_b128 v[46:49], v17 offset:64
	s_waitcnt lgkmcnt(1)
	v_mul_f64 v[54:55], v[28:29], -v[32:33]
	v_mul_f64 v[56:57], v[28:29], v[30:31]
	v_fmac_f64_e32 v[54:55], v[30:31], v[26:27]
	v_fmac_f64_e32 v[56:57], v[32:33], v[26:27]
	ds_write_b128 v17, v[26:29] offset:2112
	ds_read_b128 v[26:29], v17 offset:1648
	v_add_f64 v[34:35], v[34:35], -v[54:55]
	v_add_f64 v[36:37], v[36:37], -v[56:57]
	ds_write_b128 v17, v[34:37] offset:2048
	ds_read_b128 v[34:37], v17 offset:1584
	ds_write_b128 v17, v[42:45] offset:2608
	s_waitcnt lgkmcnt(3)
	v_mul_f64 v[54:55], v[44:45], -v[28:29]
	v_mul_f64 v[44:45], v[44:45], v[26:27]
	v_fmac_f64_e32 v[54:55], v[26:27], v[42:43]
	v_fmac_f64_e32 v[44:45], v[28:29], v[42:43]
	s_waitcnt lgkmcnt(1)
	v_mul_f64 v[42:43], v[4:5], -v[36:37]
	v_mul_f64 v[4:5], v[4:5], v[34:35]
	v_fmac_f64_e32 v[4:5], v[36:37], v[2:3]
	v_add_f64 v[38:39], v[38:39], -v[54:55]
	v_add_f64 v[40:41], v[40:41], -v[44:45]
	v_fmac_f64_e32 v[42:43], v[34:35], v[2:3]
	v_mul_f64 v[2:3], v[52:53], v[4:5]
	v_mul_f64 v[4:5], v[4:5], -v[50:51]
	ds_write_b128 v17, v[38:41] offset:2672
	v_mul_f64 v[40:41], v[6:7], v[48:49]
	v_fma_f64 v[2:3], -v[50:51], v[42:43], v[2:3]
	v_fma_f64 v[4:5], -v[52:53], v[42:43], v[4:5]
	v_mul_f64 v[42:43], v[36:37], -v[52:53]
	v_mul_f64 v[44:45], v[50:51], v[36:37]
	v_mul_f64 v[38:39], v[48:49], -v[8:9]
	v_fmac_f64_e32 v[40:41], v[8:9], v[46:47]
	ds_write_b128 v17, v[2:5] offset:1088
	v_fmac_f64_e32 v[42:43], v[50:51], v[34:35]
	v_fmac_f64_e32 v[44:45], v[52:53], v[34:35]
	v_mul_f64 v[34:35], v[4:5], -v[32:33]
	v_mul_f64 v[4:5], v[4:5], v[30:31]
	v_fmac_f64_e32 v[38:39], v[6:7], v[46:47]
	v_mul_f64 v[6:7], v[52:53], v[40:41]
	v_mul_f64 v[8:9], v[40:41], -v[50:51]
	v_mul_f64 v[40:41], v[50:51], v[48:49]
	v_fmac_f64_e32 v[34:35], v[30:31], v[2:3]
	v_fmac_f64_e32 v[4:5], v[32:33], v[2:3]
	v_fma_f64 v[6:7], -v[50:51], v[38:39], v[6:7]
	v_fma_f64 v[8:9], -v[52:53], v[38:39], v[8:9]
	v_mul_f64 v[38:39], v[48:49], -v[52:53]
	v_fmac_f64_e32 v[40:41], v[52:53], v[46:47]
	v_add_f64 v[2:3], v[18:19], -v[34:35]
	v_add_f64 v[4:5], v[20:21], -v[4:5]
	v_fmac_f64_e32 v[38:39], v[50:51], v[46:47]
	ds_write_b128 v17, v[2:5] offset:1024
	v_mul_f64 v[2:3], v[40:41], v[32:33]
	v_mul_f64 v[4:5], v[40:41], -v[30:31]
	v_fma_f64 v[2:3], -v[30:31], v[38:39], v[2:3]
	v_fma_f64 v[4:5], -v[32:33], v[38:39], v[4:5]
	ds_write_b128 v17, v[2:5]
	v_mul_f64 v[2:3], v[28:29], -v[8:9]
	v_mul_f64 v[4:5], v[28:29], v[6:7]
	v_fmac_f64_e32 v[2:3], v[6:7], v[26:27]
	v_fmac_f64_e32 v[4:5], v[8:9], v[26:27]
	v_add_f64 v[2:3], v[22:23], -v[2:3]
	v_add_f64 v[4:5], v[24:25], -v[4:5]
	ds_write_b128 v17, v[2:5] offset:624
	v_mul_f64 v[2:3], v[28:29], v[44:45]
	v_mul_f64 v[4:5], v[44:45], -v[26:27]
	v_fma_f64 v[2:3], -v[26:27], v[42:43], v[2:3]
	v_fma_f64 v[4:5], -v[28:29], v[42:43], v[4:5]
	ds_write_b128 v17, v[6:9] offset:560
	ds_write_b128 v17, v[38:41] offset:64
	;; [unrolled: 1-line block ×4, first 2 shown]
.LBB278_6:
	s_or_b64 exec, exec, s[6:7]
	v_cmp_gt_u32_e64 s[6:7], 2, v0
	v_lshlrev_b32_e32 v18, 8, v0
	s_waitcnt lgkmcnt(0)
	; wave barrier
	s_and_saveexec_b64 s[8:9], s[6:7]
	s_cbranch_execz .LBB278_8
; %bb.7:
	ds_read_b128 v[6:9], v18 offset:624
	ds_read_b128 v[2:5], v18 offset:1152
	;; [unrolled: 1-line block ×4, first 2 shown]
	s_waitcnt lgkmcnt(2)
	v_mul_f64 v[30:31], v[8:9], v[2:3]
	v_mul_f64 v[28:29], v[8:9], -v[4:5]
	v_fmac_f64_e32 v[30:31], v[4:5], v[6:7]
	v_fmac_f64_e32 v[28:29], v[2:3], v[6:7]
	v_add_f64 v[34:35], -v[30:31], 0
	v_add_f64 v[32:33], -v[28:29], 1.0
	v_mul_f64 v[28:29], v[34:35], v[34:35]
	v_fmac_f64_e32 v[28:29], v[32:33], v[32:33]
	v_div_scale_f64 v[30:31], s[10:11], v[28:29], v[28:29], 1.0
	v_rcp_f64_e32 v[36:37], v[30:31]
	s_nop 0
	v_fma_f64 v[38:39], -v[30:31], v[36:37], 1.0
	v_fmac_f64_e32 v[36:37], v[36:37], v[38:39]
	v_fma_f64 v[38:39], -v[30:31], v[36:37], 1.0
	v_fmac_f64_e32 v[36:37], v[36:37], v[38:39]
	v_div_scale_f64 v[38:39], vcc, 1.0, v[28:29], 1.0
	v_mul_f64 v[40:41], v[38:39], v[36:37]
	v_fma_f64 v[30:31], -v[30:31], v[40:41], v[38:39]
	s_nop 1
	v_div_fmas_f64 v[30:31], v[30:31], v[36:37], v[40:41]
	v_div_fixup_f64 v[36:37], v[30:31], v[28:29], 1.0
	v_fma_f64 v[28:29], 0, v[34:35], v[32:33]
	v_mul_f64 v[52:53], v[28:29], v[36:37]
	ds_read_b128 v[28:31], v18 offset:2176
	v_fma_f64 v[32:33], v[32:33], 0, -v[34:35]
	v_mul_f64 v[54:55], v[32:33], v[36:37]
	ds_read_b128 v[32:35], v18 offset:2672
	ds_read_b128 v[36:39], v18 offset:2048
	;; [unrolled: 1-line block ×3, first 2 shown]
	s_waitcnt lgkmcnt(3)
	v_mul_f64 v[46:47], v[6:7], v[30:31]
	v_mul_f64 v[44:45], v[30:31], -v[8:9]
	v_fmac_f64_e32 v[46:47], v[8:9], v[28:29]
	v_fmac_f64_e32 v[44:45], v[6:7], v[28:29]
	s_waitcnt lgkmcnt(2)
	v_add_f64 v[50:51], v[34:35], -v[46:47]
	v_add_f64 v[48:49], v[32:33], -v[44:45]
	v_mul_f64 v[44:45], v[54:55], -v[50:51]
	v_fmac_f64_e32 v[44:45], v[48:49], v[52:53]
	v_mul_f64 v[46:47], v[54:55], v[48:49]
	v_mul_f64 v[48:49], v[4:5], -v[34:35]
	v_fmac_f64_e32 v[48:49], v[32:33], v[2:3]
	v_mul_f64 v[32:33], v[4:5], v[32:33]
	v_fmac_f64_e32 v[32:33], v[34:35], v[2:3]
	v_fmac_f64_e32 v[46:47], v[50:51], v[52:53]
	v_add_f64 v[50:51], v[30:31], -v[32:33]
	ds_read_b128 v[32:35], v18
	v_add_f64 v[48:49], v[28:29], -v[48:49]
	v_mul_f64 v[30:31], v[48:49], v[54:55]
	v_mul_f64 v[28:29], v[54:55], -v[50:51]
	v_fmac_f64_e32 v[30:31], v[50:51], v[52:53]
	v_fmac_f64_e32 v[28:29], v[48:49], v[52:53]
	ds_read_b128 v[48:51], v18 offset:128
	s_waitcnt lgkmcnt(1)
	v_mul_f64 v[56:57], v[30:31], -v[34:35]
	v_mul_f64 v[58:59], v[30:31], v[32:33]
	v_fmac_f64_e32 v[56:57], v[32:33], v[28:29]
	v_fmac_f64_e32 v[58:59], v[34:35], v[28:29]
	ds_write_b128 v18, v[28:31] offset:2176
	ds_read_b128 v[28:31], v18 offset:1776
	v_add_f64 v[36:37], v[36:37], -v[56:57]
	v_add_f64 v[38:39], v[38:39], -v[58:59]
	ds_write_b128 v18, v[36:39] offset:2048
	ds_read_b128 v[36:39], v18 offset:1648
	ds_write_b128 v18, v[44:47] offset:2672
	s_waitcnt lgkmcnt(3)
	v_mul_f64 v[56:57], v[46:47], -v[30:31]
	v_mul_f64 v[46:47], v[46:47], v[28:29]
	v_fmac_f64_e32 v[56:57], v[28:29], v[44:45]
	v_fmac_f64_e32 v[46:47], v[30:31], v[44:45]
	s_waitcnt lgkmcnt(1)
	v_mul_f64 v[44:45], v[4:5], -v[38:39]
	v_mul_f64 v[4:5], v[4:5], v[36:37]
	v_fmac_f64_e32 v[4:5], v[38:39], v[2:3]
	v_add_f64 v[40:41], v[40:41], -v[56:57]
	v_add_f64 v[42:43], v[42:43], -v[46:47]
	v_fmac_f64_e32 v[44:45], v[36:37], v[2:3]
	v_mul_f64 v[2:3], v[54:55], v[4:5]
	v_mul_f64 v[4:5], v[4:5], -v[52:53]
	ds_write_b128 v18, v[40:43] offset:2800
	v_mul_f64 v[42:43], v[6:7], v[50:51]
	v_fma_f64 v[2:3], -v[52:53], v[44:45], v[2:3]
	v_fma_f64 v[4:5], -v[54:55], v[44:45], v[4:5]
	v_mul_f64 v[44:45], v[38:39], -v[54:55]
	v_mul_f64 v[46:47], v[52:53], v[38:39]
	v_mul_f64 v[40:41], v[50:51], -v[8:9]
	v_fmac_f64_e32 v[42:43], v[8:9], v[48:49]
	ds_write_b128 v18, v[2:5] offset:1152
	v_fmac_f64_e32 v[44:45], v[52:53], v[36:37]
	v_fmac_f64_e32 v[46:47], v[54:55], v[36:37]
	v_mul_f64 v[36:37], v[4:5], -v[34:35]
	v_mul_f64 v[4:5], v[4:5], v[32:33]
	v_fmac_f64_e32 v[40:41], v[6:7], v[48:49]
	v_mul_f64 v[6:7], v[54:55], v[42:43]
	v_mul_f64 v[8:9], v[42:43], -v[52:53]
	v_mul_f64 v[42:43], v[52:53], v[50:51]
	v_fmac_f64_e32 v[36:37], v[32:33], v[2:3]
	v_fmac_f64_e32 v[4:5], v[34:35], v[2:3]
	v_fma_f64 v[6:7], -v[52:53], v[40:41], v[6:7]
	v_fma_f64 v[8:9], -v[54:55], v[40:41], v[8:9]
	v_mul_f64 v[40:41], v[50:51], -v[54:55]
	v_fmac_f64_e32 v[42:43], v[54:55], v[48:49]
	v_add_f64 v[2:3], v[20:21], -v[36:37]
	v_add_f64 v[4:5], v[22:23], -v[4:5]
	v_fmac_f64_e32 v[40:41], v[52:53], v[48:49]
	ds_write_b128 v18, v[2:5] offset:1024
	v_mul_f64 v[2:3], v[42:43], v[34:35]
	v_mul_f64 v[4:5], v[42:43], -v[32:33]
	v_fma_f64 v[2:3], -v[32:33], v[40:41], v[2:3]
	v_fma_f64 v[4:5], -v[34:35], v[40:41], v[4:5]
	ds_write_b128 v18, v[2:5]
	v_mul_f64 v[2:3], v[30:31], -v[8:9]
	v_mul_f64 v[4:5], v[30:31], v[6:7]
	v_fmac_f64_e32 v[2:3], v[6:7], v[28:29]
	v_fmac_f64_e32 v[4:5], v[8:9], v[28:29]
	v_add_f64 v[2:3], v[24:25], -v[2:3]
	v_add_f64 v[4:5], v[26:27], -v[4:5]
	ds_write_b128 v18, v[2:5] offset:752
	v_mul_f64 v[2:3], v[30:31], v[46:47]
	v_mul_f64 v[4:5], v[46:47], -v[28:29]
	v_fma_f64 v[2:3], -v[28:29], v[44:45], v[2:3]
	v_fma_f64 v[4:5], -v[30:31], v[44:45], v[4:5]
	ds_write_b128 v18, v[6:9] offset:624
	ds_write_b128 v18, v[40:43] offset:128
	;; [unrolled: 1-line block ×4, first 2 shown]
.LBB278_8:
	s_or_b64 exec, exec, s[8:9]
	v_cmp_eq_u32_e32 vcc, 0, v0
	s_waitcnt lgkmcnt(0)
	; wave barrier
	s_and_saveexec_b64 s[8:9], vcc
	s_cbranch_execz .LBB278_10
; %bb.9:
	v_mov_b32_e32 v19, 0
	ds_read_b128 v[6:9], v19 offset:752
	ds_read_b128 v[2:5], v19 offset:1280
	;; [unrolled: 1-line block ×4, first 2 shown]
	s_waitcnt lgkmcnt(2)
	v_mul_f64 v[30:31], v[8:9], v[2:3]
	v_mul_f64 v[28:29], v[8:9], -v[4:5]
	v_fmac_f64_e32 v[30:31], v[4:5], v[6:7]
	v_fmac_f64_e32 v[28:29], v[2:3], v[6:7]
	v_add_f64 v[34:35], -v[30:31], 0
	v_add_f64 v[32:33], -v[28:29], 1.0
	v_mul_f64 v[28:29], v[34:35], v[34:35]
	v_fmac_f64_e32 v[28:29], v[32:33], v[32:33]
	v_div_scale_f64 v[30:31], s[10:11], v[28:29], v[28:29], 1.0
	v_rcp_f64_e32 v[36:37], v[30:31]
	s_nop 0
	v_fma_f64 v[38:39], -v[30:31], v[36:37], 1.0
	v_fmac_f64_e32 v[36:37], v[36:37], v[38:39]
	v_fma_f64 v[38:39], -v[30:31], v[36:37], 1.0
	v_fmac_f64_e32 v[36:37], v[36:37], v[38:39]
	v_div_scale_f64 v[38:39], vcc, 1.0, v[28:29], 1.0
	v_mul_f64 v[40:41], v[38:39], v[36:37]
	v_fma_f64 v[30:31], -v[30:31], v[40:41], v[38:39]
	s_nop 1
	v_div_fmas_f64 v[30:31], v[30:31], v[36:37], v[40:41]
	v_div_fixup_f64 v[36:37], v[30:31], v[28:29], 1.0
	v_fma_f64 v[28:29], 0, v[34:35], v[32:33]
	v_mul_f64 v[52:53], v[28:29], v[36:37]
	ds_read_b128 v[28:31], v19 offset:2304
	v_fma_f64 v[32:33], v[32:33], 0, -v[34:35]
	v_mul_f64 v[54:55], v[32:33], v[36:37]
	ds_read_b128 v[32:35], v19 offset:2800
	ds_read_b128 v[36:39], v19 offset:2048
	;; [unrolled: 1-line block ×3, first 2 shown]
	s_waitcnt lgkmcnt(3)
	v_mul_f64 v[46:47], v[6:7], v[30:31]
	v_mul_f64 v[44:45], v[30:31], -v[8:9]
	v_fmac_f64_e32 v[46:47], v[8:9], v[28:29]
	v_fmac_f64_e32 v[44:45], v[6:7], v[28:29]
	s_waitcnt lgkmcnt(2)
	v_add_f64 v[50:51], v[34:35], -v[46:47]
	v_add_f64 v[48:49], v[32:33], -v[44:45]
	v_mul_f64 v[44:45], v[54:55], -v[50:51]
	v_fmac_f64_e32 v[44:45], v[48:49], v[52:53]
	v_mul_f64 v[46:47], v[54:55], v[48:49]
	v_mul_f64 v[48:49], v[4:5], -v[34:35]
	v_fmac_f64_e32 v[48:49], v[32:33], v[2:3]
	v_mul_f64 v[32:33], v[4:5], v[32:33]
	v_fmac_f64_e32 v[32:33], v[34:35], v[2:3]
	v_fmac_f64_e32 v[46:47], v[50:51], v[52:53]
	v_add_f64 v[50:51], v[30:31], -v[32:33]
	ds_read_b128 v[32:35], v19
	v_add_f64 v[48:49], v[28:29], -v[48:49]
	v_mul_f64 v[30:31], v[48:49], v[54:55]
	v_mul_f64 v[28:29], v[54:55], -v[50:51]
	v_fmac_f64_e32 v[30:31], v[50:51], v[52:53]
	v_fmac_f64_e32 v[28:29], v[48:49], v[52:53]
	ds_read_b128 v[48:51], v19 offset:256
	s_waitcnt lgkmcnt(1)
	v_mul_f64 v[56:57], v[30:31], -v[34:35]
	v_mul_f64 v[58:59], v[30:31], v[32:33]
	v_fmac_f64_e32 v[56:57], v[32:33], v[28:29]
	v_fmac_f64_e32 v[58:59], v[34:35], v[28:29]
	ds_write_b128 v19, v[28:31] offset:2304
	ds_read_b128 v[28:31], v19 offset:2032
	v_add_f64 v[36:37], v[36:37], -v[56:57]
	v_add_f64 v[38:39], v[38:39], -v[58:59]
	ds_write_b128 v19, v[36:39] offset:2048
	ds_read_b128 v[36:39], v19 offset:1776
	ds_write_b128 v19, v[44:47] offset:2800
	s_waitcnt lgkmcnt(3)
	v_mul_f64 v[56:57], v[46:47], -v[30:31]
	v_mul_f64 v[46:47], v[46:47], v[28:29]
	v_fmac_f64_e32 v[56:57], v[28:29], v[44:45]
	v_fmac_f64_e32 v[46:47], v[30:31], v[44:45]
	s_waitcnt lgkmcnt(1)
	v_mul_f64 v[44:45], v[4:5], -v[38:39]
	v_mul_f64 v[4:5], v[4:5], v[36:37]
	v_fmac_f64_e32 v[4:5], v[38:39], v[2:3]
	v_add_f64 v[40:41], v[40:41], -v[56:57]
	v_add_f64 v[42:43], v[42:43], -v[46:47]
	v_fmac_f64_e32 v[44:45], v[36:37], v[2:3]
	v_mul_f64 v[2:3], v[54:55], v[4:5]
	v_mul_f64 v[4:5], v[4:5], -v[52:53]
	ds_write_b128 v19, v[40:43] offset:3056
	v_mul_f64 v[42:43], v[6:7], v[50:51]
	v_fma_f64 v[2:3], -v[52:53], v[44:45], v[2:3]
	v_fma_f64 v[4:5], -v[54:55], v[44:45], v[4:5]
	v_mul_f64 v[44:45], v[38:39], -v[54:55]
	v_mul_f64 v[46:47], v[52:53], v[38:39]
	v_mul_f64 v[40:41], v[50:51], -v[8:9]
	v_fmac_f64_e32 v[42:43], v[8:9], v[48:49]
	ds_write_b128 v19, v[2:5] offset:1280
	v_fmac_f64_e32 v[44:45], v[52:53], v[36:37]
	v_fmac_f64_e32 v[46:47], v[54:55], v[36:37]
	v_mul_f64 v[36:37], v[4:5], -v[34:35]
	v_mul_f64 v[4:5], v[4:5], v[32:33]
	v_fmac_f64_e32 v[40:41], v[6:7], v[48:49]
	v_mul_f64 v[6:7], v[54:55], v[42:43]
	v_mul_f64 v[8:9], v[42:43], -v[52:53]
	v_mul_f64 v[42:43], v[52:53], v[50:51]
	v_fmac_f64_e32 v[36:37], v[32:33], v[2:3]
	v_fmac_f64_e32 v[4:5], v[34:35], v[2:3]
	v_fma_f64 v[6:7], -v[52:53], v[40:41], v[6:7]
	v_fma_f64 v[8:9], -v[54:55], v[40:41], v[8:9]
	v_mul_f64 v[40:41], v[50:51], -v[54:55]
	v_fmac_f64_e32 v[42:43], v[54:55], v[48:49]
	v_add_f64 v[2:3], v[20:21], -v[36:37]
	v_add_f64 v[4:5], v[22:23], -v[4:5]
	v_fmac_f64_e32 v[40:41], v[52:53], v[48:49]
	ds_write_b128 v19, v[2:5] offset:1024
	v_mul_f64 v[2:3], v[42:43], v[34:35]
	v_mul_f64 v[4:5], v[42:43], -v[32:33]
	v_fma_f64 v[2:3], -v[32:33], v[40:41], v[2:3]
	v_fma_f64 v[4:5], -v[34:35], v[40:41], v[4:5]
	ds_write_b128 v19, v[2:5]
	v_mul_f64 v[2:3], v[30:31], -v[8:9]
	v_mul_f64 v[4:5], v[30:31], v[6:7]
	v_fmac_f64_e32 v[2:3], v[6:7], v[28:29]
	v_fmac_f64_e32 v[4:5], v[8:9], v[28:29]
	v_add_f64 v[2:3], v[24:25], -v[2:3]
	v_add_f64 v[4:5], v[26:27], -v[4:5]
	ds_write_b128 v19, v[2:5] offset:1008
	v_mul_f64 v[2:3], v[30:31], v[46:47]
	v_mul_f64 v[4:5], v[46:47], -v[28:29]
	v_fma_f64 v[2:3], -v[28:29], v[44:45], v[2:3]
	v_fma_f64 v[4:5], -v[30:31], v[44:45], v[4:5]
	ds_write_b128 v19, v[6:9] offset:752
	ds_write_b128 v19, v[40:43] offset:256
	ds_write_b128 v19, v[44:47] offset:1776
	ds_write_b128 v19, v[2:5] offset:2032
.LBB278_10:
	s_or_b64 exec, exec, s[8:9]
	s_waitcnt lgkmcnt(0)
	; wave barrier
	s_and_saveexec_b64 s[8:9], s[6:7]
	s_cbranch_execz .LBB278_12
; %bb.11:
	v_max_u32_e32 v2, 1, v15
	v_lshlrev_b32_e32 v19, 4, v2
	ds_read_b128 v[2:5], v19 offset:2544
	ds_read_b128 v[6:9], v18 offset:1648
	v_min_u32_e32 v15, 15, v15
	v_lshlrev_b32_e32 v15, 4, v15
	ds_read_b128 v[20:23], v15 offset:2304
	ds_read_b128 v[24:27], v18 offset:2176
	;; [unrolled: 1-line block ×3, first 2 shown]
	s_waitcnt lgkmcnt(3)
	v_mul_f64 v[32:33], v[4:5], -v[8:9]
	v_fmac_f64_e32 v[32:33], v[6:7], v[2:3]
	v_mul_f64 v[34:35], v[4:5], v[6:7]
	ds_read_b128 v[4:7], v18 offset:624
	v_fmac_f64_e32 v[34:35], v[8:9], v[2:3]
	s_waitcnt lgkmcnt(1)
	v_add_f64 v[2:3], v[28:29], -v[32:33]
	v_add_f64 v[8:9], v[30:31], -v[34:35]
	ds_read_b128 v[28:31], v18 offset:1152
	s_waitcnt lgkmcnt(1)
	v_mul_f64 v[32:33], v[22:23], -v[6:7]
	v_fmac_f64_e32 v[32:33], v[4:5], v[20:21]
	v_mul_f64 v[4:5], v[22:23], v[4:5]
	v_fmac_f64_e32 v[4:5], v[6:7], v[20:21]
	v_add_f64 v[2:3], v[2:3], -v[32:33]
	v_add_f64 v[4:5], v[8:9], -v[4:5]
	ds_write_b128 v18, v[2:5] offset:2672
	ds_read_b128 v[2:5], v19 offset:2544
	ds_read_b128 v[6:9], v18 offset:128
	s_waitcnt lgkmcnt(1)
	v_mul_f64 v[20:21], v[4:5], -v[30:31]
	v_mul_f64 v[4:5], v[4:5], v[28:29]
	v_fmac_f64_e32 v[20:21], v[28:29], v[2:3]
	v_fmac_f64_e32 v[4:5], v[30:31], v[2:3]
	v_add_f64 v[2:3], v[24:25], -v[20:21]
	v_add_f64 v[4:5], v[26:27], -v[4:5]
	ds_write_b128 v18, v[2:5] offset:2176
	ds_read_b128 v[20:23], v15 offset:2304
	s_waitcnt lgkmcnt(0)
	v_mul_f64 v[24:25], v[22:23], -v[8:9]
	v_fmac_f64_e32 v[24:25], v[6:7], v[20:21]
	v_mul_f64 v[6:7], v[22:23], v[6:7]
	v_fmac_f64_e32 v[6:7], v[8:9], v[20:21]
	v_add_f64 v[2:3], v[2:3], -v[24:25]
	v_add_f64 v[4:5], v[4:5], -v[6:7]
	ds_write_b128 v18, v[2:5] offset:2176
.LBB278_12:
	s_or_b64 exec, exec, s[8:9]
	s_waitcnt lgkmcnt(0)
	; wave barrier
	s_and_saveexec_b64 s[6:7], s[4:5]
	s_cbranch_execz .LBB278_14
; %bb.13:
	v_lshlrev_b32_e32 v15, 3, v0
	v_max_u32_e32 v2, 1, v15
	v_lshlrev_b32_e32 v34, 4, v2
	ds_read_b128 v[2:5], v34 offset:2544
	ds_read_b128 v[6:9], v17 offset:1584
	v_min_u32_e32 v15, 23, v15
	v_lshlrev_b32_e32 v15, 4, v15
	ds_read_b128 v[18:21], v15 offset:2176
	ds_read_b128 v[22:25], v17 offset:2112
	;; [unrolled: 1-line block ×3, first 2 shown]
	s_waitcnt lgkmcnt(3)
	v_mul_f64 v[30:31], v[4:5], -v[8:9]
	v_fmac_f64_e32 v[30:31], v[6:7], v[2:3]
	v_mul_f64 v[32:33], v[4:5], v[6:7]
	ds_read_b128 v[4:7], v17 offset:560
	v_fmac_f64_e32 v[32:33], v[8:9], v[2:3]
	s_waitcnt lgkmcnt(1)
	v_add_f64 v[2:3], v[26:27], -v[30:31]
	v_add_f64 v[8:9], v[28:29], -v[32:33]
	ds_read_b128 v[26:29], v17 offset:1088
	s_waitcnt lgkmcnt(1)
	v_mul_f64 v[30:31], v[20:21], -v[6:7]
	v_fmac_f64_e32 v[30:31], v[4:5], v[18:19]
	v_mul_f64 v[4:5], v[20:21], v[4:5]
	v_fmac_f64_e32 v[4:5], v[6:7], v[18:19]
	v_add_f64 v[2:3], v[2:3], -v[30:31]
	v_add_f64 v[4:5], v[8:9], -v[4:5]
	ds_write_b128 v17, v[2:5] offset:2608
	ds_read_b128 v[2:5], v34 offset:2544
	ds_read_b128 v[6:9], v17 offset:64
	s_waitcnt lgkmcnt(1)
	v_mul_f64 v[18:19], v[4:5], -v[28:29]
	v_mul_f64 v[4:5], v[4:5], v[26:27]
	v_fmac_f64_e32 v[18:19], v[26:27], v[2:3]
	v_fmac_f64_e32 v[4:5], v[28:29], v[2:3]
	v_add_f64 v[2:3], v[22:23], -v[18:19]
	v_add_f64 v[4:5], v[24:25], -v[4:5]
	ds_write_b128 v17, v[2:5] offset:2112
	ds_read_b128 v[18:21], v15 offset:2176
	s_waitcnt lgkmcnt(0)
	v_mul_f64 v[22:23], v[20:21], -v[8:9]
	v_fmac_f64_e32 v[22:23], v[6:7], v[18:19]
	v_mul_f64 v[6:7], v[20:21], v[6:7]
	v_fmac_f64_e32 v[6:7], v[8:9], v[18:19]
	v_add_f64 v[2:3], v[2:3], -v[22:23]
	v_add_f64 v[4:5], v[4:5], -v[6:7]
	ds_write_b128 v17, v[2:5] offset:2112
.LBB278_14:
	s_or_b64 exec, exec, s[6:7]
	s_waitcnt lgkmcnt(0)
	; wave barrier
	s_and_saveexec_b64 s[4:5], s[2:3]
	s_cbranch_execz .LBB278_16
; %bb.15:
	v_lshlrev_b32_e32 v15, 2, v0
	v_max_u32_e32 v2, 1, v15
	v_lshlrev_b32_e32 v17, 4, v2
	ds_read_b128 v[2:5], v17 offset:2544
	ds_read_b128 v[6:9], v16 offset:1552
	v_min_u32_e32 v15, 27, v15
	v_lshlrev_b32_e32 v15, 4, v15
	ds_read_b128 v[18:21], v15 offset:2112
	ds_read_b128 v[22:25], v16 offset:2080
	;; [unrolled: 1-line block ×3, first 2 shown]
	s_waitcnt lgkmcnt(3)
	v_mul_f64 v[30:31], v[4:5], -v[8:9]
	v_fmac_f64_e32 v[30:31], v[6:7], v[2:3]
	v_mul_f64 v[32:33], v[4:5], v[6:7]
	ds_read_b128 v[4:7], v16 offset:528
	v_fmac_f64_e32 v[32:33], v[8:9], v[2:3]
	s_waitcnt lgkmcnt(1)
	v_add_f64 v[2:3], v[26:27], -v[30:31]
	v_add_f64 v[8:9], v[28:29], -v[32:33]
	ds_read_b128 v[26:29], v16 offset:1056
	s_waitcnt lgkmcnt(1)
	v_mul_f64 v[30:31], v[20:21], -v[6:7]
	v_fmac_f64_e32 v[30:31], v[4:5], v[18:19]
	v_mul_f64 v[4:5], v[20:21], v[4:5]
	v_fmac_f64_e32 v[4:5], v[6:7], v[18:19]
	v_add_f64 v[2:3], v[2:3], -v[30:31]
	v_add_f64 v[4:5], v[8:9], -v[4:5]
	ds_write_b128 v16, v[2:5] offset:2576
	ds_read_b128 v[2:5], v17 offset:2544
	ds_read_b128 v[6:9], v16 offset:32
	s_waitcnt lgkmcnt(1)
	v_mul_f64 v[18:19], v[4:5], -v[28:29]
	v_mul_f64 v[4:5], v[4:5], v[26:27]
	v_fmac_f64_e32 v[18:19], v[26:27], v[2:3]
	v_fmac_f64_e32 v[4:5], v[28:29], v[2:3]
	v_add_f64 v[2:3], v[22:23], -v[18:19]
	v_add_f64 v[4:5], v[24:25], -v[4:5]
	ds_write_b128 v16, v[2:5] offset:2080
	ds_read_b128 v[18:21], v15 offset:2112
	s_waitcnt lgkmcnt(0)
	v_mul_f64 v[22:23], v[20:21], -v[8:9]
	v_fmac_f64_e32 v[22:23], v[6:7], v[18:19]
	v_mul_f64 v[6:7], v[20:21], v[6:7]
	v_fmac_f64_e32 v[6:7], v[8:9], v[18:19]
	v_add_f64 v[2:3], v[2:3], -v[22:23]
	v_add_f64 v[4:5], v[4:5], -v[6:7]
	ds_write_b128 v16, v[2:5] offset:2080
.LBB278_16:
	s_or_b64 exec, exec, s[4:5]
	s_waitcnt lgkmcnt(0)
	; wave barrier
	s_and_saveexec_b64 s[2:3], s[0:1]
	s_cbranch_execz .LBB278_18
; %bb.17:
	v_lshlrev_b32_e32 v15, 1, v0
	v_max_u32_e32 v2, 1, v15
	v_lshlrev_b32_e32 v34, 4, v2
	v_lshlrev_b32_e32 v0, 5, v0
	ds_read_b128 v[2:5], v34 offset:2544
	ds_read_b128 v[6:9], v0 offset:1536
	v_min_u32_e32 v15, 29, v15
	v_lshlrev_b32_e32 v15, 4, v15
	ds_read_b128 v[16:19], v15 offset:2080
	ds_read_b128 v[20:23], v0 offset:1040
	;; [unrolled: 1-line block ×3, first 2 shown]
	s_waitcnt lgkmcnt(3)
	v_mul_f64 v[28:29], v[4:5], -v[8:9]
	v_mul_f64 v[30:31], v[4:5], v[6:7]
	v_fmac_f64_e32 v[28:29], v[6:7], v[2:3]
	v_fmac_f64_e32 v[30:31], v[8:9], v[2:3]
	ds_read_b128 v[2:5], v0 offset:512
	ds_read_b128 v[6:9], v0 offset:2064
	s_waitcnt lgkmcnt(2)
	v_add_f64 v[28:29], v[24:25], -v[28:29]
	v_add_f64 v[30:31], v[26:27], -v[30:31]
	ds_read_b128 v[24:27], v0 offset:16
	s_waitcnt lgkmcnt(2)
	v_mul_f64 v[32:33], v[18:19], -v[4:5]
	v_mul_f64 v[18:19], v[18:19], v[2:3]
	v_fmac_f64_e32 v[32:33], v[2:3], v[16:17]
	v_fmac_f64_e32 v[18:19], v[4:5], v[16:17]
	v_add_f64 v[2:3], v[28:29], -v[32:33]
	v_add_f64 v[4:5], v[30:31], -v[18:19]
	ds_write_b128 v0, v[2:5] offset:2560
	ds_read_b128 v[2:5], v34 offset:2544
	s_waitcnt lgkmcnt(0)
	v_mul_f64 v[16:17], v[4:5], -v[22:23]
	v_mul_f64 v[4:5], v[4:5], v[20:21]
	v_fmac_f64_e32 v[16:17], v[20:21], v[2:3]
	v_fmac_f64_e32 v[4:5], v[22:23], v[2:3]
	v_add_f64 v[2:3], v[6:7], -v[16:17]
	v_add_f64 v[4:5], v[8:9], -v[4:5]
	ds_write_b128 v0, v[2:5] offset:2064
	;; [unrolled: 9-line block ×3, first 2 shown]
.LBB278_18:
	s_or_b64 exec, exec, s[2:3]
	s_waitcnt lgkmcnt(0)
	; wave barrier
	ds_read2_b64 v[2:5], v14 offset1:1
	ds_read2_b64 v[6:9], v1 offset1:1
	s_waitcnt lgkmcnt(1)
	global_store_dwordx4 v[10:11], v[2:5], off
	s_waitcnt lgkmcnt(0)
	global_store_dwordx4 v[12:13], v[6:9], off
	s_endpgm
	.section	.rodata,"a",@progbits
	.p2align	6, 0x0
	.amdhsa_kernel _ZN9rocsparseL34gtsv_solve_spike_grid_level_kernelILj32E21rocsparse_complex_numIdEEEviiiPT0_PKS3_S6_
		.amdhsa_group_segment_fixed_size 3072
		.amdhsa_private_segment_fixed_size 0
		.amdhsa_kernarg_size 40
		.amdhsa_user_sgpr_count 2
		.amdhsa_user_sgpr_dispatch_ptr 0
		.amdhsa_user_sgpr_queue_ptr 0
		.amdhsa_user_sgpr_kernarg_segment_ptr 1
		.amdhsa_user_sgpr_dispatch_id 0
		.amdhsa_user_sgpr_kernarg_preload_length 0
		.amdhsa_user_sgpr_kernarg_preload_offset 0
		.amdhsa_user_sgpr_private_segment_size 0
		.amdhsa_uses_dynamic_stack 0
		.amdhsa_enable_private_segment 0
		.amdhsa_system_sgpr_workgroup_id_x 1
		.amdhsa_system_sgpr_workgroup_id_y 1
		.amdhsa_system_sgpr_workgroup_id_z 0
		.amdhsa_system_sgpr_workgroup_info 0
		.amdhsa_system_vgpr_workitem_id 0
		.amdhsa_next_free_vgpr 60
		.amdhsa_next_free_sgpr 12
		.amdhsa_accum_offset 60
		.amdhsa_reserve_vcc 1
		.amdhsa_float_round_mode_32 0
		.amdhsa_float_round_mode_16_64 0
		.amdhsa_float_denorm_mode_32 3
		.amdhsa_float_denorm_mode_16_64 3
		.amdhsa_dx10_clamp 1
		.amdhsa_ieee_mode 1
		.amdhsa_fp16_overflow 0
		.amdhsa_tg_split 0
		.amdhsa_exception_fp_ieee_invalid_op 0
		.amdhsa_exception_fp_denorm_src 0
		.amdhsa_exception_fp_ieee_div_zero 0
		.amdhsa_exception_fp_ieee_overflow 0
		.amdhsa_exception_fp_ieee_underflow 0
		.amdhsa_exception_fp_ieee_inexact 0
		.amdhsa_exception_int_div_zero 0
	.end_amdhsa_kernel
	.section	.text._ZN9rocsparseL34gtsv_solve_spike_grid_level_kernelILj32E21rocsparse_complex_numIdEEEviiiPT0_PKS3_S6_,"axG",@progbits,_ZN9rocsparseL34gtsv_solve_spike_grid_level_kernelILj32E21rocsparse_complex_numIdEEEviiiPT0_PKS3_S6_,comdat
.Lfunc_end278:
	.size	_ZN9rocsparseL34gtsv_solve_spike_grid_level_kernelILj32E21rocsparse_complex_numIdEEEviiiPT0_PKS3_S6_, .Lfunc_end278-_ZN9rocsparseL34gtsv_solve_spike_grid_level_kernelILj32E21rocsparse_complex_numIdEEEviiiPT0_PKS3_S6_
                                        ; -- End function
	.set _ZN9rocsparseL34gtsv_solve_spike_grid_level_kernelILj32E21rocsparse_complex_numIdEEEviiiPT0_PKS3_S6_.num_vgpr, 60
	.set _ZN9rocsparseL34gtsv_solve_spike_grid_level_kernelILj32E21rocsparse_complex_numIdEEEviiiPT0_PKS3_S6_.num_agpr, 0
	.set _ZN9rocsparseL34gtsv_solve_spike_grid_level_kernelILj32E21rocsparse_complex_numIdEEEviiiPT0_PKS3_S6_.numbered_sgpr, 12
	.set _ZN9rocsparseL34gtsv_solve_spike_grid_level_kernelILj32E21rocsparse_complex_numIdEEEviiiPT0_PKS3_S6_.num_named_barrier, 0
	.set _ZN9rocsparseL34gtsv_solve_spike_grid_level_kernelILj32E21rocsparse_complex_numIdEEEviiiPT0_PKS3_S6_.private_seg_size, 0
	.set _ZN9rocsparseL34gtsv_solve_spike_grid_level_kernelILj32E21rocsparse_complex_numIdEEEviiiPT0_PKS3_S6_.uses_vcc, 1
	.set _ZN9rocsparseL34gtsv_solve_spike_grid_level_kernelILj32E21rocsparse_complex_numIdEEEviiiPT0_PKS3_S6_.uses_flat_scratch, 0
	.set _ZN9rocsparseL34gtsv_solve_spike_grid_level_kernelILj32E21rocsparse_complex_numIdEEEviiiPT0_PKS3_S6_.has_dyn_sized_stack, 0
	.set _ZN9rocsparseL34gtsv_solve_spike_grid_level_kernelILj32E21rocsparse_complex_numIdEEEviiiPT0_PKS3_S6_.has_recursion, 0
	.set _ZN9rocsparseL34gtsv_solve_spike_grid_level_kernelILj32E21rocsparse_complex_numIdEEEviiiPT0_PKS3_S6_.has_indirect_call, 0
	.section	.AMDGPU.csdata,"",@progbits
; Kernel info:
; codeLenInByte = 6148
; TotalNumSgprs: 18
; NumVgprs: 60
; NumAgprs: 0
; TotalNumVgprs: 60
; ScratchSize: 0
; MemoryBound: 0
; FloatMode: 240
; IeeeMode: 1
; LDSByteSize: 3072 bytes/workgroup (compile time only)
; SGPRBlocks: 2
; VGPRBlocks: 7
; NumSGPRsForWavesPerEU: 18
; NumVGPRsForWavesPerEU: 60
; AccumOffset: 60
; Occupancy: 8
; WaveLimiterHint : 0
; COMPUTE_PGM_RSRC2:SCRATCH_EN: 0
; COMPUTE_PGM_RSRC2:USER_SGPR: 2
; COMPUTE_PGM_RSRC2:TRAP_HANDLER: 0
; COMPUTE_PGM_RSRC2:TGID_X_EN: 1
; COMPUTE_PGM_RSRC2:TGID_Y_EN: 1
; COMPUTE_PGM_RSRC2:TGID_Z_EN: 0
; COMPUTE_PGM_RSRC2:TIDIG_COMP_CNT: 0
; COMPUTE_PGM_RSRC3_GFX90A:ACCUM_OFFSET: 14
; COMPUTE_PGM_RSRC3_GFX90A:TG_SPLIT: 0
	.section	.text._ZN9rocsparseL34gtsv_solve_spike_grid_level_kernelILj64E21rocsparse_complex_numIdEEEviiiPT0_PKS3_S6_,"axG",@progbits,_ZN9rocsparseL34gtsv_solve_spike_grid_level_kernelILj64E21rocsparse_complex_numIdEEEviiiPT0_PKS3_S6_,comdat
	.globl	_ZN9rocsparseL34gtsv_solve_spike_grid_level_kernelILj64E21rocsparse_complex_numIdEEEviiiPT0_PKS3_S6_ ; -- Begin function _ZN9rocsparseL34gtsv_solve_spike_grid_level_kernelILj64E21rocsparse_complex_numIdEEEviiiPT0_PKS3_S6_
	.p2align	8
	.type	_ZN9rocsparseL34gtsv_solve_spike_grid_level_kernelILj64E21rocsparse_complex_numIdEEEviiiPT0_PKS3_S6_,@function
_ZN9rocsparseL34gtsv_solve_spike_grid_level_kernelILj64E21rocsparse_complex_numIdEEEviiiPT0_PKS3_S6_: ; @_ZN9rocsparseL34gtsv_solve_spike_grid_level_kernelILj64E21rocsparse_complex_numIdEEEviiiPT0_PKS3_S6_
; %bb.0:
	s_load_dwordx4 s[4:7], s[0:1], 0x10
	s_load_dwordx2 s[8:9], s[0:1], 0x20
	v_lshl_or_b32 v2, s3, 7, v0
	v_mov_b32_e32 v3, 0
	v_lshlrev_b32_e32 v15, 4, v0
	s_waitcnt lgkmcnt(0)
	v_lshl_add_u64 v[10:11], v[2:3], 4, s[4:5]
	v_or_b32_e32 v2, 64, v2
	global_load_dwordx4 v[4:7], v15, s[6:7]
	global_load_dwordx4 v[16:19], v15, s[6:7] offset:1024
	global_load_dwordx4 v[20:23], v15, s[8:9]
	global_load_dwordx4 v[24:27], v15, s[8:9] offset:1024
	v_lshl_add_u64 v[12:13], v[2:3], 4, s[4:5]
	global_load_dwordx4 v[28:31], v[10:11], off
	global_load_dwordx4 v[32:35], v[12:13], off
	v_or_b32_e32 v2, 0x800, v15
	v_or_b32_e32 v14, 0x1000, v15
	;; [unrolled: 1-line block ×3, first 2 shown]
	v_cmp_gt_u32_e64 s[0:1], 32, v0
	v_or_b32_e32 v3, 0xc00, v15
	s_waitcnt vmcnt(5)
	ds_write2_b64 v2, v[4:5], v[6:7] offset1:1
	s_waitcnt vmcnt(4)
	ds_write2_b64 v3, v[16:17], v[18:19] offset1:1
	;; [unrolled: 2-line block ×3, first 2 shown]
	s_waitcnt vmcnt(2)
	ds_write2_b64 v15, v[24:25], v[26:27] offset0:128 offset1:129
	s_waitcnt vmcnt(1)
	ds_write2_b64 v14, v[28:29], v[30:31] offset1:1
	s_waitcnt vmcnt(0)
	ds_write2_b64 v1, v[32:33], v[34:35] offset1:1
	s_waitcnt lgkmcnt(0)
	; wave barrier
	s_and_saveexec_b64 s[2:3], s[0:1]
	s_cbranch_execz .LBB279_2
; %bb.1:
	v_add_u32_e32 v57, v15, v15
	v_add_u32_e32 v56, v2, v15
	ds_read_b128 v[6:9], v57 offset:1024
	ds_read_b128 v[2:5], v56 offset:16
	ds_read_b128 v[16:19], v56
	ds_read_b128 v[20:23], v57 offset:1040
	v_add_u32_e32 v58, v14, v15
	s_waitcnt lgkmcnt(2)
	v_mul_f64 v[26:27], v[8:9], v[2:3]
	v_mul_f64 v[24:25], v[8:9], -v[4:5]
	v_fmac_f64_e32 v[26:27], v[4:5], v[6:7]
	v_fmac_f64_e32 v[24:25], v[2:3], v[6:7]
	v_add_f64 v[34:35], -v[26:27], 0
	v_add_f64 v[32:33], -v[24:25], 1.0
	v_mul_f64 v[24:25], v[34:35], v[34:35]
	v_fmac_f64_e32 v[24:25], v[32:33], v[32:33]
	v_div_scale_f64 v[26:27], s[4:5], v[24:25], v[24:25], 1.0
	v_rcp_f64_e32 v[28:29], v[26:27]
	v_fma_f64 v[38:39], 0, v[34:35], v[32:33]
	v_fma_f64 v[32:33], v[32:33], 0, -v[34:35]
	v_fma_f64 v[30:31], -v[26:27], v[28:29], 1.0
	v_fmac_f64_e32 v[28:29], v[28:29], v[30:31]
	v_fma_f64 v[30:31], -v[26:27], v[28:29], 1.0
	v_fmac_f64_e32 v[28:29], v[28:29], v[30:31]
	v_div_scale_f64 v[30:31], vcc, 1.0, v[24:25], 1.0
	v_mul_f64 v[36:37], v[30:31], v[28:29]
	v_fma_f64 v[26:27], -v[26:27], v[36:37], v[30:31]
	s_nop 1
	v_div_fmas_f64 v[26:27], v[26:27], v[28:29], v[36:37]
	v_div_fixup_f64 v[36:37], v[26:27], v[24:25], 1.0
	ds_read_b128 v[24:27], v58
	ds_read_b128 v[28:31], v58 offset:16
	v_mul_f64 v[50:51], v[32:33], v[36:37]
	ds_read_b128 v[32:35], v58 offset:1024
	v_mul_f64 v[48:49], v[38:39], v[36:37]
	ds_read_b128 v[36:39], v58 offset:1040
	s_waitcnt lgkmcnt(2)
	v_mul_f64 v[42:43], v[6:7], v[30:31]
	v_mul_f64 v[40:41], v[30:31], -v[8:9]
	v_fmac_f64_e32 v[42:43], v[8:9], v[28:29]
	v_fmac_f64_e32 v[40:41], v[6:7], v[28:29]
	s_waitcnt lgkmcnt(1)
	v_add_f64 v[46:47], v[34:35], -v[42:43]
	v_add_f64 v[44:45], v[32:33], -v[40:41]
	v_mul_f64 v[40:41], v[50:51], -v[46:47]
	v_fmac_f64_e32 v[40:41], v[44:45], v[48:49]
	v_mul_f64 v[42:43], v[50:51], v[44:45]
	v_mul_f64 v[44:45], v[4:5], -v[34:35]
	v_fmac_f64_e32 v[44:45], v[32:33], v[2:3]
	v_mul_f64 v[32:33], v[4:5], v[32:33]
	v_fmac_f64_e32 v[32:33], v[34:35], v[2:3]
	v_fmac_f64_e32 v[42:43], v[46:47], v[48:49]
	v_add_f64 v[46:47], v[30:31], -v[32:33]
	ds_read_b128 v[32:35], v57
	v_add_f64 v[44:45], v[28:29], -v[44:45]
	v_mul_f64 v[30:31], v[44:45], v[50:51]
	v_mul_f64 v[28:29], v[50:51], -v[46:47]
	v_fmac_f64_e32 v[30:31], v[46:47], v[48:49]
	v_fmac_f64_e32 v[28:29], v[44:45], v[48:49]
	ds_read_b128 v[44:47], v57 offset:16
	s_waitcnt lgkmcnt(1)
	v_mul_f64 v[52:53], v[30:31], -v[34:35]
	v_mul_f64 v[54:55], v[30:31], v[32:33]
	v_fmac_f64_e32 v[52:53], v[32:33], v[28:29]
	v_fmac_f64_e32 v[54:55], v[34:35], v[28:29]
	ds_write_b128 v58, v[28:31] offset:16
	ds_read_b128 v[28:31], v56 offset:1040
	v_add_f64 v[24:25], v[24:25], -v[52:53]
	v_add_f64 v[26:27], v[26:27], -v[54:55]
	ds_write_b128 v58, v[24:27]
	ds_read_b128 v[24:27], v56 offset:1024
	ds_write_b128 v58, v[40:43] offset:1024
	s_waitcnt lgkmcnt(3)
	v_mul_f64 v[52:53], v[42:43], -v[30:31]
	v_mul_f64 v[42:43], v[42:43], v[28:29]
	v_fmac_f64_e32 v[52:53], v[28:29], v[40:41]
	v_fmac_f64_e32 v[42:43], v[30:31], v[40:41]
	s_waitcnt lgkmcnt(1)
	v_mul_f64 v[40:41], v[4:5], -v[26:27]
	v_mul_f64 v[4:5], v[4:5], v[24:25]
	v_fmac_f64_e32 v[4:5], v[26:27], v[2:3]
	v_add_f64 v[36:37], v[36:37], -v[52:53]
	v_add_f64 v[38:39], v[38:39], -v[42:43]
	v_fmac_f64_e32 v[40:41], v[24:25], v[2:3]
	v_mul_f64 v[2:3], v[50:51], v[4:5]
	v_mul_f64 v[4:5], v[4:5], -v[48:49]
	ds_write_b128 v58, v[36:39] offset:1040
	v_mul_f64 v[38:39], v[6:7], v[46:47]
	v_fma_f64 v[2:3], -v[48:49], v[40:41], v[2:3]
	v_fma_f64 v[4:5], -v[50:51], v[40:41], v[4:5]
	v_mul_f64 v[40:41], v[26:27], -v[50:51]
	v_mul_f64 v[42:43], v[48:49], v[26:27]
	v_mul_f64 v[36:37], v[46:47], -v[8:9]
	v_fmac_f64_e32 v[38:39], v[8:9], v[44:45]
	ds_write_b128 v56, v[2:5] offset:16
	v_fmac_f64_e32 v[40:41], v[48:49], v[24:25]
	v_fmac_f64_e32 v[42:43], v[50:51], v[24:25]
	v_mul_f64 v[24:25], v[4:5], -v[34:35]
	v_mul_f64 v[4:5], v[4:5], v[32:33]
	v_fmac_f64_e32 v[36:37], v[6:7], v[44:45]
	v_mul_f64 v[6:7], v[50:51], v[38:39]
	v_mul_f64 v[8:9], v[38:39], -v[48:49]
	v_mul_f64 v[38:39], v[48:49], v[46:47]
	v_fmac_f64_e32 v[24:25], v[32:33], v[2:3]
	v_fmac_f64_e32 v[4:5], v[34:35], v[2:3]
	v_fma_f64 v[6:7], -v[48:49], v[36:37], v[6:7]
	v_fma_f64 v[8:9], -v[50:51], v[36:37], v[8:9]
	v_mul_f64 v[36:37], v[46:47], -v[50:51]
	v_fmac_f64_e32 v[38:39], v[50:51], v[44:45]
	v_add_f64 v[2:3], v[16:17], -v[24:25]
	v_add_f64 v[4:5], v[18:19], -v[4:5]
	v_fmac_f64_e32 v[36:37], v[48:49], v[44:45]
	ds_write_b128 v56, v[2:5]
	v_mul_f64 v[2:3], v[38:39], v[34:35]
	v_mul_f64 v[4:5], v[38:39], -v[32:33]
	v_fma_f64 v[2:3], -v[32:33], v[36:37], v[2:3]
	v_fma_f64 v[4:5], -v[34:35], v[36:37], v[4:5]
	ds_write_b128 v57, v[2:5]
	v_mul_f64 v[2:3], v[30:31], -v[8:9]
	v_mul_f64 v[4:5], v[30:31], v[6:7]
	v_fmac_f64_e32 v[2:3], v[6:7], v[28:29]
	v_fmac_f64_e32 v[4:5], v[8:9], v[28:29]
	v_add_f64 v[2:3], v[20:21], -v[2:3]
	v_add_f64 v[4:5], v[22:23], -v[4:5]
	ds_write_b128 v57, v[2:5] offset:1040
	v_mul_f64 v[2:3], v[30:31], v[42:43]
	v_mul_f64 v[4:5], v[42:43], -v[28:29]
	v_fma_f64 v[2:3], -v[28:29], v[40:41], v[2:3]
	v_fma_f64 v[4:5], -v[30:31], v[40:41], v[4:5]
	ds_write_b128 v57, v[6:9] offset:1024
	ds_write_b128 v57, v[36:39] offset:16
	;; [unrolled: 1-line block ×4, first 2 shown]
.LBB279_2:
	s_or_b64 exec, exec, s[2:3]
	v_cmp_gt_u32_e64 s[2:3], 16, v0
	v_lshlrev_b32_e32 v16, 6, v0
	s_waitcnt lgkmcnt(0)
	; wave barrier
	s_and_saveexec_b64 s[4:5], s[2:3]
	s_cbranch_execz .LBB279_4
; %bb.3:
	ds_read_b128 v[6:9], v16 offset:1040
	ds_read_b128 v[2:5], v16 offset:2080
	;; [unrolled: 1-line block ×4, first 2 shown]
	s_waitcnt lgkmcnt(2)
	v_mul_f64 v[28:29], v[8:9], v[2:3]
	v_mul_f64 v[26:27], v[8:9], -v[4:5]
	v_fmac_f64_e32 v[28:29], v[4:5], v[6:7]
	v_fmac_f64_e32 v[26:27], v[2:3], v[6:7]
	v_add_f64 v[32:33], -v[28:29], 0
	v_add_f64 v[30:31], -v[26:27], 1.0
	v_mul_f64 v[26:27], v[32:33], v[32:33]
	v_fmac_f64_e32 v[26:27], v[30:31], v[30:31]
	v_div_scale_f64 v[28:29], s[6:7], v[26:27], v[26:27], 1.0
	v_rcp_f64_e32 v[34:35], v[28:29]
	s_nop 0
	v_fma_f64 v[36:37], -v[28:29], v[34:35], 1.0
	v_fmac_f64_e32 v[34:35], v[34:35], v[36:37]
	v_fma_f64 v[36:37], -v[28:29], v[34:35], 1.0
	v_fmac_f64_e32 v[34:35], v[34:35], v[36:37]
	v_div_scale_f64 v[36:37], vcc, 1.0, v[26:27], 1.0
	v_mul_f64 v[38:39], v[36:37], v[34:35]
	v_fma_f64 v[28:29], -v[28:29], v[38:39], v[36:37]
	s_nop 1
	v_div_fmas_f64 v[28:29], v[28:29], v[34:35], v[38:39]
	v_div_fixup_f64 v[34:35], v[28:29], v[26:27], 1.0
	v_fma_f64 v[26:27], 0, v[32:33], v[30:31]
	v_mul_f64 v[50:51], v[26:27], v[34:35]
	ds_read_b128 v[26:29], v16 offset:4128
	v_fma_f64 v[30:31], v[30:31], 0, -v[32:33]
	v_mul_f64 v[52:53], v[30:31], v[34:35]
	ds_read_b128 v[30:33], v16 offset:5136
	ds_read_b128 v[34:37], v16 offset:4096
	ds_read_b128 v[38:41], v16 offset:5168
	s_waitcnt lgkmcnt(3)
	v_mul_f64 v[44:45], v[6:7], v[28:29]
	v_mul_f64 v[42:43], v[28:29], -v[8:9]
	v_fmac_f64_e32 v[44:45], v[8:9], v[26:27]
	v_fmac_f64_e32 v[42:43], v[6:7], v[26:27]
	s_waitcnt lgkmcnt(2)
	v_add_f64 v[48:49], v[32:33], -v[44:45]
	v_add_f64 v[46:47], v[30:31], -v[42:43]
	v_mul_f64 v[42:43], v[52:53], -v[48:49]
	v_fmac_f64_e32 v[42:43], v[46:47], v[50:51]
	v_mul_f64 v[44:45], v[52:53], v[46:47]
	v_mul_f64 v[46:47], v[4:5], -v[32:33]
	v_fmac_f64_e32 v[46:47], v[30:31], v[2:3]
	v_mul_f64 v[30:31], v[4:5], v[30:31]
	v_fmac_f64_e32 v[30:31], v[32:33], v[2:3]
	v_fmac_f64_e32 v[44:45], v[48:49], v[50:51]
	v_add_f64 v[48:49], v[28:29], -v[30:31]
	ds_read_b128 v[30:33], v16
	v_add_f64 v[46:47], v[26:27], -v[46:47]
	v_mul_f64 v[28:29], v[46:47], v[52:53]
	v_mul_f64 v[26:27], v[52:53], -v[48:49]
	v_fmac_f64_e32 v[28:29], v[48:49], v[50:51]
	v_fmac_f64_e32 v[26:27], v[46:47], v[50:51]
	ds_read_b128 v[46:49], v16 offset:32
	s_waitcnt lgkmcnt(1)
	v_mul_f64 v[54:55], v[28:29], -v[32:33]
	v_mul_f64 v[56:57], v[28:29], v[30:31]
	v_fmac_f64_e32 v[54:55], v[30:31], v[26:27]
	v_fmac_f64_e32 v[56:57], v[32:33], v[26:27]
	ds_write_b128 v16, v[26:29] offset:4128
	ds_read_b128 v[26:29], v16 offset:3120
	v_add_f64 v[34:35], v[34:35], -v[54:55]
	v_add_f64 v[36:37], v[36:37], -v[56:57]
	ds_write_b128 v16, v[34:37] offset:4096
	ds_read_b128 v[34:37], v16 offset:3088
	ds_write_b128 v16, v[42:45] offset:5136
	s_waitcnt lgkmcnt(3)
	v_mul_f64 v[54:55], v[44:45], -v[28:29]
	v_mul_f64 v[44:45], v[44:45], v[26:27]
	v_fmac_f64_e32 v[54:55], v[26:27], v[42:43]
	v_fmac_f64_e32 v[44:45], v[28:29], v[42:43]
	s_waitcnt lgkmcnt(1)
	v_mul_f64 v[42:43], v[4:5], -v[36:37]
	v_mul_f64 v[4:5], v[4:5], v[34:35]
	v_fmac_f64_e32 v[4:5], v[36:37], v[2:3]
	v_add_f64 v[38:39], v[38:39], -v[54:55]
	v_add_f64 v[40:41], v[40:41], -v[44:45]
	v_fmac_f64_e32 v[42:43], v[34:35], v[2:3]
	v_mul_f64 v[2:3], v[52:53], v[4:5]
	v_mul_f64 v[4:5], v[4:5], -v[50:51]
	ds_write_b128 v16, v[38:41] offset:5168
	v_mul_f64 v[40:41], v[6:7], v[48:49]
	v_fma_f64 v[2:3], -v[50:51], v[42:43], v[2:3]
	v_fma_f64 v[4:5], -v[52:53], v[42:43], v[4:5]
	v_mul_f64 v[42:43], v[36:37], -v[52:53]
	v_mul_f64 v[44:45], v[50:51], v[36:37]
	v_mul_f64 v[38:39], v[48:49], -v[8:9]
	v_fmac_f64_e32 v[40:41], v[8:9], v[46:47]
	ds_write_b128 v16, v[2:5] offset:2080
	v_fmac_f64_e32 v[42:43], v[50:51], v[34:35]
	v_fmac_f64_e32 v[44:45], v[52:53], v[34:35]
	v_mul_f64 v[34:35], v[4:5], -v[32:33]
	v_mul_f64 v[4:5], v[4:5], v[30:31]
	v_fmac_f64_e32 v[38:39], v[6:7], v[46:47]
	v_mul_f64 v[6:7], v[52:53], v[40:41]
	v_mul_f64 v[8:9], v[40:41], -v[50:51]
	v_mul_f64 v[40:41], v[50:51], v[48:49]
	v_fmac_f64_e32 v[34:35], v[30:31], v[2:3]
	v_fmac_f64_e32 v[4:5], v[32:33], v[2:3]
	v_fma_f64 v[6:7], -v[50:51], v[38:39], v[6:7]
	v_fma_f64 v[8:9], -v[52:53], v[38:39], v[8:9]
	v_mul_f64 v[38:39], v[48:49], -v[52:53]
	v_fmac_f64_e32 v[40:41], v[52:53], v[46:47]
	v_add_f64 v[2:3], v[18:19], -v[34:35]
	v_add_f64 v[4:5], v[20:21], -v[4:5]
	v_fmac_f64_e32 v[38:39], v[50:51], v[46:47]
	ds_write_b128 v16, v[2:5] offset:2048
	v_mul_f64 v[2:3], v[40:41], v[32:33]
	v_mul_f64 v[4:5], v[40:41], -v[30:31]
	v_fma_f64 v[2:3], -v[30:31], v[38:39], v[2:3]
	v_fma_f64 v[4:5], -v[32:33], v[38:39], v[4:5]
	ds_write_b128 v16, v[2:5]
	v_mul_f64 v[2:3], v[28:29], -v[8:9]
	v_mul_f64 v[4:5], v[28:29], v[6:7]
	v_fmac_f64_e32 v[2:3], v[6:7], v[26:27]
	v_fmac_f64_e32 v[4:5], v[8:9], v[26:27]
	v_add_f64 v[2:3], v[22:23], -v[2:3]
	v_add_f64 v[4:5], v[24:25], -v[4:5]
	ds_write_b128 v16, v[2:5] offset:1072
	v_mul_f64 v[2:3], v[28:29], v[44:45]
	v_mul_f64 v[4:5], v[44:45], -v[26:27]
	v_fma_f64 v[2:3], -v[26:27], v[42:43], v[2:3]
	v_fma_f64 v[4:5], -v[28:29], v[42:43], v[4:5]
	ds_write_b128 v16, v[6:9] offset:1040
	ds_write_b128 v16, v[38:41] offset:32
	ds_write_b128 v16, v[42:45] offset:3088
	ds_write_b128 v16, v[2:5] offset:3120
.LBB279_4:
	s_or_b64 exec, exec, s[4:5]
	v_cmp_gt_u32_e64 s[4:5], 8, v0
	v_lshlrev_b32_e32 v17, 7, v0
	s_waitcnt lgkmcnt(0)
	; wave barrier
	s_and_saveexec_b64 s[6:7], s[4:5]
	s_cbranch_execz .LBB279_6
; %bb.5:
	ds_read_b128 v[6:9], v17 offset:1072
	ds_read_b128 v[2:5], v17 offset:2112
	;; [unrolled: 1-line block ×4, first 2 shown]
	s_waitcnt lgkmcnt(2)
	v_mul_f64 v[28:29], v[8:9], v[2:3]
	v_mul_f64 v[26:27], v[8:9], -v[4:5]
	v_fmac_f64_e32 v[28:29], v[4:5], v[6:7]
	v_fmac_f64_e32 v[26:27], v[2:3], v[6:7]
	v_add_f64 v[32:33], -v[28:29], 0
	v_add_f64 v[30:31], -v[26:27], 1.0
	v_mul_f64 v[26:27], v[32:33], v[32:33]
	v_fmac_f64_e32 v[26:27], v[30:31], v[30:31]
	v_div_scale_f64 v[28:29], s[8:9], v[26:27], v[26:27], 1.0
	v_rcp_f64_e32 v[34:35], v[28:29]
	s_nop 0
	v_fma_f64 v[36:37], -v[28:29], v[34:35], 1.0
	v_fmac_f64_e32 v[34:35], v[34:35], v[36:37]
	v_fma_f64 v[36:37], -v[28:29], v[34:35], 1.0
	v_fmac_f64_e32 v[34:35], v[34:35], v[36:37]
	v_div_scale_f64 v[36:37], vcc, 1.0, v[26:27], 1.0
	v_mul_f64 v[38:39], v[36:37], v[34:35]
	v_fma_f64 v[28:29], -v[28:29], v[38:39], v[36:37]
	s_nop 1
	v_div_fmas_f64 v[28:29], v[28:29], v[34:35], v[38:39]
	v_div_fixup_f64 v[34:35], v[28:29], v[26:27], 1.0
	v_fma_f64 v[26:27], 0, v[32:33], v[30:31]
	v_mul_f64 v[50:51], v[26:27], v[34:35]
	ds_read_b128 v[26:29], v17 offset:4160
	v_fma_f64 v[30:31], v[30:31], 0, -v[32:33]
	v_mul_f64 v[52:53], v[30:31], v[34:35]
	ds_read_b128 v[30:33], v17 offset:5168
	ds_read_b128 v[34:37], v17 offset:4096
	;; [unrolled: 1-line block ×3, first 2 shown]
	s_waitcnt lgkmcnt(3)
	v_mul_f64 v[44:45], v[6:7], v[28:29]
	v_mul_f64 v[42:43], v[28:29], -v[8:9]
	v_fmac_f64_e32 v[44:45], v[8:9], v[26:27]
	v_fmac_f64_e32 v[42:43], v[6:7], v[26:27]
	s_waitcnt lgkmcnt(2)
	v_add_f64 v[48:49], v[32:33], -v[44:45]
	v_add_f64 v[46:47], v[30:31], -v[42:43]
	v_mul_f64 v[42:43], v[52:53], -v[48:49]
	v_fmac_f64_e32 v[42:43], v[46:47], v[50:51]
	v_mul_f64 v[44:45], v[52:53], v[46:47]
	v_mul_f64 v[46:47], v[4:5], -v[32:33]
	v_fmac_f64_e32 v[46:47], v[30:31], v[2:3]
	v_mul_f64 v[30:31], v[4:5], v[30:31]
	v_fmac_f64_e32 v[30:31], v[32:33], v[2:3]
	v_fmac_f64_e32 v[44:45], v[48:49], v[50:51]
	v_add_f64 v[48:49], v[28:29], -v[30:31]
	ds_read_b128 v[30:33], v17
	v_add_f64 v[46:47], v[26:27], -v[46:47]
	v_mul_f64 v[28:29], v[46:47], v[52:53]
	v_mul_f64 v[26:27], v[52:53], -v[48:49]
	v_fmac_f64_e32 v[28:29], v[48:49], v[50:51]
	v_fmac_f64_e32 v[26:27], v[46:47], v[50:51]
	ds_read_b128 v[46:49], v17 offset:64
	s_waitcnt lgkmcnt(1)
	v_mul_f64 v[54:55], v[28:29], -v[32:33]
	v_mul_f64 v[56:57], v[28:29], v[30:31]
	v_fmac_f64_e32 v[54:55], v[30:31], v[26:27]
	v_fmac_f64_e32 v[56:57], v[32:33], v[26:27]
	ds_write_b128 v17, v[26:29] offset:4160
	ds_read_b128 v[26:29], v17 offset:3184
	v_add_f64 v[34:35], v[34:35], -v[54:55]
	v_add_f64 v[36:37], v[36:37], -v[56:57]
	ds_write_b128 v17, v[34:37] offset:4096
	ds_read_b128 v[34:37], v17 offset:3120
	ds_write_b128 v17, v[42:45] offset:5168
	s_waitcnt lgkmcnt(3)
	v_mul_f64 v[54:55], v[44:45], -v[28:29]
	v_mul_f64 v[44:45], v[44:45], v[26:27]
	v_fmac_f64_e32 v[54:55], v[26:27], v[42:43]
	v_fmac_f64_e32 v[44:45], v[28:29], v[42:43]
	s_waitcnt lgkmcnt(1)
	v_mul_f64 v[42:43], v[4:5], -v[36:37]
	v_mul_f64 v[4:5], v[4:5], v[34:35]
	v_fmac_f64_e32 v[4:5], v[36:37], v[2:3]
	v_add_f64 v[38:39], v[38:39], -v[54:55]
	v_add_f64 v[40:41], v[40:41], -v[44:45]
	v_fmac_f64_e32 v[42:43], v[34:35], v[2:3]
	v_mul_f64 v[2:3], v[52:53], v[4:5]
	v_mul_f64 v[4:5], v[4:5], -v[50:51]
	ds_write_b128 v17, v[38:41] offset:5232
	v_mul_f64 v[40:41], v[6:7], v[48:49]
	v_fma_f64 v[2:3], -v[50:51], v[42:43], v[2:3]
	v_fma_f64 v[4:5], -v[52:53], v[42:43], v[4:5]
	v_mul_f64 v[42:43], v[36:37], -v[52:53]
	v_mul_f64 v[44:45], v[50:51], v[36:37]
	v_mul_f64 v[38:39], v[48:49], -v[8:9]
	v_fmac_f64_e32 v[40:41], v[8:9], v[46:47]
	ds_write_b128 v17, v[2:5] offset:2112
	v_fmac_f64_e32 v[42:43], v[50:51], v[34:35]
	v_fmac_f64_e32 v[44:45], v[52:53], v[34:35]
	v_mul_f64 v[34:35], v[4:5], -v[32:33]
	v_mul_f64 v[4:5], v[4:5], v[30:31]
	v_fmac_f64_e32 v[38:39], v[6:7], v[46:47]
	v_mul_f64 v[6:7], v[52:53], v[40:41]
	v_mul_f64 v[8:9], v[40:41], -v[50:51]
	v_mul_f64 v[40:41], v[50:51], v[48:49]
	v_fmac_f64_e32 v[34:35], v[30:31], v[2:3]
	v_fmac_f64_e32 v[4:5], v[32:33], v[2:3]
	v_fma_f64 v[6:7], -v[50:51], v[38:39], v[6:7]
	v_fma_f64 v[8:9], -v[52:53], v[38:39], v[8:9]
	v_mul_f64 v[38:39], v[48:49], -v[52:53]
	v_fmac_f64_e32 v[40:41], v[52:53], v[46:47]
	v_add_f64 v[2:3], v[18:19], -v[34:35]
	v_add_f64 v[4:5], v[20:21], -v[4:5]
	v_fmac_f64_e32 v[38:39], v[50:51], v[46:47]
	ds_write_b128 v17, v[2:5] offset:2048
	v_mul_f64 v[2:3], v[40:41], v[32:33]
	v_mul_f64 v[4:5], v[40:41], -v[30:31]
	v_fma_f64 v[2:3], -v[30:31], v[38:39], v[2:3]
	v_fma_f64 v[4:5], -v[32:33], v[38:39], v[4:5]
	ds_write_b128 v17, v[2:5]
	v_mul_f64 v[2:3], v[28:29], -v[8:9]
	v_mul_f64 v[4:5], v[28:29], v[6:7]
	v_fmac_f64_e32 v[2:3], v[6:7], v[26:27]
	v_fmac_f64_e32 v[4:5], v[8:9], v[26:27]
	v_add_f64 v[2:3], v[22:23], -v[2:3]
	v_add_f64 v[4:5], v[24:25], -v[4:5]
	ds_write_b128 v17, v[2:5] offset:1136
	v_mul_f64 v[2:3], v[28:29], v[44:45]
	v_mul_f64 v[4:5], v[44:45], -v[26:27]
	v_fma_f64 v[2:3], -v[26:27], v[42:43], v[2:3]
	v_fma_f64 v[4:5], -v[28:29], v[42:43], v[4:5]
	ds_write_b128 v17, v[6:9] offset:1072
	ds_write_b128 v17, v[38:41] offset:64
	;; [unrolled: 1-line block ×4, first 2 shown]
.LBB279_6:
	s_or_b64 exec, exec, s[6:7]
	v_cmp_gt_u32_e64 s[6:7], 4, v0
	v_lshlrev_b32_e32 v18, 8, v0
	s_waitcnt lgkmcnt(0)
	; wave barrier
	s_and_saveexec_b64 s[8:9], s[6:7]
	s_cbranch_execz .LBB279_8
; %bb.7:
	ds_read_b128 v[6:9], v18 offset:1136
	ds_read_b128 v[2:5], v18 offset:2176
	;; [unrolled: 1-line block ×4, first 2 shown]
	s_waitcnt lgkmcnt(2)
	v_mul_f64 v[30:31], v[8:9], v[2:3]
	v_mul_f64 v[28:29], v[8:9], -v[4:5]
	v_fmac_f64_e32 v[30:31], v[4:5], v[6:7]
	v_fmac_f64_e32 v[28:29], v[2:3], v[6:7]
	v_add_f64 v[34:35], -v[30:31], 0
	v_add_f64 v[32:33], -v[28:29], 1.0
	v_mul_f64 v[28:29], v[34:35], v[34:35]
	v_fmac_f64_e32 v[28:29], v[32:33], v[32:33]
	v_div_scale_f64 v[30:31], s[10:11], v[28:29], v[28:29], 1.0
	v_rcp_f64_e32 v[36:37], v[30:31]
	s_nop 0
	v_fma_f64 v[38:39], -v[30:31], v[36:37], 1.0
	v_fmac_f64_e32 v[36:37], v[36:37], v[38:39]
	v_fma_f64 v[38:39], -v[30:31], v[36:37], 1.0
	v_fmac_f64_e32 v[36:37], v[36:37], v[38:39]
	v_div_scale_f64 v[38:39], vcc, 1.0, v[28:29], 1.0
	v_mul_f64 v[40:41], v[38:39], v[36:37]
	v_fma_f64 v[30:31], -v[30:31], v[40:41], v[38:39]
	s_nop 1
	v_div_fmas_f64 v[30:31], v[30:31], v[36:37], v[40:41]
	v_div_fixup_f64 v[36:37], v[30:31], v[28:29], 1.0
	v_fma_f64 v[28:29], 0, v[34:35], v[32:33]
	v_mul_f64 v[52:53], v[28:29], v[36:37]
	ds_read_b128 v[28:31], v18 offset:4224
	v_fma_f64 v[32:33], v[32:33], 0, -v[34:35]
	v_mul_f64 v[54:55], v[32:33], v[36:37]
	ds_read_b128 v[32:35], v18 offset:5232
	ds_read_b128 v[36:39], v18 offset:4096
	;; [unrolled: 1-line block ×3, first 2 shown]
	s_waitcnt lgkmcnt(3)
	v_mul_f64 v[46:47], v[6:7], v[30:31]
	v_mul_f64 v[44:45], v[30:31], -v[8:9]
	v_fmac_f64_e32 v[46:47], v[8:9], v[28:29]
	v_fmac_f64_e32 v[44:45], v[6:7], v[28:29]
	s_waitcnt lgkmcnt(2)
	v_add_f64 v[50:51], v[34:35], -v[46:47]
	v_add_f64 v[48:49], v[32:33], -v[44:45]
	v_mul_f64 v[44:45], v[54:55], -v[50:51]
	v_fmac_f64_e32 v[44:45], v[48:49], v[52:53]
	v_mul_f64 v[46:47], v[54:55], v[48:49]
	v_mul_f64 v[48:49], v[4:5], -v[34:35]
	v_fmac_f64_e32 v[48:49], v[32:33], v[2:3]
	v_mul_f64 v[32:33], v[4:5], v[32:33]
	v_fmac_f64_e32 v[32:33], v[34:35], v[2:3]
	v_fmac_f64_e32 v[46:47], v[50:51], v[52:53]
	v_add_f64 v[50:51], v[30:31], -v[32:33]
	ds_read_b128 v[32:35], v18
	v_add_f64 v[48:49], v[28:29], -v[48:49]
	v_mul_f64 v[30:31], v[48:49], v[54:55]
	v_mul_f64 v[28:29], v[54:55], -v[50:51]
	v_fmac_f64_e32 v[30:31], v[50:51], v[52:53]
	v_fmac_f64_e32 v[28:29], v[48:49], v[52:53]
	ds_read_b128 v[48:51], v18 offset:128
	s_waitcnt lgkmcnt(1)
	v_mul_f64 v[56:57], v[30:31], -v[34:35]
	v_mul_f64 v[58:59], v[30:31], v[32:33]
	v_fmac_f64_e32 v[56:57], v[32:33], v[28:29]
	v_fmac_f64_e32 v[58:59], v[34:35], v[28:29]
	ds_write_b128 v18, v[28:31] offset:4224
	ds_read_b128 v[28:31], v18 offset:3312
	v_add_f64 v[36:37], v[36:37], -v[56:57]
	v_add_f64 v[38:39], v[38:39], -v[58:59]
	ds_write_b128 v18, v[36:39] offset:4096
	ds_read_b128 v[36:39], v18 offset:3184
	ds_write_b128 v18, v[44:47] offset:5232
	s_waitcnt lgkmcnt(3)
	v_mul_f64 v[56:57], v[46:47], -v[30:31]
	v_mul_f64 v[46:47], v[46:47], v[28:29]
	v_fmac_f64_e32 v[56:57], v[28:29], v[44:45]
	v_fmac_f64_e32 v[46:47], v[30:31], v[44:45]
	s_waitcnt lgkmcnt(1)
	v_mul_f64 v[44:45], v[4:5], -v[38:39]
	v_mul_f64 v[4:5], v[4:5], v[36:37]
	v_fmac_f64_e32 v[4:5], v[38:39], v[2:3]
	v_add_f64 v[40:41], v[40:41], -v[56:57]
	v_add_f64 v[42:43], v[42:43], -v[46:47]
	v_fmac_f64_e32 v[44:45], v[36:37], v[2:3]
	v_mul_f64 v[2:3], v[54:55], v[4:5]
	v_mul_f64 v[4:5], v[4:5], -v[52:53]
	ds_write_b128 v18, v[40:43] offset:5360
	v_mul_f64 v[42:43], v[6:7], v[50:51]
	v_fma_f64 v[2:3], -v[52:53], v[44:45], v[2:3]
	v_fma_f64 v[4:5], -v[54:55], v[44:45], v[4:5]
	v_mul_f64 v[44:45], v[38:39], -v[54:55]
	v_mul_f64 v[46:47], v[52:53], v[38:39]
	v_mul_f64 v[40:41], v[50:51], -v[8:9]
	v_fmac_f64_e32 v[42:43], v[8:9], v[48:49]
	ds_write_b128 v18, v[2:5] offset:2176
	v_fmac_f64_e32 v[44:45], v[52:53], v[36:37]
	v_fmac_f64_e32 v[46:47], v[54:55], v[36:37]
	v_mul_f64 v[36:37], v[4:5], -v[34:35]
	v_mul_f64 v[4:5], v[4:5], v[32:33]
	v_fmac_f64_e32 v[40:41], v[6:7], v[48:49]
	v_mul_f64 v[6:7], v[54:55], v[42:43]
	v_mul_f64 v[8:9], v[42:43], -v[52:53]
	v_mul_f64 v[42:43], v[52:53], v[50:51]
	v_fmac_f64_e32 v[36:37], v[32:33], v[2:3]
	v_fmac_f64_e32 v[4:5], v[34:35], v[2:3]
	v_fma_f64 v[6:7], -v[52:53], v[40:41], v[6:7]
	v_fma_f64 v[8:9], -v[54:55], v[40:41], v[8:9]
	v_mul_f64 v[40:41], v[50:51], -v[54:55]
	v_fmac_f64_e32 v[42:43], v[54:55], v[48:49]
	v_add_f64 v[2:3], v[20:21], -v[36:37]
	v_add_f64 v[4:5], v[22:23], -v[4:5]
	v_fmac_f64_e32 v[40:41], v[52:53], v[48:49]
	ds_write_b128 v18, v[2:5] offset:2048
	v_mul_f64 v[2:3], v[42:43], v[34:35]
	v_mul_f64 v[4:5], v[42:43], -v[32:33]
	v_fma_f64 v[2:3], -v[32:33], v[40:41], v[2:3]
	v_fma_f64 v[4:5], -v[34:35], v[40:41], v[4:5]
	ds_write_b128 v18, v[2:5]
	v_mul_f64 v[2:3], v[30:31], -v[8:9]
	v_mul_f64 v[4:5], v[30:31], v[6:7]
	v_fmac_f64_e32 v[2:3], v[6:7], v[28:29]
	v_fmac_f64_e32 v[4:5], v[8:9], v[28:29]
	v_add_f64 v[2:3], v[24:25], -v[2:3]
	v_add_f64 v[4:5], v[26:27], -v[4:5]
	ds_write_b128 v18, v[2:5] offset:1264
	v_mul_f64 v[2:3], v[30:31], v[46:47]
	v_mul_f64 v[4:5], v[46:47], -v[28:29]
	v_fma_f64 v[2:3], -v[28:29], v[44:45], v[2:3]
	v_fma_f64 v[4:5], -v[30:31], v[44:45], v[4:5]
	ds_write_b128 v18, v[6:9] offset:1136
	ds_write_b128 v18, v[40:43] offset:128
	;; [unrolled: 1-line block ×4, first 2 shown]
.LBB279_8:
	s_or_b64 exec, exec, s[8:9]
	v_cmp_gt_u32_e64 s[8:9], 2, v0
	v_lshlrev_b32_e32 v19, 9, v0
	s_waitcnt lgkmcnt(0)
	; wave barrier
	s_and_saveexec_b64 s[10:11], s[8:9]
	s_cbranch_execz .LBB279_10
; %bb.9:
	ds_read_b128 v[6:9], v19 offset:1264
	ds_read_b128 v[2:5], v19 offset:2304
	;; [unrolled: 1-line block ×4, first 2 shown]
	s_waitcnt lgkmcnt(2)
	v_mul_f64 v[30:31], v[8:9], v[2:3]
	v_mul_f64 v[28:29], v[8:9], -v[4:5]
	v_fmac_f64_e32 v[30:31], v[4:5], v[6:7]
	v_fmac_f64_e32 v[28:29], v[2:3], v[6:7]
	v_add_f64 v[34:35], -v[30:31], 0
	v_add_f64 v[32:33], -v[28:29], 1.0
	v_mul_f64 v[28:29], v[34:35], v[34:35]
	v_fmac_f64_e32 v[28:29], v[32:33], v[32:33]
	v_div_scale_f64 v[30:31], s[12:13], v[28:29], v[28:29], 1.0
	v_rcp_f64_e32 v[36:37], v[30:31]
	s_nop 0
	v_fma_f64 v[38:39], -v[30:31], v[36:37], 1.0
	v_fmac_f64_e32 v[36:37], v[36:37], v[38:39]
	v_fma_f64 v[38:39], -v[30:31], v[36:37], 1.0
	v_fmac_f64_e32 v[36:37], v[36:37], v[38:39]
	v_div_scale_f64 v[38:39], vcc, 1.0, v[28:29], 1.0
	v_mul_f64 v[40:41], v[38:39], v[36:37]
	v_fma_f64 v[30:31], -v[30:31], v[40:41], v[38:39]
	s_nop 1
	v_div_fmas_f64 v[30:31], v[30:31], v[36:37], v[40:41]
	v_div_fixup_f64 v[36:37], v[30:31], v[28:29], 1.0
	v_fma_f64 v[28:29], 0, v[34:35], v[32:33]
	v_mul_f64 v[52:53], v[28:29], v[36:37]
	ds_read_b128 v[28:31], v19 offset:4352
	v_fma_f64 v[32:33], v[32:33], 0, -v[34:35]
	v_mul_f64 v[54:55], v[32:33], v[36:37]
	ds_read_b128 v[32:35], v19 offset:5360
	ds_read_b128 v[36:39], v19 offset:4096
	;; [unrolled: 1-line block ×3, first 2 shown]
	s_waitcnt lgkmcnt(3)
	v_mul_f64 v[46:47], v[6:7], v[30:31]
	v_mul_f64 v[44:45], v[30:31], -v[8:9]
	v_fmac_f64_e32 v[46:47], v[8:9], v[28:29]
	v_fmac_f64_e32 v[44:45], v[6:7], v[28:29]
	s_waitcnt lgkmcnt(2)
	v_add_f64 v[50:51], v[34:35], -v[46:47]
	v_add_f64 v[48:49], v[32:33], -v[44:45]
	v_mul_f64 v[44:45], v[54:55], -v[50:51]
	v_fmac_f64_e32 v[44:45], v[48:49], v[52:53]
	v_mul_f64 v[46:47], v[54:55], v[48:49]
	v_mul_f64 v[48:49], v[4:5], -v[34:35]
	v_fmac_f64_e32 v[48:49], v[32:33], v[2:3]
	v_mul_f64 v[32:33], v[4:5], v[32:33]
	v_fmac_f64_e32 v[32:33], v[34:35], v[2:3]
	v_fmac_f64_e32 v[46:47], v[50:51], v[52:53]
	v_add_f64 v[50:51], v[30:31], -v[32:33]
	ds_read_b128 v[32:35], v19
	v_add_f64 v[48:49], v[28:29], -v[48:49]
	v_mul_f64 v[30:31], v[48:49], v[54:55]
	v_mul_f64 v[28:29], v[54:55], -v[50:51]
	v_fmac_f64_e32 v[30:31], v[50:51], v[52:53]
	v_fmac_f64_e32 v[28:29], v[48:49], v[52:53]
	ds_read_b128 v[48:51], v19 offset:256
	s_waitcnt lgkmcnt(1)
	v_mul_f64 v[56:57], v[30:31], -v[34:35]
	v_mul_f64 v[58:59], v[30:31], v[32:33]
	v_fmac_f64_e32 v[56:57], v[32:33], v[28:29]
	v_fmac_f64_e32 v[58:59], v[34:35], v[28:29]
	ds_write_b128 v19, v[28:31] offset:4352
	ds_read_b128 v[28:31], v19 offset:3568
	v_add_f64 v[36:37], v[36:37], -v[56:57]
	v_add_f64 v[38:39], v[38:39], -v[58:59]
	ds_write_b128 v19, v[36:39] offset:4096
	ds_read_b128 v[36:39], v19 offset:3312
	ds_write_b128 v19, v[44:47] offset:5360
	s_waitcnt lgkmcnt(3)
	v_mul_f64 v[56:57], v[46:47], -v[30:31]
	v_mul_f64 v[46:47], v[46:47], v[28:29]
	v_fmac_f64_e32 v[56:57], v[28:29], v[44:45]
	v_fmac_f64_e32 v[46:47], v[30:31], v[44:45]
	s_waitcnt lgkmcnt(1)
	v_mul_f64 v[44:45], v[4:5], -v[38:39]
	v_mul_f64 v[4:5], v[4:5], v[36:37]
	v_fmac_f64_e32 v[4:5], v[38:39], v[2:3]
	v_add_f64 v[40:41], v[40:41], -v[56:57]
	v_add_f64 v[42:43], v[42:43], -v[46:47]
	v_fmac_f64_e32 v[44:45], v[36:37], v[2:3]
	v_mul_f64 v[2:3], v[54:55], v[4:5]
	v_mul_f64 v[4:5], v[4:5], -v[52:53]
	ds_write_b128 v19, v[40:43] offset:5616
	v_mul_f64 v[42:43], v[6:7], v[50:51]
	v_fma_f64 v[2:3], -v[52:53], v[44:45], v[2:3]
	v_fma_f64 v[4:5], -v[54:55], v[44:45], v[4:5]
	v_mul_f64 v[44:45], v[38:39], -v[54:55]
	v_mul_f64 v[46:47], v[52:53], v[38:39]
	v_mul_f64 v[40:41], v[50:51], -v[8:9]
	v_fmac_f64_e32 v[42:43], v[8:9], v[48:49]
	ds_write_b128 v19, v[2:5] offset:2304
	v_fmac_f64_e32 v[44:45], v[52:53], v[36:37]
	v_fmac_f64_e32 v[46:47], v[54:55], v[36:37]
	v_mul_f64 v[36:37], v[4:5], -v[34:35]
	v_mul_f64 v[4:5], v[4:5], v[32:33]
	v_fmac_f64_e32 v[40:41], v[6:7], v[48:49]
	v_mul_f64 v[6:7], v[54:55], v[42:43]
	v_mul_f64 v[8:9], v[42:43], -v[52:53]
	v_mul_f64 v[42:43], v[52:53], v[50:51]
	v_fmac_f64_e32 v[36:37], v[32:33], v[2:3]
	v_fmac_f64_e32 v[4:5], v[34:35], v[2:3]
	v_fma_f64 v[6:7], -v[52:53], v[40:41], v[6:7]
	v_fma_f64 v[8:9], -v[54:55], v[40:41], v[8:9]
	v_mul_f64 v[40:41], v[50:51], -v[54:55]
	v_fmac_f64_e32 v[42:43], v[54:55], v[48:49]
	v_add_f64 v[2:3], v[20:21], -v[36:37]
	v_add_f64 v[4:5], v[22:23], -v[4:5]
	v_fmac_f64_e32 v[40:41], v[52:53], v[48:49]
	ds_write_b128 v19, v[2:5] offset:2048
	v_mul_f64 v[2:3], v[42:43], v[34:35]
	v_mul_f64 v[4:5], v[42:43], -v[32:33]
	v_fma_f64 v[2:3], -v[32:33], v[40:41], v[2:3]
	v_fma_f64 v[4:5], -v[34:35], v[40:41], v[4:5]
	ds_write_b128 v19, v[2:5]
	v_mul_f64 v[2:3], v[30:31], -v[8:9]
	v_mul_f64 v[4:5], v[30:31], v[6:7]
	v_fmac_f64_e32 v[2:3], v[6:7], v[28:29]
	v_fmac_f64_e32 v[4:5], v[8:9], v[28:29]
	v_add_f64 v[2:3], v[24:25], -v[2:3]
	v_add_f64 v[4:5], v[26:27], -v[4:5]
	ds_write_b128 v19, v[2:5] offset:1520
	v_mul_f64 v[2:3], v[30:31], v[46:47]
	v_mul_f64 v[4:5], v[46:47], -v[28:29]
	v_fma_f64 v[2:3], -v[28:29], v[44:45], v[2:3]
	v_fma_f64 v[4:5], -v[30:31], v[44:45], v[4:5]
	ds_write_b128 v19, v[6:9] offset:1264
	ds_write_b128 v19, v[40:43] offset:256
	;; [unrolled: 1-line block ×4, first 2 shown]
.LBB279_10:
	s_or_b64 exec, exec, s[10:11]
	v_cmp_eq_u32_e32 vcc, 0, v0
	s_waitcnt lgkmcnt(0)
	; wave barrier
	s_and_saveexec_b64 s[10:11], vcc
	s_cbranch_execz .LBB279_12
; %bb.11:
	v_mov_b32_e32 v60, 0
	ds_read_b128 v[6:9], v60 offset:1520
	ds_read_b128 v[2:5], v60 offset:2560
	;; [unrolled: 1-line block ×4, first 2 shown]
	s_waitcnt lgkmcnt(2)
	v_mul_f64 v[30:31], v[8:9], v[2:3]
	v_mul_f64 v[28:29], v[8:9], -v[4:5]
	v_fmac_f64_e32 v[30:31], v[4:5], v[6:7]
	v_fmac_f64_e32 v[28:29], v[2:3], v[6:7]
	v_add_f64 v[34:35], -v[30:31], 0
	v_add_f64 v[32:33], -v[28:29], 1.0
	v_mul_f64 v[28:29], v[34:35], v[34:35]
	v_fmac_f64_e32 v[28:29], v[32:33], v[32:33]
	v_div_scale_f64 v[30:31], s[12:13], v[28:29], v[28:29], 1.0
	v_rcp_f64_e32 v[36:37], v[30:31]
	s_nop 0
	v_fma_f64 v[38:39], -v[30:31], v[36:37], 1.0
	v_fmac_f64_e32 v[36:37], v[36:37], v[38:39]
	v_fma_f64 v[38:39], -v[30:31], v[36:37], 1.0
	v_fmac_f64_e32 v[36:37], v[36:37], v[38:39]
	v_div_scale_f64 v[38:39], vcc, 1.0, v[28:29], 1.0
	v_mul_f64 v[40:41], v[38:39], v[36:37]
	v_fma_f64 v[30:31], -v[30:31], v[40:41], v[38:39]
	s_nop 1
	v_div_fmas_f64 v[30:31], v[30:31], v[36:37], v[40:41]
	v_div_fixup_f64 v[36:37], v[30:31], v[28:29], 1.0
	v_fma_f64 v[28:29], 0, v[34:35], v[32:33]
	v_mul_f64 v[52:53], v[28:29], v[36:37]
	ds_read_b128 v[28:31], v60 offset:4608
	v_fma_f64 v[32:33], v[32:33], 0, -v[34:35]
	v_mul_f64 v[54:55], v[32:33], v[36:37]
	ds_read_b128 v[32:35], v60 offset:5616
	ds_read_b128 v[36:39], v60 offset:4096
	;; [unrolled: 1-line block ×3, first 2 shown]
	s_waitcnt lgkmcnt(3)
	v_mul_f64 v[46:47], v[6:7], v[30:31]
	v_mul_f64 v[44:45], v[30:31], -v[8:9]
	v_fmac_f64_e32 v[46:47], v[8:9], v[28:29]
	v_fmac_f64_e32 v[44:45], v[6:7], v[28:29]
	s_waitcnt lgkmcnt(2)
	v_add_f64 v[50:51], v[34:35], -v[46:47]
	v_add_f64 v[48:49], v[32:33], -v[44:45]
	v_mul_f64 v[44:45], v[54:55], -v[50:51]
	v_fmac_f64_e32 v[44:45], v[48:49], v[52:53]
	v_mul_f64 v[46:47], v[54:55], v[48:49]
	v_mul_f64 v[48:49], v[4:5], -v[34:35]
	v_fmac_f64_e32 v[48:49], v[32:33], v[2:3]
	v_mul_f64 v[32:33], v[4:5], v[32:33]
	v_fmac_f64_e32 v[32:33], v[34:35], v[2:3]
	v_fmac_f64_e32 v[46:47], v[50:51], v[52:53]
	v_add_f64 v[50:51], v[30:31], -v[32:33]
	ds_read_b128 v[32:35], v60
	v_add_f64 v[48:49], v[28:29], -v[48:49]
	v_mul_f64 v[30:31], v[48:49], v[54:55]
	v_mul_f64 v[28:29], v[54:55], -v[50:51]
	v_fmac_f64_e32 v[30:31], v[50:51], v[52:53]
	v_fmac_f64_e32 v[28:29], v[48:49], v[52:53]
	ds_read_b128 v[48:51], v60 offset:512
	s_waitcnt lgkmcnt(1)
	v_mul_f64 v[56:57], v[30:31], -v[34:35]
	v_mul_f64 v[58:59], v[30:31], v[32:33]
	v_fmac_f64_e32 v[56:57], v[32:33], v[28:29]
	v_fmac_f64_e32 v[58:59], v[34:35], v[28:29]
	ds_write_b128 v60, v[28:31] offset:4608
	ds_read_b128 v[28:31], v60 offset:4080
	v_add_f64 v[36:37], v[36:37], -v[56:57]
	v_add_f64 v[38:39], v[38:39], -v[58:59]
	ds_write_b128 v60, v[36:39] offset:4096
	ds_read_b128 v[36:39], v60 offset:3568
	ds_write_b128 v60, v[44:47] offset:5616
	s_waitcnt lgkmcnt(3)
	v_mul_f64 v[56:57], v[46:47], -v[30:31]
	v_mul_f64 v[46:47], v[46:47], v[28:29]
	v_fmac_f64_e32 v[56:57], v[28:29], v[44:45]
	v_fmac_f64_e32 v[46:47], v[30:31], v[44:45]
	s_waitcnt lgkmcnt(1)
	v_mul_f64 v[44:45], v[4:5], -v[38:39]
	v_mul_f64 v[4:5], v[4:5], v[36:37]
	v_fmac_f64_e32 v[4:5], v[38:39], v[2:3]
	v_add_f64 v[40:41], v[40:41], -v[56:57]
	v_add_f64 v[42:43], v[42:43], -v[46:47]
	v_fmac_f64_e32 v[44:45], v[36:37], v[2:3]
	v_mul_f64 v[2:3], v[54:55], v[4:5]
	v_mul_f64 v[4:5], v[4:5], -v[52:53]
	ds_write_b128 v60, v[40:43] offset:6128
	v_mul_f64 v[42:43], v[6:7], v[50:51]
	v_fma_f64 v[2:3], -v[52:53], v[44:45], v[2:3]
	v_fma_f64 v[4:5], -v[54:55], v[44:45], v[4:5]
	v_mul_f64 v[44:45], v[38:39], -v[54:55]
	v_mul_f64 v[46:47], v[52:53], v[38:39]
	v_mul_f64 v[40:41], v[50:51], -v[8:9]
	v_fmac_f64_e32 v[42:43], v[8:9], v[48:49]
	ds_write_b128 v60, v[2:5] offset:2560
	v_fmac_f64_e32 v[44:45], v[52:53], v[36:37]
	v_fmac_f64_e32 v[46:47], v[54:55], v[36:37]
	v_mul_f64 v[36:37], v[4:5], -v[34:35]
	v_mul_f64 v[4:5], v[4:5], v[32:33]
	v_fmac_f64_e32 v[40:41], v[6:7], v[48:49]
	v_mul_f64 v[6:7], v[54:55], v[42:43]
	v_mul_f64 v[8:9], v[42:43], -v[52:53]
	v_mul_f64 v[42:43], v[52:53], v[50:51]
	v_fmac_f64_e32 v[36:37], v[32:33], v[2:3]
	v_fmac_f64_e32 v[4:5], v[34:35], v[2:3]
	v_fma_f64 v[6:7], -v[52:53], v[40:41], v[6:7]
	v_fma_f64 v[8:9], -v[54:55], v[40:41], v[8:9]
	v_mul_f64 v[40:41], v[50:51], -v[54:55]
	v_fmac_f64_e32 v[42:43], v[54:55], v[48:49]
	v_add_f64 v[2:3], v[20:21], -v[36:37]
	v_add_f64 v[4:5], v[22:23], -v[4:5]
	v_fmac_f64_e32 v[40:41], v[52:53], v[48:49]
	ds_write_b128 v60, v[2:5] offset:2048
	v_mul_f64 v[2:3], v[42:43], v[34:35]
	v_mul_f64 v[4:5], v[42:43], -v[32:33]
	v_fma_f64 v[2:3], -v[32:33], v[40:41], v[2:3]
	v_fma_f64 v[4:5], -v[34:35], v[40:41], v[4:5]
	ds_write_b128 v60, v[2:5]
	v_mul_f64 v[2:3], v[30:31], -v[8:9]
	v_mul_f64 v[4:5], v[30:31], v[6:7]
	v_fmac_f64_e32 v[2:3], v[6:7], v[28:29]
	v_fmac_f64_e32 v[4:5], v[8:9], v[28:29]
	v_add_f64 v[2:3], v[24:25], -v[2:3]
	v_add_f64 v[4:5], v[26:27], -v[4:5]
	ds_write_b128 v60, v[2:5] offset:2032
	v_mul_f64 v[2:3], v[30:31], v[46:47]
	v_mul_f64 v[4:5], v[46:47], -v[28:29]
	v_fma_f64 v[2:3], -v[28:29], v[44:45], v[2:3]
	v_fma_f64 v[4:5], -v[30:31], v[44:45], v[4:5]
	ds_write_b128 v60, v[6:9] offset:1520
	ds_write_b128 v60, v[40:43] offset:512
	;; [unrolled: 1-line block ×4, first 2 shown]
.LBB279_12:
	s_or_b64 exec, exec, s[10:11]
	v_lshlrev_b32_e32 v2, 5, v0
	s_waitcnt lgkmcnt(0)
	; wave barrier
	s_and_saveexec_b64 s[10:11], s[8:9]
	s_cbranch_execz .LBB279_14
; %bb.13:
	v_max_u32_e32 v3, 1, v2
	v_lshlrev_b32_e32 v3, 4, v3
	ds_read_b128 v[4:7], v3 offset:5104
	ds_read_b128 v[20:23], v19 offset:3312
	v_min_u32_e32 v8, 31, v2
	v_lshlrev_b32_e32 v38, 4, v8
	ds_read_b128 v[24:27], v38 offset:4608
	ds_read_b128 v[28:31], v19 offset:4352
	;; [unrolled: 1-line block ×3, first 2 shown]
	s_waitcnt lgkmcnt(3)
	v_mul_f64 v[36:37], v[6:7], -v[22:23]
	v_fmac_f64_e32 v[36:37], v[20:21], v[4:5]
	v_mul_f64 v[20:21], v[6:7], v[20:21]
	ds_read_b128 v[6:9], v19 offset:1264
	v_fmac_f64_e32 v[20:21], v[22:23], v[4:5]
	s_waitcnt lgkmcnt(1)
	v_add_f64 v[4:5], v[32:33], -v[36:37]
	v_add_f64 v[32:33], v[34:35], -v[20:21]
	ds_read_b128 v[20:23], v19 offset:2304
	s_waitcnt lgkmcnt(1)
	v_mul_f64 v[34:35], v[26:27], -v[8:9]
	v_fmac_f64_e32 v[34:35], v[6:7], v[24:25]
	v_mul_f64 v[6:7], v[26:27], v[6:7]
	v_fmac_f64_e32 v[6:7], v[8:9], v[24:25]
	v_add_f64 v[4:5], v[4:5], -v[34:35]
	v_add_f64 v[6:7], v[32:33], -v[6:7]
	ds_write_b128 v19, v[4:7] offset:5360
	ds_read_b128 v[4:7], v3 offset:5104
	ds_read_b128 v[24:27], v19 offset:256
	s_waitcnt lgkmcnt(1)
	v_mul_f64 v[8:9], v[6:7], -v[22:23]
	v_mul_f64 v[6:7], v[6:7], v[20:21]
	v_fmac_f64_e32 v[8:9], v[20:21], v[4:5]
	v_fmac_f64_e32 v[6:7], v[22:23], v[4:5]
	v_add_f64 v[4:5], v[28:29], -v[8:9]
	v_add_f64 v[6:7], v[30:31], -v[6:7]
	ds_write_b128 v19, v[4:7] offset:4352
	ds_read_b128 v[20:23], v38 offset:4608
	s_waitcnt lgkmcnt(0)
	v_mul_f64 v[8:9], v[22:23], -v[26:27]
	v_mul_f64 v[22:23], v[22:23], v[24:25]
	v_fmac_f64_e32 v[8:9], v[24:25], v[20:21]
	v_fmac_f64_e32 v[22:23], v[26:27], v[20:21]
	v_add_f64 v[4:5], v[4:5], -v[8:9]
	v_add_f64 v[6:7], v[6:7], -v[22:23]
	ds_write_b128 v19, v[4:7] offset:4352
.LBB279_14:
	s_or_b64 exec, exec, s[10:11]
	s_waitcnt lgkmcnt(0)
	; wave barrier
	s_and_saveexec_b64 s[8:9], s[6:7]
	s_cbranch_execz .LBB279_16
; %bb.15:
	v_max_u32_e32 v3, 1, v15
	v_lshlrev_b32_e32 v3, 4, v3
	ds_read_b128 v[4:7], v3 offset:5104
	ds_read_b128 v[20:23], v18 offset:3184
	v_min_u32_e32 v8, 47, v15
	v_lshlrev_b32_e32 v15, 4, v8
	ds_read_b128 v[24:27], v15 offset:4352
	ds_read_b128 v[28:31], v18 offset:4224
	ds_read_b128 v[32:35], v18 offset:5232
	s_waitcnt lgkmcnt(3)
	v_mul_f64 v[36:37], v[6:7], -v[22:23]
	v_fmac_f64_e32 v[36:37], v[20:21], v[4:5]
	v_mul_f64 v[20:21], v[6:7], v[20:21]
	ds_read_b128 v[6:9], v18 offset:1136
	v_fmac_f64_e32 v[20:21], v[22:23], v[4:5]
	s_waitcnt lgkmcnt(1)
	v_add_f64 v[4:5], v[32:33], -v[36:37]
	v_add_f64 v[32:33], v[34:35], -v[20:21]
	ds_read_b128 v[20:23], v18 offset:2176
	s_waitcnt lgkmcnt(1)
	v_mul_f64 v[34:35], v[26:27], -v[8:9]
	v_fmac_f64_e32 v[34:35], v[6:7], v[24:25]
	v_mul_f64 v[6:7], v[26:27], v[6:7]
	v_fmac_f64_e32 v[6:7], v[8:9], v[24:25]
	v_add_f64 v[4:5], v[4:5], -v[34:35]
	v_add_f64 v[6:7], v[32:33], -v[6:7]
	ds_write_b128 v18, v[4:7] offset:5232
	ds_read_b128 v[4:7], v3 offset:5104
	ds_read_b128 v[24:27], v18 offset:128
	s_waitcnt lgkmcnt(1)
	v_mul_f64 v[8:9], v[6:7], -v[22:23]
	v_mul_f64 v[6:7], v[6:7], v[20:21]
	v_fmac_f64_e32 v[8:9], v[20:21], v[4:5]
	v_fmac_f64_e32 v[6:7], v[22:23], v[4:5]
	v_add_f64 v[4:5], v[28:29], -v[8:9]
	v_add_f64 v[6:7], v[30:31], -v[6:7]
	ds_write_b128 v18, v[4:7] offset:4224
	ds_read_b128 v[20:23], v15 offset:4352
	s_waitcnt lgkmcnt(0)
	v_mul_f64 v[8:9], v[22:23], -v[26:27]
	v_mul_f64 v[22:23], v[22:23], v[24:25]
	v_fmac_f64_e32 v[8:9], v[24:25], v[20:21]
	v_fmac_f64_e32 v[22:23], v[26:27], v[20:21]
	v_add_f64 v[4:5], v[4:5], -v[8:9]
	v_add_f64 v[6:7], v[6:7], -v[22:23]
	ds_write_b128 v18, v[4:7] offset:4224
.LBB279_16:
	s_or_b64 exec, exec, s[8:9]
	s_waitcnt lgkmcnt(0)
	; wave barrier
	s_and_saveexec_b64 s[6:7], s[4:5]
	s_cbranch_execz .LBB279_18
; %bb.17:
	v_lshlrev_b32_e32 v3, 3, v0
	v_max_u32_e32 v4, 1, v3
	v_lshlrev_b32_e32 v15, 4, v4
	ds_read_b128 v[4:7], v15 offset:5104
	ds_read_b128 v[18:21], v17 offset:3120
	v_min_u32_e32 v3, 55, v3
	v_lshlrev_b32_e32 v3, 4, v3
	ds_read_b128 v[22:25], v3 offset:4224
	ds_read_b128 v[26:29], v17 offset:4160
	ds_read_b128 v[30:33], v17 offset:5168
	s_waitcnt lgkmcnt(3)
	v_mul_f64 v[34:35], v[6:7], -v[20:21]
	v_fmac_f64_e32 v[34:35], v[18:19], v[4:5]
	v_mul_f64 v[18:19], v[6:7], v[18:19]
	ds_read_b128 v[6:9], v17 offset:1072
	v_fmac_f64_e32 v[18:19], v[20:21], v[4:5]
	s_waitcnt lgkmcnt(1)
	v_add_f64 v[4:5], v[30:31], -v[34:35]
	v_add_f64 v[30:31], v[32:33], -v[18:19]
	ds_read_b128 v[18:21], v17 offset:2112
	s_waitcnt lgkmcnt(1)
	v_mul_f64 v[32:33], v[24:25], -v[8:9]
	v_fmac_f64_e32 v[32:33], v[6:7], v[22:23]
	v_mul_f64 v[6:7], v[24:25], v[6:7]
	v_fmac_f64_e32 v[6:7], v[8:9], v[22:23]
	v_add_f64 v[4:5], v[4:5], -v[32:33]
	v_add_f64 v[6:7], v[30:31], -v[6:7]
	ds_write_b128 v17, v[4:7] offset:5168
	ds_read_b128 v[4:7], v15 offset:5104
	ds_read_b128 v[22:25], v17 offset:64
	s_waitcnt lgkmcnt(1)
	v_mul_f64 v[8:9], v[6:7], -v[20:21]
	v_mul_f64 v[6:7], v[6:7], v[18:19]
	v_fmac_f64_e32 v[8:9], v[18:19], v[4:5]
	v_fmac_f64_e32 v[6:7], v[20:21], v[4:5]
	v_add_f64 v[4:5], v[26:27], -v[8:9]
	v_add_f64 v[6:7], v[28:29], -v[6:7]
	ds_write_b128 v17, v[4:7] offset:4160
	ds_read_b128 v[18:21], v3 offset:4224
	s_waitcnt lgkmcnt(0)
	v_mul_f64 v[8:9], v[20:21], -v[24:25]
	v_mul_f64 v[20:21], v[20:21], v[22:23]
	v_fmac_f64_e32 v[8:9], v[22:23], v[18:19]
	v_fmac_f64_e32 v[20:21], v[24:25], v[18:19]
	v_add_f64 v[4:5], v[4:5], -v[8:9]
	v_add_f64 v[6:7], v[6:7], -v[20:21]
	ds_write_b128 v17, v[4:7] offset:4160
.LBB279_18:
	s_or_b64 exec, exec, s[6:7]
	s_waitcnt lgkmcnt(0)
	; wave barrier
	s_and_saveexec_b64 s[4:5], s[2:3]
	s_cbranch_execz .LBB279_20
; %bb.19:
	v_lshlrev_b32_e32 v3, 2, v0
	v_max_u32_e32 v4, 1, v3
	v_lshlrev_b32_e32 v15, 4, v4
	ds_read_b128 v[4:7], v15 offset:5104
	ds_read_b128 v[18:21], v16 offset:3088
	v_min_u32_e32 v3, 59, v3
	v_lshlrev_b32_e32 v3, 4, v3
	ds_read_b128 v[22:25], v3 offset:4160
	ds_read_b128 v[26:29], v16 offset:4128
	ds_read_b128 v[30:33], v16 offset:5136
	s_waitcnt lgkmcnt(3)
	v_mul_f64 v[34:35], v[6:7], -v[20:21]
	v_fmac_f64_e32 v[34:35], v[18:19], v[4:5]
	v_mul_f64 v[18:19], v[6:7], v[18:19]
	ds_read_b128 v[6:9], v16 offset:1040
	v_fmac_f64_e32 v[18:19], v[20:21], v[4:5]
	s_waitcnt lgkmcnt(1)
	v_add_f64 v[4:5], v[30:31], -v[34:35]
	v_add_f64 v[30:31], v[32:33], -v[18:19]
	ds_read_b128 v[18:21], v16 offset:2080
	s_waitcnt lgkmcnt(1)
	v_mul_f64 v[32:33], v[24:25], -v[8:9]
	v_fmac_f64_e32 v[32:33], v[6:7], v[22:23]
	v_mul_f64 v[6:7], v[24:25], v[6:7]
	v_fmac_f64_e32 v[6:7], v[8:9], v[22:23]
	v_add_f64 v[4:5], v[4:5], -v[32:33]
	v_add_f64 v[6:7], v[30:31], -v[6:7]
	ds_write_b128 v16, v[4:7] offset:5136
	ds_read_b128 v[4:7], v15 offset:5104
	ds_read_b128 v[22:25], v16 offset:32
	s_waitcnt lgkmcnt(1)
	v_mul_f64 v[8:9], v[6:7], -v[20:21]
	v_mul_f64 v[6:7], v[6:7], v[18:19]
	v_fmac_f64_e32 v[8:9], v[18:19], v[4:5]
	v_fmac_f64_e32 v[6:7], v[20:21], v[4:5]
	v_add_f64 v[4:5], v[26:27], -v[8:9]
	v_add_f64 v[6:7], v[28:29], -v[6:7]
	ds_write_b128 v16, v[4:7] offset:4128
	ds_read_b128 v[18:21], v3 offset:4160
	s_waitcnt lgkmcnt(0)
	v_mul_f64 v[8:9], v[20:21], -v[24:25]
	v_mul_f64 v[20:21], v[20:21], v[22:23]
	v_fmac_f64_e32 v[8:9], v[22:23], v[18:19]
	v_fmac_f64_e32 v[20:21], v[24:25], v[18:19]
	v_add_f64 v[4:5], v[4:5], -v[8:9]
	v_add_f64 v[6:7], v[6:7], -v[20:21]
	ds_write_b128 v16, v[4:7] offset:4128
.LBB279_20:
	;; [unrolled: 54-line block ×3, first 2 shown]
	s_or_b64 exec, exec, s[2:3]
	s_waitcnt lgkmcnt(0)
	; wave barrier
	ds_read2_b64 v[2:5], v14 offset1:1
	ds_read2_b64 v[6:9], v1 offset1:1
	s_waitcnt lgkmcnt(1)
	global_store_dwordx4 v[10:11], v[2:5], off
	s_waitcnt lgkmcnt(0)
	global_store_dwordx4 v[12:13], v[6:9], off
	s_endpgm
	.section	.rodata,"a",@progbits
	.p2align	6, 0x0
	.amdhsa_kernel _ZN9rocsparseL34gtsv_solve_spike_grid_level_kernelILj64E21rocsparse_complex_numIdEEEviiiPT0_PKS3_S6_
		.amdhsa_group_segment_fixed_size 6144
		.amdhsa_private_segment_fixed_size 0
		.amdhsa_kernarg_size 40
		.amdhsa_user_sgpr_count 2
		.amdhsa_user_sgpr_dispatch_ptr 0
		.amdhsa_user_sgpr_queue_ptr 0
		.amdhsa_user_sgpr_kernarg_segment_ptr 1
		.amdhsa_user_sgpr_dispatch_id 0
		.amdhsa_user_sgpr_kernarg_preload_length 0
		.amdhsa_user_sgpr_kernarg_preload_offset 0
		.amdhsa_user_sgpr_private_segment_size 0
		.amdhsa_uses_dynamic_stack 0
		.amdhsa_enable_private_segment 0
		.amdhsa_system_sgpr_workgroup_id_x 1
		.amdhsa_system_sgpr_workgroup_id_y 1
		.amdhsa_system_sgpr_workgroup_id_z 0
		.amdhsa_system_sgpr_workgroup_info 0
		.amdhsa_system_vgpr_workitem_id 0
		.amdhsa_next_free_vgpr 65
		.amdhsa_next_free_sgpr 75
		.amdhsa_accum_offset 64
		.amdhsa_reserve_vcc 1
		.amdhsa_float_round_mode_32 0
		.amdhsa_float_round_mode_16_64 0
		.amdhsa_float_denorm_mode_32 3
		.amdhsa_float_denorm_mode_16_64 3
		.amdhsa_dx10_clamp 1
		.amdhsa_ieee_mode 1
		.amdhsa_fp16_overflow 0
		.amdhsa_tg_split 0
		.amdhsa_exception_fp_ieee_invalid_op 0
		.amdhsa_exception_fp_denorm_src 0
		.amdhsa_exception_fp_ieee_div_zero 0
		.amdhsa_exception_fp_ieee_overflow 0
		.amdhsa_exception_fp_ieee_underflow 0
		.amdhsa_exception_fp_ieee_inexact 0
		.amdhsa_exception_int_div_zero 0
	.end_amdhsa_kernel
	.section	.text._ZN9rocsparseL34gtsv_solve_spike_grid_level_kernelILj64E21rocsparse_complex_numIdEEEviiiPT0_PKS3_S6_,"axG",@progbits,_ZN9rocsparseL34gtsv_solve_spike_grid_level_kernelILj64E21rocsparse_complex_numIdEEEviiiPT0_PKS3_S6_,comdat
.Lfunc_end279:
	.size	_ZN9rocsparseL34gtsv_solve_spike_grid_level_kernelILj64E21rocsparse_complex_numIdEEEviiiPT0_PKS3_S6_, .Lfunc_end279-_ZN9rocsparseL34gtsv_solve_spike_grid_level_kernelILj64E21rocsparse_complex_numIdEEEviiiPT0_PKS3_S6_
                                        ; -- End function
	.set _ZN9rocsparseL34gtsv_solve_spike_grid_level_kernelILj64E21rocsparse_complex_numIdEEEviiiPT0_PKS3_S6_.num_vgpr, 61
	.set _ZN9rocsparseL34gtsv_solve_spike_grid_level_kernelILj64E21rocsparse_complex_numIdEEEviiiPT0_PKS3_S6_.num_agpr, 0
	.set _ZN9rocsparseL34gtsv_solve_spike_grid_level_kernelILj64E21rocsparse_complex_numIdEEEviiiPT0_PKS3_S6_.numbered_sgpr, 14
	.set _ZN9rocsparseL34gtsv_solve_spike_grid_level_kernelILj64E21rocsparse_complex_numIdEEEviiiPT0_PKS3_S6_.num_named_barrier, 0
	.set _ZN9rocsparseL34gtsv_solve_spike_grid_level_kernelILj64E21rocsparse_complex_numIdEEEviiiPT0_PKS3_S6_.private_seg_size, 0
	.set _ZN9rocsparseL34gtsv_solve_spike_grid_level_kernelILj64E21rocsparse_complex_numIdEEEviiiPT0_PKS3_S6_.uses_vcc, 1
	.set _ZN9rocsparseL34gtsv_solve_spike_grid_level_kernelILj64E21rocsparse_complex_numIdEEEviiiPT0_PKS3_S6_.uses_flat_scratch, 0
	.set _ZN9rocsparseL34gtsv_solve_spike_grid_level_kernelILj64E21rocsparse_complex_numIdEEEviiiPT0_PKS3_S6_.has_dyn_sized_stack, 0
	.set _ZN9rocsparseL34gtsv_solve_spike_grid_level_kernelILj64E21rocsparse_complex_numIdEEEviiiPT0_PKS3_S6_.has_recursion, 0
	.set _ZN9rocsparseL34gtsv_solve_spike_grid_level_kernelILj64E21rocsparse_complex_numIdEEEviiiPT0_PKS3_S6_.has_indirect_call, 0
	.section	.AMDGPU.csdata,"",@progbits
; Kernel info:
; codeLenInByte = 7396
; TotalNumSgprs: 20
; NumVgprs: 61
; NumAgprs: 0
; TotalNumVgprs: 61
; ScratchSize: 0
; MemoryBound: 0
; FloatMode: 240
; IeeeMode: 1
; LDSByteSize: 6144 bytes/workgroup (compile time only)
; SGPRBlocks: 10
; VGPRBlocks: 8
; NumSGPRsForWavesPerEU: 81
; NumVGPRsForWavesPerEU: 65
; AccumOffset: 64
; Occupancy: 7
; WaveLimiterHint : 0
; COMPUTE_PGM_RSRC2:SCRATCH_EN: 0
; COMPUTE_PGM_RSRC2:USER_SGPR: 2
; COMPUTE_PGM_RSRC2:TRAP_HANDLER: 0
; COMPUTE_PGM_RSRC2:TGID_X_EN: 1
; COMPUTE_PGM_RSRC2:TGID_Y_EN: 1
; COMPUTE_PGM_RSRC2:TGID_Z_EN: 0
; COMPUTE_PGM_RSRC2:TIDIG_COMP_CNT: 0
; COMPUTE_PGM_RSRC3_GFX90A:ACCUM_OFFSET: 15
; COMPUTE_PGM_RSRC3_GFX90A:TG_SPLIT: 0
	.section	.text._ZN9rocsparseL34gtsv_solve_spike_grid_level_kernelILj128E21rocsparse_complex_numIdEEEviiiPT0_PKS3_S6_,"axG",@progbits,_ZN9rocsparseL34gtsv_solve_spike_grid_level_kernelILj128E21rocsparse_complex_numIdEEEviiiPT0_PKS3_S6_,comdat
	.globl	_ZN9rocsparseL34gtsv_solve_spike_grid_level_kernelILj128E21rocsparse_complex_numIdEEEviiiPT0_PKS3_S6_ ; -- Begin function _ZN9rocsparseL34gtsv_solve_spike_grid_level_kernelILj128E21rocsparse_complex_numIdEEEviiiPT0_PKS3_S6_
	.p2align	8
	.type	_ZN9rocsparseL34gtsv_solve_spike_grid_level_kernelILj128E21rocsparse_complex_numIdEEEviiiPT0_PKS3_S6_,@function
_ZN9rocsparseL34gtsv_solve_spike_grid_level_kernelILj128E21rocsparse_complex_numIdEEEviiiPT0_PKS3_S6_: ; @_ZN9rocsparseL34gtsv_solve_spike_grid_level_kernelILj128E21rocsparse_complex_numIdEEEviiiPT0_PKS3_S6_
; %bb.0:
	s_load_dwordx4 s[4:7], s[0:1], 0x10
	s_load_dwordx2 s[8:9], s[0:1], 0x20
	v_lshl_or_b32 v8, s3, 8, v0
	v_mov_b32_e32 v9, 0
	v_lshlrev_b32_e32 v11, 4, v0
	s_waitcnt lgkmcnt(0)
	v_lshl_add_u64 v[6:7], v[8:9], 4, s[4:5]
	v_or_b32_e32 v8, 0x80, v8
	global_load_dwordx4 v[2:5], v11, s[6:7]
	global_load_dwordx4 v[12:15], v11, s[6:7] offset:2048
	global_load_dwordx4 v[16:19], v11, s[8:9]
	global_load_dwordx4 v[20:23], v11, s[8:9] offset:2048
	v_lshl_add_u64 v[8:9], v[8:9], 4, s[4:5]
	global_load_dwordx4 v[24:27], v[6:7], off
	global_load_dwordx4 v[28:31], v[8:9], off
	v_or_b32_e32 v32, 0x1000, v11
	v_or_b32_e32 v10, 0x2000, v11
	;; [unrolled: 1-line block ×3, first 2 shown]
	s_mov_b32 s2, 2
	v_or_b32_e32 v33, 0x1800, v11
	v_or_b32_e32 v34, 0x800, v11
	s_waitcnt vmcnt(5)
	ds_write2_b64 v32, v[2:3], v[4:5] offset1:1
	s_waitcnt vmcnt(4)
	ds_write2_b64 v33, v[12:13], v[14:15] offset1:1
	s_waitcnt vmcnt(3)
	ds_write2_b64 v11, v[16:17], v[18:19] offset1:1
	s_waitcnt vmcnt(2)
	ds_write2_b64 v34, v[20:21], v[22:23] offset1:1
	s_waitcnt vmcnt(1)
	ds_write2_b64 v10, v[24:25], v[26:27] offset1:1
	s_waitcnt vmcnt(0)
	ds_write2_b64 v1, v[28:29], v[30:31] offset1:1
	s_waitcnt lgkmcnt(0)
	s_barrier
	s_branch .LBB280_2
.LBB280_1:                              ;   in Loop: Header=BB280_2 Depth=1
	s_or_b64 exec, exec, s[0:1]
	s_lshl_b32 s0, s2, 1
	s_cmpk_lt_u32 s2, 0x41
	s_mov_b32 s2, s0
	s_waitcnt lgkmcnt(0)
	s_barrier
	s_cbranch_scc0 .LBB280_4
.LBB280_2:                              ; =>This Inner Loop Header: Depth=1
	s_ff1_i32_b32 s0, s2
	s_lshr_b32 s0, 0x80, s0
	v_cmp_gt_u32_e32 vcc, s0, v0
	s_and_saveexec_b64 s[0:1], vcc
	s_cbranch_execz .LBB280_1
; %bb.3:                                ;   in Loop: Header=BB280_2 Depth=1
	v_mul_lo_u32 v30, s2, v0
	s_lshr_b32 s3, s2, 1
	v_add_u32_e32 v44, s3, v30
	v_lshlrev_b32_e32 v45, 4, v44
	ds_read_b128 v[12:15], v45 offset:4096
	ds_read_b128 v[2:5], v45 offset:2032
	ds_read_b128 v[16:19], v45
	ds_read_b128 v[20:23], v45 offset:6128
	v_lshlrev_b32_e32 v46, 4, v30
	v_add_lshl_u32 v44, v44, s3, 4
	s_waitcnt lgkmcnt(2)
	v_mul_f64 v[26:27], v[4:5], v[12:13]
	v_mul_f64 v[24:25], v[4:5], -v[14:15]
	v_fmac_f64_e32 v[26:27], v[14:15], v[2:3]
	v_fmac_f64_e32 v[24:25], v[12:13], v[2:3]
	v_add_f64 v[34:35], -v[26:27], 0
	v_add_f64 v[32:33], -v[24:25], 1.0
	v_mul_f64 v[24:25], v[34:35], v[34:35]
	v_fmac_f64_e32 v[24:25], v[32:33], v[32:33]
	v_div_scale_f64 v[26:27], s[4:5], v[24:25], v[24:25], 1.0
	v_rcp_f64_e32 v[28:29], v[26:27]
	v_fma_f64 v[38:39], 0, v[34:35], v[32:33]
	v_fma_f64 v[32:33], v[32:33], 0, -v[34:35]
	v_fma_f64 v[30:31], -v[26:27], v[28:29], 1.0
	v_fmac_f64_e32 v[28:29], v[28:29], v[30:31]
	v_fma_f64 v[30:31], -v[26:27], v[28:29], 1.0
	v_fmac_f64_e32 v[28:29], v[28:29], v[30:31]
	v_div_scale_f64 v[30:31], vcc, 1.0, v[24:25], 1.0
	v_mul_f64 v[36:37], v[30:31], v[28:29]
	v_fma_f64 v[26:27], -v[26:27], v[36:37], v[30:31]
	s_nop 1
	v_div_fmas_f64 v[26:27], v[26:27], v[28:29], v[36:37]
	v_div_fixup_f64 v[36:37], v[26:27], v[24:25], 1.0
	ds_read_b128 v[24:27], v45 offset:10224
	ds_read_b128 v[28:31], v45 offset:8192
	v_mul_f64 v[42:43], v[32:33], v[36:37]
	v_mul_f64 v[40:41], v[38:39], v[36:37]
	s_waitcnt lgkmcnt(0)
	v_mul_f64 v[32:33], v[30:31], -v[4:5]
	v_mul_f64 v[34:35], v[2:3], v[30:31]
	v_fmac_f64_e32 v[32:33], v[2:3], v[28:29]
	v_fmac_f64_e32 v[34:35], v[4:5], v[28:29]
	v_add_f64 v[36:37], v[24:25], -v[32:33]
	v_add_f64 v[38:39], v[26:27], -v[34:35]
	v_mul_f64 v[32:33], v[42:43], -v[38:39]
	v_mul_f64 v[34:35], v[42:43], v[36:37]
	v_fmac_f64_e32 v[32:33], v[36:37], v[40:41]
	v_fmac_f64_e32 v[34:35], v[38:39], v[40:41]
	ds_write_b128 v45, v[32:35] offset:10224
	v_mul_f64 v[32:33], v[14:15], -v[26:27]
	v_fmac_f64_e32 v[32:33], v[24:25], v[12:13]
	v_mul_f64 v[24:25], v[14:15], v[24:25]
	v_fmac_f64_e32 v[24:25], v[26:27], v[12:13]
	v_add_f64 v[26:27], v[28:29], -v[32:33]
	v_add_f64 v[28:29], v[30:31], -v[24:25]
	v_mul_f64 v[24:25], v[42:43], -v[28:29]
	v_fmac_f64_e32 v[24:25], v[26:27], v[40:41]
	v_mul_f64 v[26:27], v[26:27], v[42:43]
	v_fmac_f64_e32 v[26:27], v[28:29], v[40:41]
	ds_read_b128 v[28:31], v46
	ds_read_b128 v[32:35], v44 offset:6128
	v_mul_f64 v[36:37], v[14:15], -v[22:23]
	v_mul_f64 v[14:15], v[14:15], v[20:21]
	v_fmac_f64_e32 v[14:15], v[22:23], v[12:13]
	v_fmac_f64_e32 v[36:37], v[20:21], v[12:13]
	v_mul_f64 v[12:13], v[42:43], v[14:15]
	v_mul_f64 v[14:15], v[14:15], -v[40:41]
	v_fma_f64 v[12:13], -v[40:41], v[36:37], v[12:13]
	v_fma_f64 v[14:15], -v[42:43], v[36:37], v[14:15]
	v_mul_f64 v[36:37], v[22:23], -v[42:43]
	v_mul_f64 v[38:39], v[40:41], v[22:23]
	v_fmac_f64_e32 v[36:37], v[40:41], v[20:21]
	v_fmac_f64_e32 v[38:39], v[42:43], v[20:21]
	ds_write_b128 v45, v[36:39] offset:6128
	s_waitcnt lgkmcnt(2)
	v_mul_f64 v[36:37], v[26:27], -v[30:31]
	v_fmac_f64_e32 v[36:37], v[28:29], v[24:25]
	v_mul_f64 v[28:29], v[26:27], v[28:29]
	v_mul_f64 v[38:39], v[2:3], v[18:19]
	ds_write_b128 v45, v[24:27] offset:8192
	ds_write_b128 v45, v[12:15] offset:4096
	v_fmac_f64_e32 v[28:29], v[30:31], v[24:25]
	v_mul_f64 v[30:31], v[18:19], -v[4:5]
	v_fmac_f64_e32 v[38:39], v[4:5], v[16:17]
	ds_read_b128 v[20:23], v46 offset:4096
	ds_read_b128 v[24:27], v46 offset:8192
	v_fmac_f64_e32 v[30:31], v[2:3], v[16:17]
	v_mul_f64 v[2:3], v[42:43], v[38:39]
	v_mul_f64 v[4:5], v[38:39], -v[40:41]
	v_fma_f64 v[2:3], -v[40:41], v[30:31], v[2:3]
	v_fma_f64 v[4:5], -v[42:43], v[30:31], v[4:5]
	ds_write_b128 v45, v[2:5] offset:2032
	v_mul_f64 v[2:3], v[18:19], -v[42:43]
	v_mul_f64 v[4:5], v[40:41], v[18:19]
	v_fmac_f64_e32 v[2:3], v[40:41], v[16:17]
	v_fmac_f64_e32 v[4:5], v[42:43], v[16:17]
	ds_write_b128 v45, v[2:5]
	ds_read_b128 v[16:19], v46
	s_waitcnt lgkmcnt(3)
	v_add_f64 v[24:25], v[24:25], -v[36:37]
	v_add_f64 v[26:27], v[26:27], -v[28:29]
	ds_write_b128 v46, v[24:27] offset:8192
	ds_read_b128 v[24:27], v45 offset:10224
	s_waitcnt lgkmcnt(2)
	v_mul_f64 v[28:29], v[4:5], v[18:19]
	v_mul_f64 v[4:5], v[4:5], -v[16:17]
	v_fma_f64 v[28:29], -v[16:17], v[2:3], v[28:29]
	v_fma_f64 v[30:31], -v[18:19], v[2:3], v[4:5]
	ds_write_b128 v46, v[28:31]
	s_waitcnt lgkmcnt(1)
	v_mul_f64 v[28:29], v[26:27], -v[34:35]
	v_fmac_f64_e32 v[28:29], v[32:33], v[24:25]
	v_mul_f64 v[30:31], v[26:27], v[32:33]
	v_mul_f64 v[32:33], v[14:15], -v[18:19]
	v_mul_f64 v[14:15], v[14:15], v[16:17]
	v_fmac_f64_e32 v[32:33], v[16:17], v[12:13]
	v_fmac_f64_e32 v[14:15], v[18:19], v[12:13]
	ds_read_b128 v[2:5], v44 offset:2032
	v_fmac_f64_e32 v[30:31], v[34:35], v[24:25]
	ds_read_b128 v[24:27], v44 offset:10224
	v_add_f64 v[12:13], v[20:21], -v[32:33]
	v_add_f64 v[14:15], v[22:23], -v[14:15]
	ds_write_b128 v46, v[12:15] offset:4096
	ds_read_b128 v[12:15], v44 offset:6128
	ds_read_b128 v[16:19], v45 offset:2032
	s_waitcnt lgkmcnt(3)
	v_add_f64 v[20:21], v[24:25], -v[28:29]
	v_add_f64 v[22:23], v[26:27], -v[30:31]
	ds_write_b128 v44, v[20:23] offset:10224
	ds_read_b128 v[20:23], v45 offset:6128
	s_waitcnt lgkmcnt(2)
	v_mul_f64 v[24:25], v[14:15], -v[18:19]
	v_fmac_f64_e32 v[24:25], v[16:17], v[12:13]
	v_mul_f64 v[16:17], v[14:15], v[16:17]
	v_fmac_f64_e32 v[16:17], v[18:19], v[12:13]
	v_add_f64 v[2:3], v[2:3], -v[24:25]
	v_add_f64 v[4:5], v[4:5], -v[16:17]
	ds_write_b128 v44, v[2:5] offset:2032
	s_waitcnt lgkmcnt(1)
	v_mul_f64 v[2:3], v[14:15], v[22:23]
	v_mul_f64 v[4:5], v[22:23], -v[12:13]
	v_fma_f64 v[2:3], -v[12:13], v[20:21], v[2:3]
	v_fma_f64 v[4:5], -v[14:15], v[20:21], v[4:5]
	ds_write_b128 v44, v[2:5] offset:6128
	s_branch .LBB280_1
.LBB280_4:
	v_cmp_gt_u32_e32 vcc, 2, v0
	v_lshlrev_b32_e32 v3, 6, v0
	s_and_saveexec_b64 s[0:1], vcc
	s_cbranch_execz .LBB280_6
; %bb.5:
	v_max_u32_e32 v2, 1, v3
	v_lshlrev_b32_e32 v2, 4, v2
	v_lshlrev_b32_e32 v36, 10, v0
	ds_read_b128 v[12:15], v2 offset:10224
	ds_read_b128 v[16:19], v36 offset:6640
	v_min_u32_e32 v4, 63, v3
	v_lshlrev_b32_e32 v37, 4, v4
	ds_read_b128 v[20:23], v37 offset:9216
	ds_read_b128 v[24:27], v36 offset:4608
	;; [unrolled: 1-line block ×3, first 2 shown]
	s_waitcnt lgkmcnt(3)
	v_mul_f64 v[4:5], v[14:15], -v[18:19]
	v_mul_f64 v[32:33], v[14:15], v[16:17]
	v_fmac_f64_e32 v[4:5], v[16:17], v[12:13]
	v_fmac_f64_e32 v[32:33], v[18:19], v[12:13]
	ds_read_b128 v[12:15], v36 offset:2544
	ds_read_b128 v[16:19], v36 offset:8704
	s_waitcnt lgkmcnt(2)
	v_add_f64 v[4:5], v[28:29], -v[4:5]
	v_add_f64 v[32:33], v[30:31], -v[32:33]
	ds_read_b128 v[28:31], v36 offset:512
	s_waitcnt lgkmcnt(2)
	v_mul_f64 v[34:35], v[22:23], -v[14:15]
	v_mul_f64 v[22:23], v[22:23], v[12:13]
	v_fmac_f64_e32 v[34:35], v[12:13], v[20:21]
	v_fmac_f64_e32 v[22:23], v[14:15], v[20:21]
	v_add_f64 v[12:13], v[4:5], -v[34:35]
	v_add_f64 v[14:15], v[32:33], -v[22:23]
	ds_write_b128 v36, v[12:15] offset:10736
	ds_read_b128 v[12:15], v2 offset:10224
	s_waitcnt lgkmcnt(0)
	v_mul_f64 v[4:5], v[14:15], -v[26:27]
	v_mul_f64 v[14:15], v[14:15], v[24:25]
	v_fmac_f64_e32 v[4:5], v[24:25], v[12:13]
	v_fmac_f64_e32 v[14:15], v[26:27], v[12:13]
	v_add_f64 v[12:13], v[16:17], -v[4:5]
	v_add_f64 v[14:15], v[18:19], -v[14:15]
	ds_write_b128 v36, v[12:15] offset:8704
	;; [unrolled: 9-line block ×3, first 2 shown]
.LBB280_6:
	s_or_b64 exec, exec, s[0:1]
	v_cmp_gt_u32_e32 vcc, 4, v0
	v_lshlrev_b32_e32 v2, 5, v0
	s_waitcnt lgkmcnt(0)
	s_barrier
	s_and_saveexec_b64 s[0:1], vcc
	s_cbranch_execz .LBB280_8
; %bb.7:
	v_max_u32_e32 v4, 1, v2
	v_lshlrev_b32_e32 v37, 4, v4
	v_lshlrev_b32_e32 v36, 9, v0
	ds_read_b128 v[12:15], v37 offset:10224
	ds_read_b128 v[16:19], v36 offset:6384
	v_min_u32_e32 v4, 0x5f, v2
	v_lshlrev_b32_e32 v38, 4, v4
	ds_read_b128 v[20:23], v38 offset:8704
	ds_read_b128 v[24:27], v36 offset:4352
	;; [unrolled: 1-line block ×3, first 2 shown]
	s_waitcnt lgkmcnt(3)
	v_mul_f64 v[4:5], v[14:15], -v[18:19]
	v_mul_f64 v[32:33], v[14:15], v[16:17]
	v_fmac_f64_e32 v[4:5], v[16:17], v[12:13]
	v_fmac_f64_e32 v[32:33], v[18:19], v[12:13]
	ds_read_b128 v[12:15], v36 offset:2288
	ds_read_b128 v[16:19], v36 offset:8448
	s_waitcnt lgkmcnt(2)
	v_add_f64 v[4:5], v[28:29], -v[4:5]
	v_add_f64 v[32:33], v[30:31], -v[32:33]
	ds_read_b128 v[28:31], v36 offset:256
	s_waitcnt lgkmcnt(2)
	v_mul_f64 v[34:35], v[22:23], -v[14:15]
	v_mul_f64 v[22:23], v[22:23], v[12:13]
	v_fmac_f64_e32 v[34:35], v[12:13], v[20:21]
	v_fmac_f64_e32 v[22:23], v[14:15], v[20:21]
	v_add_f64 v[12:13], v[4:5], -v[34:35]
	v_add_f64 v[14:15], v[32:33], -v[22:23]
	ds_write_b128 v36, v[12:15] offset:10480
	ds_read_b128 v[12:15], v37 offset:10224
	s_waitcnt lgkmcnt(0)
	v_mul_f64 v[4:5], v[14:15], -v[26:27]
	v_mul_f64 v[14:15], v[14:15], v[24:25]
	v_fmac_f64_e32 v[4:5], v[24:25], v[12:13]
	v_fmac_f64_e32 v[14:15], v[26:27], v[12:13]
	v_add_f64 v[12:13], v[16:17], -v[4:5]
	v_add_f64 v[14:15], v[18:19], -v[14:15]
	ds_write_b128 v36, v[12:15] offset:8448
	;; [unrolled: 9-line block ×3, first 2 shown]
.LBB280_8:
	s_or_b64 exec, exec, s[0:1]
	v_cmp_gt_u32_e32 vcc, 8, v0
	s_waitcnt lgkmcnt(0)
	s_barrier
	s_and_saveexec_b64 s[0:1], vcc
	s_cbranch_execz .LBB280_10
; %bb.9:
	v_max_u32_e32 v4, 1, v11
	v_lshlrev_b32_e32 v37, 4, v4
	v_lshlrev_b32_e32 v36, 8, v0
	ds_read_b128 v[12:15], v37 offset:10224
	ds_read_b128 v[16:19], v36 offset:6256
	v_min_u32_e32 v4, 0x6f, v11
	v_lshlrev_b32_e32 v11, 4, v4
	ds_read_b128 v[20:23], v11 offset:8448
	ds_read_b128 v[24:27], v36 offset:4224
	;; [unrolled: 1-line block ×3, first 2 shown]
	s_waitcnt lgkmcnt(3)
	v_mul_f64 v[4:5], v[14:15], -v[18:19]
	v_mul_f64 v[32:33], v[14:15], v[16:17]
	v_fmac_f64_e32 v[4:5], v[16:17], v[12:13]
	v_fmac_f64_e32 v[32:33], v[18:19], v[12:13]
	ds_read_b128 v[12:15], v36 offset:2160
	ds_read_b128 v[16:19], v36 offset:8320
	s_waitcnt lgkmcnt(2)
	v_add_f64 v[4:5], v[28:29], -v[4:5]
	v_add_f64 v[32:33], v[30:31], -v[32:33]
	ds_read_b128 v[28:31], v36 offset:128
	s_waitcnt lgkmcnt(2)
	v_mul_f64 v[34:35], v[22:23], -v[14:15]
	v_mul_f64 v[22:23], v[22:23], v[12:13]
	v_fmac_f64_e32 v[34:35], v[12:13], v[20:21]
	v_fmac_f64_e32 v[22:23], v[14:15], v[20:21]
	v_add_f64 v[12:13], v[4:5], -v[34:35]
	v_add_f64 v[14:15], v[32:33], -v[22:23]
	ds_write_b128 v36, v[12:15] offset:10352
	ds_read_b128 v[12:15], v37 offset:10224
	s_waitcnt lgkmcnt(0)
	v_mul_f64 v[4:5], v[14:15], -v[26:27]
	v_mul_f64 v[14:15], v[14:15], v[24:25]
	v_fmac_f64_e32 v[4:5], v[24:25], v[12:13]
	v_fmac_f64_e32 v[14:15], v[26:27], v[12:13]
	v_add_f64 v[12:13], v[16:17], -v[4:5]
	v_add_f64 v[14:15], v[18:19], -v[14:15]
	ds_write_b128 v36, v[12:15] offset:8320
	;; [unrolled: 9-line block ×3, first 2 shown]
.LBB280_10:
	s_or_b64 exec, exec, s[0:1]
	v_cmp_gt_u32_e32 vcc, 16, v0
	s_waitcnt lgkmcnt(0)
	s_barrier
	s_and_saveexec_b64 s[0:1], vcc
	s_cbranch_execz .LBB280_12
; %bb.11:
	v_lshlrev_b32_e32 v4, 3, v0
	v_max_u32_e32 v5, 1, v4
	v_lshlrev_b32_e32 v36, 4, v5
	v_lshlrev_b32_e32 v11, 7, v0
	ds_read_b128 v[12:15], v36 offset:10224
	ds_read_b128 v[16:19], v11 offset:6192
	v_min_u32_e32 v4, 0x77, v4
	v_lshlrev_b32_e32 v37, 4, v4
	ds_read_b128 v[20:23], v37 offset:8320
	ds_read_b128 v[24:27], v11 offset:4160
	;; [unrolled: 1-line block ×3, first 2 shown]
	s_waitcnt lgkmcnt(3)
	v_mul_f64 v[4:5], v[14:15], -v[18:19]
	v_mul_f64 v[32:33], v[14:15], v[16:17]
	v_fmac_f64_e32 v[4:5], v[16:17], v[12:13]
	v_fmac_f64_e32 v[32:33], v[18:19], v[12:13]
	ds_read_b128 v[12:15], v11 offset:2096
	ds_read_b128 v[16:19], v11 offset:8256
	s_waitcnt lgkmcnt(2)
	v_add_f64 v[4:5], v[28:29], -v[4:5]
	v_add_f64 v[32:33], v[30:31], -v[32:33]
	ds_read_b128 v[28:31], v11 offset:64
	s_waitcnt lgkmcnt(2)
	v_mul_f64 v[34:35], v[22:23], -v[14:15]
	v_mul_f64 v[22:23], v[22:23], v[12:13]
	v_fmac_f64_e32 v[34:35], v[12:13], v[20:21]
	v_fmac_f64_e32 v[22:23], v[14:15], v[20:21]
	v_add_f64 v[12:13], v[4:5], -v[34:35]
	v_add_f64 v[14:15], v[32:33], -v[22:23]
	ds_write_b128 v11, v[12:15] offset:10288
	ds_read_b128 v[12:15], v36 offset:10224
	s_waitcnt lgkmcnt(0)
	v_mul_f64 v[4:5], v[14:15], -v[26:27]
	v_mul_f64 v[14:15], v[14:15], v[24:25]
	v_fmac_f64_e32 v[4:5], v[24:25], v[12:13]
	v_fmac_f64_e32 v[14:15], v[26:27], v[12:13]
	v_add_f64 v[12:13], v[16:17], -v[4:5]
	v_add_f64 v[14:15], v[18:19], -v[14:15]
	ds_write_b128 v11, v[12:15] offset:8256
	;; [unrolled: 9-line block ×3, first 2 shown]
.LBB280_12:
	s_or_b64 exec, exec, s[0:1]
	v_cmp_gt_u32_e32 vcc, 32, v0
	s_waitcnt lgkmcnt(0)
	s_barrier
	s_and_saveexec_b64 s[0:1], vcc
	s_cbranch_execz .LBB280_14
; %bb.13:
	v_lshlrev_b32_e32 v4, 2, v0
	v_max_u32_e32 v5, 1, v4
	v_lshlrev_b32_e32 v11, 4, v5
	ds_read_b128 v[12:15], v11 offset:10224
	ds_read_b128 v[16:19], v3 offset:6160
	v_min_u32_e32 v4, 0x7b, v4
	v_lshlrev_b32_e32 v34, 4, v4
	ds_read_b128 v[20:23], v34 offset:8256
	ds_read_b128 v[24:27], v3 offset:8224
	;; [unrolled: 1-line block ×3, first 2 shown]
	s_waitcnt lgkmcnt(3)
	v_mul_f64 v[4:5], v[14:15], -v[18:19]
	v_fmac_f64_e32 v[4:5], v[16:17], v[12:13]
	v_mul_f64 v[32:33], v[14:15], v[16:17]
	ds_read_b128 v[14:17], v3 offset:2064
	v_fmac_f64_e32 v[32:33], v[18:19], v[12:13]
	s_waitcnt lgkmcnt(1)
	v_add_f64 v[4:5], v[28:29], -v[4:5]
	v_add_f64 v[18:19], v[30:31], -v[32:33]
	ds_read_b128 v[28:31], v3 offset:4128
	s_waitcnt lgkmcnt(1)
	v_mul_f64 v[12:13], v[22:23], -v[16:17]
	v_fmac_f64_e32 v[12:13], v[14:15], v[20:21]
	v_mul_f64 v[14:15], v[22:23], v[14:15]
	v_fmac_f64_e32 v[14:15], v[16:17], v[20:21]
	v_add_f64 v[12:13], v[4:5], -v[12:13]
	v_add_f64 v[14:15], v[18:19], -v[14:15]
	ds_write_b128 v3, v[12:15] offset:10256
	ds_read_b128 v[12:15], v11 offset:10224
	ds_read_b128 v[16:19], v3 offset:32
	s_waitcnt lgkmcnt(1)
	v_mul_f64 v[4:5], v[14:15], -v[30:31]
	v_mul_f64 v[14:15], v[14:15], v[28:29]
	v_fmac_f64_e32 v[4:5], v[28:29], v[12:13]
	v_fmac_f64_e32 v[14:15], v[30:31], v[12:13]
	v_add_f64 v[12:13], v[24:25], -v[4:5]
	v_add_f64 v[14:15], v[26:27], -v[14:15]
	ds_write_b128 v3, v[12:15] offset:8224
	ds_read_b128 v[20:23], v34 offset:8256
	s_waitcnt lgkmcnt(0)
	v_mul_f64 v[4:5], v[22:23], -v[18:19]
	v_fmac_f64_e32 v[4:5], v[16:17], v[20:21]
	v_mul_f64 v[16:17], v[22:23], v[16:17]
	v_fmac_f64_e32 v[16:17], v[18:19], v[20:21]
	v_add_f64 v[12:13], v[12:13], -v[4:5]
	v_add_f64 v[14:15], v[14:15], -v[16:17]
	ds_write_b128 v3, v[12:15] offset:8224
.LBB280_14:
	s_or_b64 exec, exec, s[0:1]
	v_cmp_gt_u32_e32 vcc, 64, v0
	s_waitcnt lgkmcnt(0)
	s_barrier
	s_and_saveexec_b64 s[0:1], vcc
	s_cbranch_execz .LBB280_16
; %bb.15:
	v_lshlrev_b32_e32 v0, 1, v0
	v_max_u32_e32 v3, 1, v0
	v_lshlrev_b32_e32 v3, 4, v3
	ds_read_b128 v[12:15], v3 offset:10224
	ds_read_b128 v[16:19], v2 offset:6144
	v_min_u32_e32 v0, 0x7d, v0
	v_lshlrev_b32_e32 v0, 4, v0
	ds_read_b128 v[20:23], v0 offset:8224
	ds_read_b128 v[24:27], v2 offset:8208
	;; [unrolled: 1-line block ×3, first 2 shown]
	s_waitcnt lgkmcnt(3)
	v_mul_f64 v[4:5], v[14:15], -v[18:19]
	v_fmac_f64_e32 v[4:5], v[16:17], v[12:13]
	v_mul_f64 v[32:33], v[14:15], v[16:17]
	ds_read_b128 v[14:17], v2 offset:2048
	v_fmac_f64_e32 v[32:33], v[18:19], v[12:13]
	s_waitcnt lgkmcnt(1)
	v_add_f64 v[4:5], v[28:29], -v[4:5]
	v_add_f64 v[18:19], v[30:31], -v[32:33]
	ds_read_b128 v[28:31], v2 offset:4112
	s_waitcnt lgkmcnt(1)
	v_mul_f64 v[12:13], v[22:23], -v[16:17]
	v_fmac_f64_e32 v[12:13], v[14:15], v[20:21]
	v_mul_f64 v[14:15], v[22:23], v[14:15]
	v_fmac_f64_e32 v[14:15], v[16:17], v[20:21]
	v_add_f64 v[12:13], v[4:5], -v[12:13]
	v_add_f64 v[14:15], v[18:19], -v[14:15]
	ds_write_b128 v2, v[12:15] offset:10240
	ds_read_b128 v[12:15], v3 offset:10224
	ds_read_b128 v[16:19], v2 offset:16
	s_waitcnt lgkmcnt(1)
	v_mul_f64 v[4:5], v[14:15], -v[30:31]
	v_mul_f64 v[14:15], v[14:15], v[28:29]
	v_fmac_f64_e32 v[4:5], v[28:29], v[12:13]
	v_fmac_f64_e32 v[14:15], v[30:31], v[12:13]
	v_add_f64 v[12:13], v[24:25], -v[4:5]
	v_add_f64 v[14:15], v[26:27], -v[14:15]
	ds_write_b128 v2, v[12:15] offset:8208
	ds_read_b128 v[20:23], v0 offset:8224
	s_waitcnt lgkmcnt(0)
	v_mul_f64 v[4:5], v[22:23], -v[18:19]
	v_fmac_f64_e32 v[4:5], v[16:17], v[20:21]
	v_mul_f64 v[16:17], v[22:23], v[16:17]
	v_fmac_f64_e32 v[16:17], v[18:19], v[20:21]
	v_add_f64 v[12:13], v[12:13], -v[4:5]
	v_add_f64 v[14:15], v[14:15], -v[16:17]
	ds_write_b128 v2, v[12:15] offset:8208
.LBB280_16:
	s_or_b64 exec, exec, s[0:1]
	s_waitcnt lgkmcnt(0)
	s_barrier
	ds_read2_b64 v[2:5], v10 offset1:1
	ds_read2_b64 v[10:13], v1 offset1:1
	s_waitcnt lgkmcnt(1)
	global_store_dwordx4 v[6:7], v[2:5], off
	s_waitcnt lgkmcnt(0)
	global_store_dwordx4 v[8:9], v[10:13], off
	s_endpgm
	.section	.rodata,"a",@progbits
	.p2align	6, 0x0
	.amdhsa_kernel _ZN9rocsparseL34gtsv_solve_spike_grid_level_kernelILj128E21rocsparse_complex_numIdEEEviiiPT0_PKS3_S6_
		.amdhsa_group_segment_fixed_size 12288
		.amdhsa_private_segment_fixed_size 0
		.amdhsa_kernarg_size 40
		.amdhsa_user_sgpr_count 2
		.amdhsa_user_sgpr_dispatch_ptr 0
		.amdhsa_user_sgpr_queue_ptr 0
		.amdhsa_user_sgpr_kernarg_segment_ptr 1
		.amdhsa_user_sgpr_dispatch_id 0
		.amdhsa_user_sgpr_kernarg_preload_length 0
		.amdhsa_user_sgpr_kernarg_preload_offset 0
		.amdhsa_user_sgpr_private_segment_size 0
		.amdhsa_uses_dynamic_stack 0
		.amdhsa_enable_private_segment 0
		.amdhsa_system_sgpr_workgroup_id_x 1
		.amdhsa_system_sgpr_workgroup_id_y 1
		.amdhsa_system_sgpr_workgroup_id_z 0
		.amdhsa_system_sgpr_workgroup_info 0
		.amdhsa_system_vgpr_workitem_id 0
		.amdhsa_next_free_vgpr 65
		.amdhsa_next_free_sgpr 75
		.amdhsa_accum_offset 48
		.amdhsa_reserve_vcc 1
		.amdhsa_float_round_mode_32 0
		.amdhsa_float_round_mode_16_64 0
		.amdhsa_float_denorm_mode_32 3
		.amdhsa_float_denorm_mode_16_64 3
		.amdhsa_dx10_clamp 1
		.amdhsa_ieee_mode 1
		.amdhsa_fp16_overflow 0
		.amdhsa_tg_split 0
		.amdhsa_exception_fp_ieee_invalid_op 0
		.amdhsa_exception_fp_denorm_src 0
		.amdhsa_exception_fp_ieee_div_zero 0
		.amdhsa_exception_fp_ieee_overflow 0
		.amdhsa_exception_fp_ieee_underflow 0
		.amdhsa_exception_fp_ieee_inexact 0
		.amdhsa_exception_int_div_zero 0
	.end_amdhsa_kernel
	.section	.text._ZN9rocsparseL34gtsv_solve_spike_grid_level_kernelILj128E21rocsparse_complex_numIdEEEviiiPT0_PKS3_S6_,"axG",@progbits,_ZN9rocsparseL34gtsv_solve_spike_grid_level_kernelILj128E21rocsparse_complex_numIdEEEviiiPT0_PKS3_S6_,comdat
.Lfunc_end280:
	.size	_ZN9rocsparseL34gtsv_solve_spike_grid_level_kernelILj128E21rocsparse_complex_numIdEEEviiiPT0_PKS3_S6_, .Lfunc_end280-_ZN9rocsparseL34gtsv_solve_spike_grid_level_kernelILj128E21rocsparse_complex_numIdEEEviiiPT0_PKS3_S6_
                                        ; -- End function
	.set _ZN9rocsparseL34gtsv_solve_spike_grid_level_kernelILj128E21rocsparse_complex_numIdEEEviiiPT0_PKS3_S6_.num_vgpr, 47
	.set _ZN9rocsparseL34gtsv_solve_spike_grid_level_kernelILj128E21rocsparse_complex_numIdEEEviiiPT0_PKS3_S6_.num_agpr, 0
	.set _ZN9rocsparseL34gtsv_solve_spike_grid_level_kernelILj128E21rocsparse_complex_numIdEEEviiiPT0_PKS3_S6_.numbered_sgpr, 10
	.set _ZN9rocsparseL34gtsv_solve_spike_grid_level_kernelILj128E21rocsparse_complex_numIdEEEviiiPT0_PKS3_S6_.num_named_barrier, 0
	.set _ZN9rocsparseL34gtsv_solve_spike_grid_level_kernelILj128E21rocsparse_complex_numIdEEEviiiPT0_PKS3_S6_.private_seg_size, 0
	.set _ZN9rocsparseL34gtsv_solve_spike_grid_level_kernelILj128E21rocsparse_complex_numIdEEEviiiPT0_PKS3_S6_.uses_vcc, 1
	.set _ZN9rocsparseL34gtsv_solve_spike_grid_level_kernelILj128E21rocsparse_complex_numIdEEEviiiPT0_PKS3_S6_.uses_flat_scratch, 0
	.set _ZN9rocsparseL34gtsv_solve_spike_grid_level_kernelILj128E21rocsparse_complex_numIdEEEviiiPT0_PKS3_S6_.has_dyn_sized_stack, 0
	.set _ZN9rocsparseL34gtsv_solve_spike_grid_level_kernelILj128E21rocsparse_complex_numIdEEEviiiPT0_PKS3_S6_.has_recursion, 0
	.set _ZN9rocsparseL34gtsv_solve_spike_grid_level_kernelILj128E21rocsparse_complex_numIdEEEviiiPT0_PKS3_S6_.has_indirect_call, 0
	.section	.AMDGPU.csdata,"",@progbits
; Kernel info:
; codeLenInByte = 3312
; TotalNumSgprs: 16
; NumVgprs: 47
; NumAgprs: 0
; TotalNumVgprs: 47
; ScratchSize: 0
; MemoryBound: 0
; FloatMode: 240
; IeeeMode: 1
; LDSByteSize: 12288 bytes/workgroup (compile time only)
; SGPRBlocks: 10
; VGPRBlocks: 8
; NumSGPRsForWavesPerEU: 81
; NumVGPRsForWavesPerEU: 65
; AccumOffset: 48
; Occupancy: 7
; WaveLimiterHint : 0
; COMPUTE_PGM_RSRC2:SCRATCH_EN: 0
; COMPUTE_PGM_RSRC2:USER_SGPR: 2
; COMPUTE_PGM_RSRC2:TRAP_HANDLER: 0
; COMPUTE_PGM_RSRC2:TGID_X_EN: 1
; COMPUTE_PGM_RSRC2:TGID_Y_EN: 1
; COMPUTE_PGM_RSRC2:TGID_Z_EN: 0
; COMPUTE_PGM_RSRC2:TIDIG_COMP_CNT: 0
; COMPUTE_PGM_RSRC3_GFX90A:ACCUM_OFFSET: 11
; COMPUTE_PGM_RSRC3_GFX90A:TG_SPLIT: 0
	.section	.text._ZN9rocsparseL34gtsv_solve_spike_grid_level_kernelILj256E21rocsparse_complex_numIdEEEviiiPT0_PKS3_S6_,"axG",@progbits,_ZN9rocsparseL34gtsv_solve_spike_grid_level_kernelILj256E21rocsparse_complex_numIdEEEviiiPT0_PKS3_S6_,comdat
	.globl	_ZN9rocsparseL34gtsv_solve_spike_grid_level_kernelILj256E21rocsparse_complex_numIdEEEviiiPT0_PKS3_S6_ ; -- Begin function _ZN9rocsparseL34gtsv_solve_spike_grid_level_kernelILj256E21rocsparse_complex_numIdEEEviiiPT0_PKS3_S6_
	.p2align	8
	.type	_ZN9rocsparseL34gtsv_solve_spike_grid_level_kernelILj256E21rocsparse_complex_numIdEEEviiiPT0_PKS3_S6_,@function
_ZN9rocsparseL34gtsv_solve_spike_grid_level_kernelILj256E21rocsparse_complex_numIdEEEviiiPT0_PKS3_S6_: ; @_ZN9rocsparseL34gtsv_solve_spike_grid_level_kernelILj256E21rocsparse_complex_numIdEEEviiiPT0_PKS3_S6_
; %bb.0:
	s_load_dwordx4 s[4:7], s[0:1], 0x10
	s_load_dwordx2 s[8:9], s[0:1], 0x20
	v_lshlrev_b32_e32 v10, 4, v0
	v_mov_b32_e32 v11, 0
	s_movk_i32 s0, 0x1000
	s_waitcnt lgkmcnt(0)
	v_lshl_add_u64 v[6:7], s[6:7], 0, v[10:11]
	v_add_co_u32_e32 v6, vcc, s0, v6
	v_lshl_or_b32 v8, s3, 9, v0
	s_nop 0
	v_addc_co_u32_e32 v7, vcc, 0, v7, vcc
	v_mov_b32_e32 v9, v11
	global_load_dwordx4 v[12:15], v[6:7], off
	v_lshl_add_u64 v[6:7], v[8:9], 4, s[4:5]
	v_or_b32_e32 v8, 0x100, v8
	global_load_dwordx4 v[2:5], v10, s[6:7]
	global_load_dwordx4 v[16:19], v10, s[8:9]
	v_lshl_add_u64 v[8:9], v[8:9], 4, s[4:5]
	global_load_dwordx4 v[20:23], v[6:7], off
	global_load_dwordx4 v[24:27], v[8:9], off
	v_lshl_add_u64 v[28:29], s[8:9], 0, v[10:11]
	v_add_co_u32_e32 v28, vcc, s0, v28
	v_or_b32_e32 v32, 0x2000, v10
	s_nop 0
	v_addc_co_u32_e32 v29, vcc, 0, v29, vcc
	global_load_dwordx4 v[28:31], v[28:29], off
	v_or_b32_e32 v11, 0x4000, v10
	v_or_b32_e32 v1, 0x5000, v10
	s_mov_b32 s2, 2
	v_or_b32_e32 v33, 0x3000, v10
	v_or_b32_e32 v34, 0x1000, v10
	s_waitcnt vmcnt(4)
	ds_write2_b64 v32, v[2:3], v[4:5] offset1:1
	s_waitcnt vmcnt(3)
	ds_write2_b64 v10, v[16:17], v[18:19] offset1:1
	;; [unrolled: 2-line block ×4, first 2 shown]
	ds_write2_b64 v33, v[12:13], v[14:15] offset1:1
	s_waitcnt vmcnt(0)
	ds_write2_b64 v34, v[28:29], v[30:31] offset1:1
	s_waitcnt lgkmcnt(0)
	s_barrier
	s_branch .LBB281_2
.LBB281_1:                              ;   in Loop: Header=BB281_2 Depth=1
	s_or_b64 exec, exec, s[0:1]
	s_lshl_b32 s0, s2, 1
	s_cmpk_lt_u32 s2, 0x81
	s_mov_b32 s2, s0
	s_waitcnt lgkmcnt(0)
	s_barrier
	s_cbranch_scc0 .LBB281_4
.LBB281_2:                              ; =>This Inner Loop Header: Depth=1
	s_ff1_i32_b32 s0, s2
	s_lshr_b32 s0, 0x100, s0
	v_cmp_gt_u32_e32 vcc, s0, v0
	s_and_saveexec_b64 s[0:1], vcc
	s_cbranch_execz .LBB281_1
; %bb.3:                                ;   in Loop: Header=BB281_2 Depth=1
	v_mul_lo_u32 v30, s2, v0
	s_lshr_b32 s3, s2, 1
	v_add_u32_e32 v44, s3, v30
	v_lshlrev_b32_e32 v45, 4, v44
	ds_read_b128 v[12:15], v45 offset:8192
	ds_read_b128 v[2:5], v45 offset:4080
	ds_read_b128 v[16:19], v45
	ds_read_b128 v[20:23], v45 offset:12272
	v_lshlrev_b32_e32 v46, 4, v30
	v_add_lshl_u32 v44, v44, s3, 4
	s_waitcnt lgkmcnt(2)
	v_mul_f64 v[26:27], v[4:5], v[12:13]
	v_mul_f64 v[24:25], v[4:5], -v[14:15]
	v_fmac_f64_e32 v[26:27], v[14:15], v[2:3]
	v_fmac_f64_e32 v[24:25], v[12:13], v[2:3]
	v_add_f64 v[34:35], -v[26:27], 0
	v_add_f64 v[32:33], -v[24:25], 1.0
	v_mul_f64 v[24:25], v[34:35], v[34:35]
	v_fmac_f64_e32 v[24:25], v[32:33], v[32:33]
	v_div_scale_f64 v[26:27], s[4:5], v[24:25], v[24:25], 1.0
	v_rcp_f64_e32 v[28:29], v[26:27]
	v_fma_f64 v[38:39], 0, v[34:35], v[32:33]
	v_fma_f64 v[32:33], v[32:33], 0, -v[34:35]
	v_fma_f64 v[30:31], -v[26:27], v[28:29], 1.0
	v_fmac_f64_e32 v[28:29], v[28:29], v[30:31]
	v_fma_f64 v[30:31], -v[26:27], v[28:29], 1.0
	v_fmac_f64_e32 v[28:29], v[28:29], v[30:31]
	v_div_scale_f64 v[30:31], vcc, 1.0, v[24:25], 1.0
	v_mul_f64 v[36:37], v[30:31], v[28:29]
	v_fma_f64 v[26:27], -v[26:27], v[36:37], v[30:31]
	s_nop 1
	v_div_fmas_f64 v[26:27], v[26:27], v[28:29], v[36:37]
	v_div_fixup_f64 v[36:37], v[26:27], v[24:25], 1.0
	ds_read_b128 v[24:27], v45 offset:20464
	ds_read_b128 v[28:31], v45 offset:16384
	v_mul_f64 v[42:43], v[32:33], v[36:37]
	v_mul_f64 v[40:41], v[38:39], v[36:37]
	s_waitcnt lgkmcnt(0)
	v_mul_f64 v[32:33], v[30:31], -v[4:5]
	v_mul_f64 v[34:35], v[2:3], v[30:31]
	v_fmac_f64_e32 v[32:33], v[2:3], v[28:29]
	v_fmac_f64_e32 v[34:35], v[4:5], v[28:29]
	v_add_f64 v[36:37], v[24:25], -v[32:33]
	v_add_f64 v[38:39], v[26:27], -v[34:35]
	v_mul_f64 v[32:33], v[42:43], -v[38:39]
	v_mul_f64 v[34:35], v[42:43], v[36:37]
	v_fmac_f64_e32 v[32:33], v[36:37], v[40:41]
	v_fmac_f64_e32 v[34:35], v[38:39], v[40:41]
	ds_write_b128 v45, v[32:35] offset:20464
	v_mul_f64 v[32:33], v[14:15], -v[26:27]
	v_fmac_f64_e32 v[32:33], v[24:25], v[12:13]
	v_mul_f64 v[24:25], v[14:15], v[24:25]
	v_fmac_f64_e32 v[24:25], v[26:27], v[12:13]
	v_add_f64 v[26:27], v[28:29], -v[32:33]
	v_add_f64 v[28:29], v[30:31], -v[24:25]
	v_mul_f64 v[24:25], v[42:43], -v[28:29]
	v_fmac_f64_e32 v[24:25], v[26:27], v[40:41]
	v_mul_f64 v[26:27], v[26:27], v[42:43]
	v_fmac_f64_e32 v[26:27], v[28:29], v[40:41]
	ds_read_b128 v[28:31], v46
	ds_read_b128 v[32:35], v44 offset:12272
	v_mul_f64 v[36:37], v[14:15], -v[22:23]
	v_mul_f64 v[14:15], v[14:15], v[20:21]
	v_fmac_f64_e32 v[14:15], v[22:23], v[12:13]
	v_fmac_f64_e32 v[36:37], v[20:21], v[12:13]
	v_mul_f64 v[12:13], v[42:43], v[14:15]
	v_mul_f64 v[14:15], v[14:15], -v[40:41]
	v_fma_f64 v[12:13], -v[40:41], v[36:37], v[12:13]
	v_fma_f64 v[14:15], -v[42:43], v[36:37], v[14:15]
	v_mul_f64 v[36:37], v[22:23], -v[42:43]
	v_mul_f64 v[38:39], v[40:41], v[22:23]
	v_fmac_f64_e32 v[36:37], v[40:41], v[20:21]
	v_fmac_f64_e32 v[38:39], v[42:43], v[20:21]
	ds_write_b128 v45, v[36:39] offset:12272
	s_waitcnt lgkmcnt(2)
	v_mul_f64 v[36:37], v[26:27], -v[30:31]
	v_fmac_f64_e32 v[36:37], v[28:29], v[24:25]
	v_mul_f64 v[28:29], v[26:27], v[28:29]
	v_mul_f64 v[38:39], v[2:3], v[18:19]
	ds_write_b128 v45, v[24:27] offset:16384
	ds_write_b128 v45, v[12:15] offset:8192
	v_fmac_f64_e32 v[28:29], v[30:31], v[24:25]
	v_mul_f64 v[30:31], v[18:19], -v[4:5]
	v_fmac_f64_e32 v[38:39], v[4:5], v[16:17]
	ds_read_b128 v[20:23], v46 offset:8192
	ds_read_b128 v[24:27], v46 offset:16384
	v_fmac_f64_e32 v[30:31], v[2:3], v[16:17]
	v_mul_f64 v[2:3], v[42:43], v[38:39]
	v_mul_f64 v[4:5], v[38:39], -v[40:41]
	v_fma_f64 v[2:3], -v[40:41], v[30:31], v[2:3]
	v_fma_f64 v[4:5], -v[42:43], v[30:31], v[4:5]
	ds_write_b128 v45, v[2:5] offset:4080
	v_mul_f64 v[2:3], v[18:19], -v[42:43]
	v_mul_f64 v[4:5], v[40:41], v[18:19]
	v_fmac_f64_e32 v[2:3], v[40:41], v[16:17]
	v_fmac_f64_e32 v[4:5], v[42:43], v[16:17]
	ds_write_b128 v45, v[2:5]
	ds_read_b128 v[16:19], v46
	s_waitcnt lgkmcnt(3)
	v_add_f64 v[24:25], v[24:25], -v[36:37]
	v_add_f64 v[26:27], v[26:27], -v[28:29]
	ds_write_b128 v46, v[24:27] offset:16384
	ds_read_b128 v[24:27], v45 offset:20464
	s_waitcnt lgkmcnt(2)
	v_mul_f64 v[28:29], v[4:5], v[18:19]
	v_mul_f64 v[4:5], v[4:5], -v[16:17]
	v_fma_f64 v[28:29], -v[16:17], v[2:3], v[28:29]
	v_fma_f64 v[30:31], -v[18:19], v[2:3], v[4:5]
	ds_write_b128 v46, v[28:31]
	s_waitcnt lgkmcnt(1)
	v_mul_f64 v[28:29], v[26:27], -v[34:35]
	v_fmac_f64_e32 v[28:29], v[32:33], v[24:25]
	v_mul_f64 v[30:31], v[26:27], v[32:33]
	v_mul_f64 v[32:33], v[14:15], -v[18:19]
	v_mul_f64 v[14:15], v[14:15], v[16:17]
	v_fmac_f64_e32 v[32:33], v[16:17], v[12:13]
	v_fmac_f64_e32 v[14:15], v[18:19], v[12:13]
	ds_read_b128 v[2:5], v44 offset:4080
	v_fmac_f64_e32 v[30:31], v[34:35], v[24:25]
	ds_read_b128 v[24:27], v44 offset:20464
	v_add_f64 v[12:13], v[20:21], -v[32:33]
	v_add_f64 v[14:15], v[22:23], -v[14:15]
	ds_write_b128 v46, v[12:15] offset:8192
	ds_read_b128 v[12:15], v44 offset:12272
	ds_read_b128 v[16:19], v45 offset:4080
	s_waitcnt lgkmcnt(3)
	v_add_f64 v[20:21], v[24:25], -v[28:29]
	v_add_f64 v[22:23], v[26:27], -v[30:31]
	ds_write_b128 v44, v[20:23] offset:20464
	ds_read_b128 v[20:23], v45 offset:12272
	s_waitcnt lgkmcnt(2)
	v_mul_f64 v[24:25], v[14:15], -v[18:19]
	v_fmac_f64_e32 v[24:25], v[16:17], v[12:13]
	v_mul_f64 v[16:17], v[14:15], v[16:17]
	v_fmac_f64_e32 v[16:17], v[18:19], v[12:13]
	v_add_f64 v[2:3], v[2:3], -v[24:25]
	v_add_f64 v[4:5], v[4:5], -v[16:17]
	ds_write_b128 v44, v[2:5] offset:4080
	s_waitcnt lgkmcnt(1)
	v_mul_f64 v[2:3], v[14:15], v[22:23]
	v_mul_f64 v[4:5], v[22:23], -v[12:13]
	v_fma_f64 v[2:3], -v[12:13], v[20:21], v[2:3]
	v_fma_f64 v[4:5], -v[14:15], v[20:21], v[4:5]
	ds_write_b128 v44, v[2:5] offset:12272
	s_branch .LBB281_1
.LBB281_4:
	v_cmp_gt_u32_e32 vcc, 2, v0
	v_lshlrev_b32_e32 v4, 7, v0
	s_and_saveexec_b64 s[0:1], vcc
	s_cbranch_execz .LBB281_6
; %bb.5:
	v_max_u32_e32 v2, 1, v4
	v_lshlrev_b32_e32 v36, 4, v2
	v_lshlrev_b32_e32 v5, 11, v0
	ds_read_b128 v[12:15], v36 offset:20464
	ds_read_b128 v[16:19], v5 offset:13296
	v_min_u32_e32 v2, 0x7f, v4
	v_lshlrev_b32_e32 v37, 4, v2
	ds_read_b128 v[20:23], v37 offset:18432
	ds_read_b128 v[24:27], v5 offset:9216
	;; [unrolled: 1-line block ×3, first 2 shown]
	s_waitcnt lgkmcnt(3)
	v_mul_f64 v[2:3], v[14:15], -v[18:19]
	v_mul_f64 v[32:33], v[14:15], v[16:17]
	v_fmac_f64_e32 v[2:3], v[16:17], v[12:13]
	v_fmac_f64_e32 v[32:33], v[18:19], v[12:13]
	ds_read_b128 v[12:15], v5 offset:5104
	ds_read_b128 v[16:19], v5 offset:17408
	s_waitcnt lgkmcnt(2)
	v_add_f64 v[2:3], v[28:29], -v[2:3]
	v_add_f64 v[32:33], v[30:31], -v[32:33]
	ds_read_b128 v[28:31], v5 offset:1024
	s_waitcnt lgkmcnt(2)
	v_mul_f64 v[34:35], v[22:23], -v[14:15]
	v_mul_f64 v[22:23], v[22:23], v[12:13]
	v_fmac_f64_e32 v[34:35], v[12:13], v[20:21]
	v_fmac_f64_e32 v[22:23], v[14:15], v[20:21]
	v_add_f64 v[12:13], v[2:3], -v[34:35]
	v_add_f64 v[14:15], v[32:33], -v[22:23]
	ds_write_b128 v5, v[12:15] offset:21488
	ds_read_b128 v[12:15], v36 offset:20464
	s_waitcnt lgkmcnt(0)
	v_mul_f64 v[2:3], v[14:15], -v[26:27]
	v_mul_f64 v[14:15], v[14:15], v[24:25]
	v_fmac_f64_e32 v[2:3], v[24:25], v[12:13]
	v_fmac_f64_e32 v[14:15], v[26:27], v[12:13]
	v_add_f64 v[12:13], v[16:17], -v[2:3]
	v_add_f64 v[14:15], v[18:19], -v[14:15]
	ds_write_b128 v5, v[12:15] offset:17408
	ds_read_b128 v[16:19], v37 offset:18432
	s_waitcnt lgkmcnt(0)
	v_mul_f64 v[2:3], v[18:19], -v[30:31]
	v_mul_f64 v[18:19], v[18:19], v[28:29]
	v_fmac_f64_e32 v[2:3], v[28:29], v[16:17]
	v_fmac_f64_e32 v[18:19], v[30:31], v[16:17]
	v_add_f64 v[12:13], v[12:13], -v[2:3]
	v_add_f64 v[14:15], v[14:15], -v[18:19]
	ds_write_b128 v5, v[12:15] offset:17408
.LBB281_6:
	s_or_b64 exec, exec, s[0:1]
	v_cmp_gt_u32_e32 vcc, 4, v0
	v_lshlrev_b32_e32 v3, 6, v0
	s_waitcnt lgkmcnt(0)
	s_barrier
	s_and_saveexec_b64 s[0:1], vcc
	s_cbranch_execz .LBB281_8
; %bb.7:
	v_max_u32_e32 v2, 1, v3
	v_lshlrev_b32_e32 v2, 4, v2
	v_lshlrev_b32_e32 v5, 10, v0
	ds_read_b128 v[12:15], v2 offset:20464
	ds_read_b128 v[16:19], v5 offset:12784
	v_min_u32_e32 v20, 0xbf, v3
	v_lshlrev_b32_e32 v38, 4, v20
	ds_read_b128 v[20:23], v38 offset:17408
	ds_read_b128 v[24:27], v5 offset:8704
	;; [unrolled: 1-line block ×3, first 2 shown]
	s_waitcnt lgkmcnt(3)
	v_mul_f64 v[32:33], v[14:15], -v[18:19]
	v_mul_f64 v[34:35], v[14:15], v[16:17]
	v_fmac_f64_e32 v[32:33], v[16:17], v[12:13]
	v_fmac_f64_e32 v[34:35], v[18:19], v[12:13]
	ds_read_b128 v[12:15], v5 offset:4592
	ds_read_b128 v[16:19], v5 offset:16896
	s_waitcnt lgkmcnt(2)
	v_add_f64 v[32:33], v[28:29], -v[32:33]
	v_add_f64 v[34:35], v[30:31], -v[34:35]
	ds_read_b128 v[28:31], v5 offset:512
	s_waitcnt lgkmcnt(2)
	v_mul_f64 v[36:37], v[22:23], -v[14:15]
	v_mul_f64 v[22:23], v[22:23], v[12:13]
	v_fmac_f64_e32 v[36:37], v[12:13], v[20:21]
	v_fmac_f64_e32 v[22:23], v[14:15], v[20:21]
	v_add_f64 v[12:13], v[32:33], -v[36:37]
	v_add_f64 v[14:15], v[34:35], -v[22:23]
	ds_write_b128 v5, v[12:15] offset:20976
	ds_read_b128 v[12:15], v2 offset:20464
	s_waitcnt lgkmcnt(0)
	v_mul_f64 v[20:21], v[14:15], -v[26:27]
	v_mul_f64 v[14:15], v[14:15], v[24:25]
	v_fmac_f64_e32 v[20:21], v[24:25], v[12:13]
	v_fmac_f64_e32 v[14:15], v[26:27], v[12:13]
	v_add_f64 v[12:13], v[16:17], -v[20:21]
	v_add_f64 v[14:15], v[18:19], -v[14:15]
	ds_write_b128 v5, v[12:15] offset:16896
	;; [unrolled: 9-line block ×3, first 2 shown]
.LBB281_8:
	s_or_b64 exec, exec, s[0:1]
	v_cmp_gt_u32_e32 vcc, 8, v0
	v_lshlrev_b32_e32 v2, 5, v0
	s_waitcnt lgkmcnt(0)
	s_barrier
	s_and_saveexec_b64 s[0:1], vcc
	s_cbranch_execz .LBB281_10
; %bb.9:
	v_max_u32_e32 v5, 1, v2
	v_lshlrev_b32_e32 v5, 4, v5
	v_lshlrev_b32_e32 v38, 9, v0
	ds_read_b128 v[12:15], v5 offset:20464
	ds_read_b128 v[16:19], v38 offset:12528
	v_min_u32_e32 v20, 0xdf, v2
	v_lshlrev_b32_e32 v39, 4, v20
	ds_read_b128 v[20:23], v39 offset:16896
	ds_read_b128 v[24:27], v38 offset:8448
	;; [unrolled: 1-line block ×3, first 2 shown]
	s_waitcnt lgkmcnt(3)
	v_mul_f64 v[32:33], v[14:15], -v[18:19]
	v_mul_f64 v[34:35], v[14:15], v[16:17]
	v_fmac_f64_e32 v[32:33], v[16:17], v[12:13]
	v_fmac_f64_e32 v[34:35], v[18:19], v[12:13]
	ds_read_b128 v[12:15], v38 offset:4336
	ds_read_b128 v[16:19], v38 offset:16640
	s_waitcnt lgkmcnt(2)
	v_add_f64 v[32:33], v[28:29], -v[32:33]
	v_add_f64 v[34:35], v[30:31], -v[34:35]
	ds_read_b128 v[28:31], v38 offset:256
	s_waitcnt lgkmcnt(2)
	v_mul_f64 v[36:37], v[22:23], -v[14:15]
	v_mul_f64 v[22:23], v[22:23], v[12:13]
	v_fmac_f64_e32 v[36:37], v[12:13], v[20:21]
	v_fmac_f64_e32 v[22:23], v[14:15], v[20:21]
	v_add_f64 v[12:13], v[32:33], -v[36:37]
	v_add_f64 v[14:15], v[34:35], -v[22:23]
	ds_write_b128 v38, v[12:15] offset:20720
	ds_read_b128 v[12:15], v5 offset:20464
	s_waitcnt lgkmcnt(0)
	v_mul_f64 v[20:21], v[14:15], -v[26:27]
	v_mul_f64 v[14:15], v[14:15], v[24:25]
	v_fmac_f64_e32 v[20:21], v[24:25], v[12:13]
	v_fmac_f64_e32 v[14:15], v[26:27], v[12:13]
	v_add_f64 v[12:13], v[16:17], -v[20:21]
	v_add_f64 v[14:15], v[18:19], -v[14:15]
	ds_write_b128 v38, v[12:15] offset:16640
	;; [unrolled: 9-line block ×3, first 2 shown]
.LBB281_10:
	s_or_b64 exec, exec, s[0:1]
	v_cmp_gt_u32_e32 vcc, 16, v0
	s_waitcnt lgkmcnt(0)
	s_barrier
	s_and_saveexec_b64 s[0:1], vcc
	s_cbranch_execz .LBB281_12
; %bb.11:
	v_max_u32_e32 v5, 1, v10
	v_lshlrev_b32_e32 v5, 4, v5
	v_lshlrev_b32_e32 v38, 8, v0
	ds_read_b128 v[12:15], v5 offset:20464
	ds_read_b128 v[16:19], v38 offset:12400
	v_min_u32_e32 v10, 0xef, v10
	v_lshlrev_b32_e32 v10, 4, v10
	ds_read_b128 v[20:23], v10 offset:16640
	ds_read_b128 v[24:27], v38 offset:8320
	;; [unrolled: 1-line block ×3, first 2 shown]
	s_waitcnt lgkmcnt(3)
	v_mul_f64 v[32:33], v[14:15], -v[18:19]
	v_mul_f64 v[34:35], v[14:15], v[16:17]
	v_fmac_f64_e32 v[32:33], v[16:17], v[12:13]
	v_fmac_f64_e32 v[34:35], v[18:19], v[12:13]
	ds_read_b128 v[12:15], v38 offset:4208
	ds_read_b128 v[16:19], v38 offset:16512
	s_waitcnt lgkmcnt(2)
	v_add_f64 v[32:33], v[28:29], -v[32:33]
	v_add_f64 v[34:35], v[30:31], -v[34:35]
	ds_read_b128 v[28:31], v38 offset:128
	s_waitcnt lgkmcnt(2)
	v_mul_f64 v[36:37], v[22:23], -v[14:15]
	v_mul_f64 v[22:23], v[22:23], v[12:13]
	v_fmac_f64_e32 v[36:37], v[12:13], v[20:21]
	v_fmac_f64_e32 v[22:23], v[14:15], v[20:21]
	v_add_f64 v[12:13], v[32:33], -v[36:37]
	v_add_f64 v[14:15], v[34:35], -v[22:23]
	ds_write_b128 v38, v[12:15] offset:20592
	ds_read_b128 v[12:15], v5 offset:20464
	s_waitcnt lgkmcnt(0)
	v_mul_f64 v[20:21], v[14:15], -v[26:27]
	v_mul_f64 v[14:15], v[14:15], v[24:25]
	v_fmac_f64_e32 v[20:21], v[24:25], v[12:13]
	v_fmac_f64_e32 v[14:15], v[26:27], v[12:13]
	v_add_f64 v[12:13], v[16:17], -v[20:21]
	v_add_f64 v[14:15], v[18:19], -v[14:15]
	ds_write_b128 v38, v[12:15] offset:16512
	;; [unrolled: 9-line block ×3, first 2 shown]
.LBB281_12:
	s_or_b64 exec, exec, s[0:1]
	v_cmp_gt_u32_e32 vcc, 32, v0
	s_waitcnt lgkmcnt(0)
	s_barrier
	s_and_saveexec_b64 s[0:1], vcc
	s_cbranch_execz .LBB281_14
; %bb.13:
	v_lshlrev_b32_e32 v5, 3, v0
	v_max_u32_e32 v10, 1, v5
	v_lshlrev_b32_e32 v10, 4, v10
	ds_read_b128 v[12:15], v10 offset:20464
	ds_read_b128 v[16:19], v4 offset:12336
	v_min_u32_e32 v5, 0xf7, v5
	v_lshlrev_b32_e32 v5, 4, v5
	ds_read_b128 v[20:23], v5 offset:16512
	ds_read_b128 v[24:27], v4 offset:16448
	;; [unrolled: 1-line block ×3, first 2 shown]
	s_waitcnt lgkmcnt(3)
	v_mul_f64 v[32:33], v[14:15], -v[18:19]
	v_fmac_f64_e32 v[32:33], v[16:17], v[12:13]
	v_mul_f64 v[34:35], v[14:15], v[16:17]
	ds_read_b128 v[14:17], v4 offset:4144
	v_fmac_f64_e32 v[34:35], v[18:19], v[12:13]
	s_waitcnt lgkmcnt(1)
	v_add_f64 v[12:13], v[28:29], -v[32:33]
	v_add_f64 v[18:19], v[30:31], -v[34:35]
	ds_read_b128 v[28:31], v4 offset:8256
	s_waitcnt lgkmcnt(1)
	v_mul_f64 v[32:33], v[22:23], -v[16:17]
	v_fmac_f64_e32 v[32:33], v[14:15], v[20:21]
	v_mul_f64 v[14:15], v[22:23], v[14:15]
	v_fmac_f64_e32 v[14:15], v[16:17], v[20:21]
	v_add_f64 v[12:13], v[12:13], -v[32:33]
	v_add_f64 v[14:15], v[18:19], -v[14:15]
	ds_write_b128 v4, v[12:15] offset:20528
	ds_read_b128 v[12:15], v10 offset:20464
	ds_read_b128 v[16:19], v4 offset:64
	s_waitcnt lgkmcnt(1)
	v_mul_f64 v[20:21], v[14:15], -v[30:31]
	v_mul_f64 v[14:15], v[14:15], v[28:29]
	v_fmac_f64_e32 v[20:21], v[28:29], v[12:13]
	v_fmac_f64_e32 v[14:15], v[30:31], v[12:13]
	v_add_f64 v[12:13], v[24:25], -v[20:21]
	v_add_f64 v[14:15], v[26:27], -v[14:15]
	ds_write_b128 v4, v[12:15] offset:16448
	ds_read_b128 v[20:23], v5 offset:16512
	s_waitcnt lgkmcnt(0)
	v_mul_f64 v[24:25], v[22:23], -v[18:19]
	v_fmac_f64_e32 v[24:25], v[16:17], v[20:21]
	v_mul_f64 v[16:17], v[22:23], v[16:17]
	v_fmac_f64_e32 v[16:17], v[18:19], v[20:21]
	v_add_f64 v[12:13], v[12:13], -v[24:25]
	v_add_f64 v[14:15], v[14:15], -v[16:17]
	ds_write_b128 v4, v[12:15] offset:16448
.LBB281_14:
	s_or_b64 exec, exec, s[0:1]
	v_cmp_gt_u32_e32 vcc, 64, v0
	s_waitcnt lgkmcnt(0)
	s_barrier
	s_and_saveexec_b64 s[0:1], vcc
	s_cbranch_execz .LBB281_16
; %bb.15:
	v_lshlrev_b32_e32 v4, 2, v0
	v_max_u32_e32 v5, 1, v4
	v_lshlrev_b32_e32 v10, 4, v5
	ds_read_b128 v[12:15], v10 offset:20464
	ds_read_b128 v[16:19], v3 offset:12304
	v_min_u32_e32 v4, 0xfb, v4
	v_lshlrev_b32_e32 v34, 4, v4
	ds_read_b128 v[20:23], v34 offset:16448
	ds_read_b128 v[24:27], v3 offset:16416
	;; [unrolled: 1-line block ×3, first 2 shown]
	s_waitcnt lgkmcnt(3)
	v_mul_f64 v[4:5], v[14:15], -v[18:19]
	v_fmac_f64_e32 v[4:5], v[16:17], v[12:13]
	v_mul_f64 v[32:33], v[14:15], v[16:17]
	ds_read_b128 v[14:17], v3 offset:4112
	v_fmac_f64_e32 v[32:33], v[18:19], v[12:13]
	s_waitcnt lgkmcnt(1)
	v_add_f64 v[4:5], v[28:29], -v[4:5]
	v_add_f64 v[18:19], v[30:31], -v[32:33]
	ds_read_b128 v[28:31], v3 offset:8224
	s_waitcnt lgkmcnt(1)
	v_mul_f64 v[12:13], v[22:23], -v[16:17]
	v_fmac_f64_e32 v[12:13], v[14:15], v[20:21]
	v_mul_f64 v[14:15], v[22:23], v[14:15]
	v_fmac_f64_e32 v[14:15], v[16:17], v[20:21]
	v_add_f64 v[12:13], v[4:5], -v[12:13]
	v_add_f64 v[14:15], v[18:19], -v[14:15]
	ds_write_b128 v3, v[12:15] offset:20496
	ds_read_b128 v[12:15], v10 offset:20464
	ds_read_b128 v[16:19], v3 offset:32
	s_waitcnt lgkmcnt(1)
	v_mul_f64 v[4:5], v[14:15], -v[30:31]
	v_mul_f64 v[14:15], v[14:15], v[28:29]
	v_fmac_f64_e32 v[4:5], v[28:29], v[12:13]
	v_fmac_f64_e32 v[14:15], v[30:31], v[12:13]
	v_add_f64 v[12:13], v[24:25], -v[4:5]
	v_add_f64 v[14:15], v[26:27], -v[14:15]
	ds_write_b128 v3, v[12:15] offset:16416
	ds_read_b128 v[20:23], v34 offset:16448
	s_waitcnt lgkmcnt(0)
	v_mul_f64 v[4:5], v[22:23], -v[18:19]
	v_fmac_f64_e32 v[4:5], v[16:17], v[20:21]
	v_mul_f64 v[16:17], v[22:23], v[16:17]
	v_fmac_f64_e32 v[16:17], v[18:19], v[20:21]
	v_add_f64 v[12:13], v[12:13], -v[4:5]
	v_add_f64 v[14:15], v[14:15], -v[16:17]
	ds_write_b128 v3, v[12:15] offset:16416
.LBB281_16:
	s_or_b64 exec, exec, s[0:1]
	s_movk_i32 s0, 0x80
	v_cmp_gt_u32_e32 vcc, s0, v0
	s_waitcnt lgkmcnt(0)
	s_barrier
	s_and_saveexec_b64 s[0:1], vcc
	s_cbranch_execz .LBB281_18
; %bb.17:
	v_lshlrev_b32_e32 v0, 1, v0
	v_max_u32_e32 v3, 1, v0
	v_lshlrev_b32_e32 v3, 4, v3
	ds_read_b128 v[12:15], v3 offset:20464
	ds_read_b128 v[16:19], v2 offset:12288
	v_min_u32_e32 v0, 0xfd, v0
	v_lshlrev_b32_e32 v0, 4, v0
	ds_read_b128 v[20:23], v0 offset:16416
	ds_read_b128 v[24:27], v2 offset:16400
	;; [unrolled: 1-line block ×3, first 2 shown]
	s_waitcnt lgkmcnt(3)
	v_mul_f64 v[4:5], v[14:15], -v[18:19]
	v_fmac_f64_e32 v[4:5], v[16:17], v[12:13]
	v_mul_f64 v[32:33], v[14:15], v[16:17]
	ds_read_b128 v[14:17], v2 offset:4096
	v_fmac_f64_e32 v[32:33], v[18:19], v[12:13]
	s_waitcnt lgkmcnt(1)
	v_add_f64 v[4:5], v[28:29], -v[4:5]
	v_add_f64 v[18:19], v[30:31], -v[32:33]
	ds_read_b128 v[28:31], v2 offset:8208
	s_waitcnt lgkmcnt(1)
	v_mul_f64 v[12:13], v[22:23], -v[16:17]
	v_fmac_f64_e32 v[12:13], v[14:15], v[20:21]
	v_mul_f64 v[14:15], v[22:23], v[14:15]
	v_fmac_f64_e32 v[14:15], v[16:17], v[20:21]
	v_add_f64 v[12:13], v[4:5], -v[12:13]
	v_add_f64 v[14:15], v[18:19], -v[14:15]
	ds_write_b128 v2, v[12:15] offset:20480
	ds_read_b128 v[12:15], v3 offset:20464
	ds_read_b128 v[16:19], v2 offset:16
	s_waitcnt lgkmcnt(1)
	v_mul_f64 v[4:5], v[14:15], -v[30:31]
	v_mul_f64 v[14:15], v[14:15], v[28:29]
	v_fmac_f64_e32 v[4:5], v[28:29], v[12:13]
	v_fmac_f64_e32 v[14:15], v[30:31], v[12:13]
	v_add_f64 v[12:13], v[24:25], -v[4:5]
	v_add_f64 v[14:15], v[26:27], -v[14:15]
	ds_write_b128 v2, v[12:15] offset:16400
	ds_read_b128 v[20:23], v0 offset:16416
	s_waitcnt lgkmcnt(0)
	v_mul_f64 v[4:5], v[22:23], -v[18:19]
	v_fmac_f64_e32 v[4:5], v[16:17], v[20:21]
	v_mul_f64 v[16:17], v[22:23], v[16:17]
	v_fmac_f64_e32 v[16:17], v[18:19], v[20:21]
	v_add_f64 v[12:13], v[12:13], -v[4:5]
	v_add_f64 v[14:15], v[14:15], -v[16:17]
	ds_write_b128 v2, v[12:15] offset:16400
.LBB281_18:
	s_or_b64 exec, exec, s[0:1]
	s_waitcnt lgkmcnt(0)
	s_barrier
	ds_read2_b64 v[2:5], v11 offset1:1
	ds_read2_b64 v[10:13], v1 offset1:1
	s_waitcnt lgkmcnt(1)
	global_store_dwordx4 v[6:7], v[2:5], off
	s_waitcnt lgkmcnt(0)
	global_store_dwordx4 v[8:9], v[10:13], off
	s_endpgm
	.section	.rodata,"a",@progbits
	.p2align	6, 0x0
	.amdhsa_kernel _ZN9rocsparseL34gtsv_solve_spike_grid_level_kernelILj256E21rocsparse_complex_numIdEEEviiiPT0_PKS3_S6_
		.amdhsa_group_segment_fixed_size 24576
		.amdhsa_private_segment_fixed_size 0
		.amdhsa_kernarg_size 40
		.amdhsa_user_sgpr_count 2
		.amdhsa_user_sgpr_dispatch_ptr 0
		.amdhsa_user_sgpr_queue_ptr 0
		.amdhsa_user_sgpr_kernarg_segment_ptr 1
		.amdhsa_user_sgpr_dispatch_id 0
		.amdhsa_user_sgpr_kernarg_preload_length 0
		.amdhsa_user_sgpr_kernarg_preload_offset 0
		.amdhsa_user_sgpr_private_segment_size 0
		.amdhsa_uses_dynamic_stack 0
		.amdhsa_enable_private_segment 0
		.amdhsa_system_sgpr_workgroup_id_x 1
		.amdhsa_system_sgpr_workgroup_id_y 1
		.amdhsa_system_sgpr_workgroup_id_z 0
		.amdhsa_system_sgpr_workgroup_info 0
		.amdhsa_system_vgpr_workitem_id 0
		.amdhsa_next_free_vgpr 73
		.amdhsa_next_free_sgpr 91
		.amdhsa_accum_offset 48
		.amdhsa_reserve_vcc 1
		.amdhsa_float_round_mode_32 0
		.amdhsa_float_round_mode_16_64 0
		.amdhsa_float_denorm_mode_32 3
		.amdhsa_float_denorm_mode_16_64 3
		.amdhsa_dx10_clamp 1
		.amdhsa_ieee_mode 1
		.amdhsa_fp16_overflow 0
		.amdhsa_tg_split 0
		.amdhsa_exception_fp_ieee_invalid_op 0
		.amdhsa_exception_fp_denorm_src 0
		.amdhsa_exception_fp_ieee_div_zero 0
		.amdhsa_exception_fp_ieee_overflow 0
		.amdhsa_exception_fp_ieee_underflow 0
		.amdhsa_exception_fp_ieee_inexact 0
		.amdhsa_exception_int_div_zero 0
	.end_amdhsa_kernel
	.section	.text._ZN9rocsparseL34gtsv_solve_spike_grid_level_kernelILj256E21rocsparse_complex_numIdEEEviiiPT0_PKS3_S6_,"axG",@progbits,_ZN9rocsparseL34gtsv_solve_spike_grid_level_kernelILj256E21rocsparse_complex_numIdEEEviiiPT0_PKS3_S6_,comdat
.Lfunc_end281:
	.size	_ZN9rocsparseL34gtsv_solve_spike_grid_level_kernelILj256E21rocsparse_complex_numIdEEEviiiPT0_PKS3_S6_, .Lfunc_end281-_ZN9rocsparseL34gtsv_solve_spike_grid_level_kernelILj256E21rocsparse_complex_numIdEEEviiiPT0_PKS3_S6_
                                        ; -- End function
	.set _ZN9rocsparseL34gtsv_solve_spike_grid_level_kernelILj256E21rocsparse_complex_numIdEEEviiiPT0_PKS3_S6_.num_vgpr, 47
	.set _ZN9rocsparseL34gtsv_solve_spike_grid_level_kernelILj256E21rocsparse_complex_numIdEEEviiiPT0_PKS3_S6_.num_agpr, 0
	.set _ZN9rocsparseL34gtsv_solve_spike_grid_level_kernelILj256E21rocsparse_complex_numIdEEEviiiPT0_PKS3_S6_.numbered_sgpr, 10
	.set _ZN9rocsparseL34gtsv_solve_spike_grid_level_kernelILj256E21rocsparse_complex_numIdEEEviiiPT0_PKS3_S6_.num_named_barrier, 0
	.set _ZN9rocsparseL34gtsv_solve_spike_grid_level_kernelILj256E21rocsparse_complex_numIdEEEviiiPT0_PKS3_S6_.private_seg_size, 0
	.set _ZN9rocsparseL34gtsv_solve_spike_grid_level_kernelILj256E21rocsparse_complex_numIdEEEviiiPT0_PKS3_S6_.uses_vcc, 1
	.set _ZN9rocsparseL34gtsv_solve_spike_grid_level_kernelILj256E21rocsparse_complex_numIdEEEviiiPT0_PKS3_S6_.uses_flat_scratch, 0
	.set _ZN9rocsparseL34gtsv_solve_spike_grid_level_kernelILj256E21rocsparse_complex_numIdEEEviiiPT0_PKS3_S6_.has_dyn_sized_stack, 0
	.set _ZN9rocsparseL34gtsv_solve_spike_grid_level_kernelILj256E21rocsparse_complex_numIdEEEviiiPT0_PKS3_S6_.has_recursion, 0
	.set _ZN9rocsparseL34gtsv_solve_spike_grid_level_kernelILj256E21rocsparse_complex_numIdEEEviiiPT0_PKS3_S6_.has_indirect_call, 0
	.section	.AMDGPU.csdata,"",@progbits
; Kernel info:
; codeLenInByte = 3696
; TotalNumSgprs: 16
; NumVgprs: 47
; NumAgprs: 0
; TotalNumVgprs: 47
; ScratchSize: 0
; MemoryBound: 0
; FloatMode: 240
; IeeeMode: 1
; LDSByteSize: 24576 bytes/workgroup (compile time only)
; SGPRBlocks: 12
; VGPRBlocks: 9
; NumSGPRsForWavesPerEU: 97
; NumVGPRsForWavesPerEU: 73
; AccumOffset: 48
; Occupancy: 6
; WaveLimiterHint : 0
; COMPUTE_PGM_RSRC2:SCRATCH_EN: 0
; COMPUTE_PGM_RSRC2:USER_SGPR: 2
; COMPUTE_PGM_RSRC2:TRAP_HANDLER: 0
; COMPUTE_PGM_RSRC2:TGID_X_EN: 1
; COMPUTE_PGM_RSRC2:TGID_Y_EN: 1
; COMPUTE_PGM_RSRC2:TGID_Z_EN: 0
; COMPUTE_PGM_RSRC2:TIDIG_COMP_CNT: 0
; COMPUTE_PGM_RSRC3_GFX90A:ACCUM_OFFSET: 11
; COMPUTE_PGM_RSRC3_GFX90A:TG_SPLIT: 0
	.section	.text._ZN9rocsparseL34gtsv_solve_spike_grid_level_kernelILj512E21rocsparse_complex_numIdEEEviiiPT0_PKS3_S6_,"axG",@progbits,_ZN9rocsparseL34gtsv_solve_spike_grid_level_kernelILj512E21rocsparse_complex_numIdEEEviiiPT0_PKS3_S6_,comdat
	.globl	_ZN9rocsparseL34gtsv_solve_spike_grid_level_kernelILj512E21rocsparse_complex_numIdEEEviiiPT0_PKS3_S6_ ; -- Begin function _ZN9rocsparseL34gtsv_solve_spike_grid_level_kernelILj512E21rocsparse_complex_numIdEEEviiiPT0_PKS3_S6_
	.p2align	8
	.type	_ZN9rocsparseL34gtsv_solve_spike_grid_level_kernelILj512E21rocsparse_complex_numIdEEEviiiPT0_PKS3_S6_,@function
_ZN9rocsparseL34gtsv_solve_spike_grid_level_kernelILj512E21rocsparse_complex_numIdEEEviiiPT0_PKS3_S6_: ; @_ZN9rocsparseL34gtsv_solve_spike_grid_level_kernelILj512E21rocsparse_complex_numIdEEEviiiPT0_PKS3_S6_
; %bb.0:
	s_load_dwordx4 s[4:7], s[0:1], 0x10
	s_load_dwordx2 s[8:9], s[0:1], 0x20
	v_lshlrev_b32_e32 v6, 4, v0
	v_mov_b32_e32 v7, 0
	s_movk_i32 s0, 0x2000
	s_waitcnt lgkmcnt(0)
	v_lshl_add_u64 v[2:3], s[6:7], 0, v[6:7]
	v_add_co_u32_e32 v2, vcc, s0, v2
	v_lshl_or_b32 v4, s3, 10, v0
	s_nop 0
	v_addc_co_u32_e32 v3, vcc, 0, v3, vcc
	v_mov_b32_e32 v5, v7
	global_load_dwordx4 v[12:15], v[2:3], off
	v_lshl_add_u64 v[2:3], v[4:5], 4, s[4:5]
	v_or_b32_e32 v4, 0x200, v4
	global_load_dwordx4 v[8:11], v6, s[6:7]
	global_load_dwordx4 v[16:19], v6, s[8:9]
	v_lshl_add_u64 v[4:5], v[4:5], 4, s[4:5]
	global_load_dwordx4 v[20:23], v[2:3], off
	global_load_dwordx4 v[24:27], v[4:5], off
	v_lshl_add_u64 v[28:29], s[8:9], 0, v[6:7]
	v_add_co_u32_e32 v28, vcc, s0, v28
	v_or_b32_e32 v32, 0x4000, v6
	s_nop 0
	v_addc_co_u32_e32 v29, vcc, 0, v29, vcc
	global_load_dwordx4 v[28:31], v[28:29], off
	v_or_b32_e32 v7, 0x8000, v6
	v_or_b32_e32 v1, 0xa000, v6
	s_mov_b32 s2, 2
	v_or_b32_e32 v33, 0x6000, v6
	v_or_b32_e32 v34, 0x2000, v6
	s_waitcnt vmcnt(4)
	ds_write2_b64 v32, v[8:9], v[10:11] offset1:1
	s_waitcnt vmcnt(3)
	ds_write2_b64 v6, v[16:17], v[18:19] offset1:1
	;; [unrolled: 2-line block ×4, first 2 shown]
	ds_write2_b64 v33, v[12:13], v[14:15] offset1:1
	s_waitcnt vmcnt(0)
	ds_write2_b64 v34, v[28:29], v[30:31] offset1:1
	s_waitcnt lgkmcnt(0)
	s_barrier
	s_branch .LBB282_2
.LBB282_1:                              ;   in Loop: Header=BB282_2 Depth=1
	s_or_b64 exec, exec, s[0:1]
	s_lshl_b32 s0, s2, 1
	s_cmpk_lt_u32 s2, 0x101
	s_mov_b32 s2, s0
	s_waitcnt lgkmcnt(0)
	s_barrier
	s_cbranch_scc0 .LBB282_4
.LBB282_2:                              ; =>This Inner Loop Header: Depth=1
	s_ff1_i32_b32 s0, s2
	s_lshr_b32 s0, 0x200, s0
	v_cmp_gt_u32_e32 vcc, s0, v0
	s_and_saveexec_b64 s[0:1], vcc
	s_cbranch_execz .LBB282_1
; %bb.3:                                ;   in Loop: Header=BB282_2 Depth=1
	v_mul_lo_u32 v22, s2, v0
	s_lshr_b32 s3, s2, 1
	v_add_u32_e32 v36, s3, v22
	v_lshlrev_b32_e32 v40, 4, v36
	ds_read_b128 v[8:11], v40 offset:8176
	ds_read_b128 v[12:15], v40 offset:16384
	v_lshlrev_b32_e32 v41, 4, v22
	v_add_lshl_u32 v42, v36, s3, 4
	s_waitcnt lgkmcnt(0)
	v_mul_f64 v[18:19], v[10:11], v[12:13]
	v_mul_f64 v[16:17], v[10:11], -v[14:15]
	v_fmac_f64_e32 v[18:19], v[14:15], v[8:9]
	v_fmac_f64_e32 v[16:17], v[12:13], v[8:9]
	v_add_f64 v[26:27], -v[18:19], 0
	v_add_f64 v[24:25], -v[16:17], 1.0
	v_mul_f64 v[16:17], v[26:27], v[26:27]
	v_fmac_f64_e32 v[16:17], v[24:25], v[24:25]
	v_div_scale_f64 v[18:19], s[4:5], v[16:17], v[16:17], 1.0
	v_rcp_f64_e32 v[20:21], v[18:19]
	v_fma_f64 v[30:31], 0, v[26:27], v[24:25]
	v_fma_f64 v[24:25], v[24:25], 0, -v[26:27]
	v_fma_f64 v[22:23], -v[18:19], v[20:21], 1.0
	v_fmac_f64_e32 v[20:21], v[20:21], v[22:23]
	v_fma_f64 v[22:23], -v[18:19], v[20:21], 1.0
	v_fmac_f64_e32 v[20:21], v[20:21], v[22:23]
	v_div_scale_f64 v[22:23], vcc, 1.0, v[16:17], 1.0
	v_mul_f64 v[28:29], v[22:23], v[20:21]
	v_fma_f64 v[18:19], -v[18:19], v[28:29], v[22:23]
	s_nop 1
	v_div_fmas_f64 v[18:19], v[18:19], v[20:21], v[28:29]
	v_div_fixup_f64 v[28:29], v[18:19], v[16:17], 1.0
	ds_read_b128 v[16:19], v40 offset:40944
	ds_read_b128 v[20:23], v40 offset:32768
	v_mul_f64 v[34:35], v[24:25], v[28:29]
	v_mul_f64 v[32:33], v[30:31], v[28:29]
	s_waitcnt lgkmcnt(0)
	v_mul_f64 v[24:25], v[22:23], -v[10:11]
	v_mul_f64 v[26:27], v[8:9], v[22:23]
	v_fmac_f64_e32 v[24:25], v[8:9], v[20:21]
	v_fmac_f64_e32 v[26:27], v[10:11], v[20:21]
	v_add_f64 v[28:29], v[16:17], -v[24:25]
	v_add_f64 v[30:31], v[18:19], -v[26:27]
	v_mul_f64 v[24:25], v[34:35], -v[30:31]
	v_mul_f64 v[26:27], v[34:35], v[28:29]
	v_fmac_f64_e32 v[24:25], v[28:29], v[32:33]
	v_fmac_f64_e32 v[26:27], v[30:31], v[32:33]
	ds_write_b128 v40, v[24:27] offset:40944
	v_mul_f64 v[24:25], v[14:15], -v[18:19]
	v_fmac_f64_e32 v[24:25], v[16:17], v[12:13]
	v_mul_f64 v[16:17], v[14:15], v[16:17]
	v_fmac_f64_e32 v[16:17], v[18:19], v[12:13]
	v_add_f64 v[18:19], v[20:21], -v[24:25]
	v_add_f64 v[24:25], v[22:23], -v[16:17]
	v_mul_f64 v[16:17], v[34:35], -v[24:25]
	v_fmac_f64_e32 v[16:17], v[18:19], v[32:33]
	v_mul_f64 v[18:19], v[18:19], v[34:35]
	ds_read_b128 v[20:23], v41
	v_fmac_f64_e32 v[18:19], v[24:25], v[32:33]
	ds_write_b128 v40, v[16:19] offset:32768
	ds_read_b128 v[24:27], v41 offset:32768
	s_waitcnt lgkmcnt(2)
	v_mul_f64 v[28:29], v[18:19], -v[22:23]
	v_mul_f64 v[18:19], v[18:19], v[20:21]
	v_fmac_f64_e32 v[28:29], v[20:21], v[16:17]
	v_fmac_f64_e32 v[18:19], v[22:23], v[16:17]
	s_waitcnt lgkmcnt(0)
	v_add_f64 v[16:17], v[24:25], -v[28:29]
	v_add_f64 v[18:19], v[26:27], -v[18:19]
	ds_write_b128 v41, v[16:19] offset:32768
	ds_read_b128 v[16:19], v42 offset:24560
	ds_read_b128 v[20:23], v40 offset:40944
	ds_read_b128 v[24:27], v40
	ds_read_b128 v[28:31], v42 offset:40944
	s_waitcnt lgkmcnt(2)
	v_mul_f64 v[36:37], v[22:23], -v[18:19]
	v_fmac_f64_e32 v[36:37], v[16:17], v[20:21]
	v_mul_f64 v[38:39], v[22:23], v[16:17]
	v_fmac_f64_e32 v[38:39], v[18:19], v[20:21]
	s_waitcnt lgkmcnt(0)
	v_add_f64 v[20:21], v[28:29], -v[36:37]
	v_mul_f64 v[28:29], v[8:9], v[26:27]
	v_mul_f64 v[22:23], v[26:27], -v[10:11]
	v_fmac_f64_e32 v[28:29], v[10:11], v[24:25]
	ds_read_b128 v[16:19], v40 offset:24560
	v_fmac_f64_e32 v[22:23], v[8:9], v[24:25]
	v_mul_f64 v[8:9], v[34:35], v[28:29]
	v_mul_f64 v[10:11], v[28:29], -v[32:33]
	v_fma_f64 v[8:9], -v[32:33], v[22:23], v[8:9]
	v_fma_f64 v[10:11], -v[34:35], v[22:23], v[10:11]
	ds_write_b128 v40, v[8:11] offset:8176
	v_mul_f64 v[8:9], v[26:27], -v[34:35]
	v_mul_f64 v[10:11], v[32:33], v[26:27]
	v_fmac_f64_e32 v[8:9], v[32:33], v[24:25]
	v_fmac_f64_e32 v[10:11], v[34:35], v[24:25]
	ds_write_b128 v40, v[8:11]
	ds_read_b128 v[26:29], v41
	s_waitcnt lgkmcnt(3)
	v_mul_f64 v[22:23], v[14:15], -v[18:19]
	v_mul_f64 v[14:15], v[14:15], v[16:17]
	v_fmac_f64_e32 v[14:15], v[18:19], v[12:13]
	v_fmac_f64_e32 v[22:23], v[16:17], v[12:13]
	v_mul_f64 v[12:13], v[34:35], v[14:15]
	v_mul_f64 v[14:15], v[14:15], -v[32:33]
	v_fma_f64 v[12:13], -v[32:33], v[22:23], v[12:13]
	v_fma_f64 v[14:15], -v[34:35], v[22:23], v[14:15]
	v_mul_f64 v[22:23], v[18:19], -v[34:35]
	v_mul_f64 v[24:25], v[32:33], v[18:19]
	v_fmac_f64_e32 v[22:23], v[32:33], v[16:17]
	v_fmac_f64_e32 v[24:25], v[34:35], v[16:17]
	ds_write_b128 v40, v[12:15] offset:16384
	ds_write_b128 v40, v[22:25] offset:24560
	ds_read_b128 v[16:19], v41 offset:16384
	s_waitcnt lgkmcnt(3)
	v_mul_f64 v[22:23], v[14:15], -v[28:29]
	v_mul_f64 v[14:15], v[14:15], v[26:27]
	v_fmac_f64_e32 v[22:23], v[26:27], v[12:13]
	v_fmac_f64_e32 v[14:15], v[28:29], v[12:13]
	s_waitcnt lgkmcnt(0)
	v_add_f64 v[12:13], v[16:17], -v[22:23]
	v_add_f64 v[14:15], v[18:19], -v[14:15]
	ds_write_b128 v41, v[12:15] offset:16384
	v_mul_f64 v[12:13], v[10:11], v[28:29]
	v_mul_f64 v[10:11], v[10:11], -v[26:27]
	v_fma_f64 v[12:13], -v[26:27], v[8:9], v[12:13]
	v_fma_f64 v[14:15], -v[28:29], v[8:9], v[10:11]
	ds_write_b128 v41, v[12:15]
	ds_read_b128 v[8:11], v42 offset:24560
	ds_read_b128 v[12:15], v40 offset:8176
	v_add_f64 v[22:23], v[30:31], -v[38:39]
	ds_write_b128 v42, v[20:23] offset:40944
	ds_read_b128 v[16:19], v42 offset:8176
	ds_read_b128 v[20:23], v40 offset:24560
	s_waitcnt lgkmcnt(3)
	v_mul_f64 v[24:25], v[10:11], -v[14:15]
	v_mul_f64 v[26:27], v[10:11], v[12:13]
	v_fmac_f64_e32 v[24:25], v[12:13], v[8:9]
	v_fmac_f64_e32 v[26:27], v[14:15], v[8:9]
	s_waitcnt lgkmcnt(1)
	v_add_f64 v[12:13], v[16:17], -v[24:25]
	v_add_f64 v[14:15], v[18:19], -v[26:27]
	ds_write_b128 v42, v[12:15] offset:8176
	s_waitcnt lgkmcnt(1)
	v_mul_f64 v[12:13], v[10:11], v[22:23]
	v_fma_f64 v[12:13], -v[8:9], v[20:21], v[12:13]
	v_mul_f64 v[8:9], v[22:23], -v[8:9]
	v_fma_f64 v[14:15], -v[10:11], v[20:21], v[8:9]
	ds_write_b128 v42, v[12:15] offset:24560
	s_branch .LBB282_1
.LBB282_4:
	v_cmp_gt_u32_e32 vcc, 2, v0
	v_lshlrev_b32_e32 v8, 8, v0
	s_and_saveexec_b64 s[0:1], vcc
	s_cbranch_execz .LBB282_6
; %bb.5:
	v_max_u32_e32 v9, 1, v8
	v_lshlrev_b32_e32 v9, 4, v9
	v_lshlrev_b32_e32 v36, 12, v0
	ds_read_b128 v[10:13], v9 offset:40944
	ds_read_b128 v[14:17], v36 offset:26608
	v_min_u32_e32 v18, 0xff, v8
	v_lshlrev_b32_e32 v37, 4, v18
	ds_read_b128 v[18:21], v37 offset:36864
	ds_read_b128 v[22:25], v36 offset:18432
	ds_read_b128 v[26:29], v36 offset:42992
	s_waitcnt lgkmcnt(3)
	v_mul_f64 v[30:31], v[12:13], -v[16:17]
	v_mul_f64 v[32:33], v[12:13], v[14:15]
	v_fmac_f64_e32 v[30:31], v[14:15], v[10:11]
	v_fmac_f64_e32 v[32:33], v[16:17], v[10:11]
	ds_read_b128 v[10:13], v36 offset:10224
	ds_read_b128 v[14:17], v36 offset:34816
	s_waitcnt lgkmcnt(2)
	v_add_f64 v[30:31], v[26:27], -v[30:31]
	v_add_f64 v[32:33], v[28:29], -v[32:33]
	ds_read_b128 v[26:29], v36 offset:2048
	s_waitcnt lgkmcnt(2)
	v_mul_f64 v[34:35], v[20:21], -v[12:13]
	v_mul_f64 v[20:21], v[20:21], v[10:11]
	v_fmac_f64_e32 v[34:35], v[10:11], v[18:19]
	v_fmac_f64_e32 v[20:21], v[12:13], v[18:19]
	v_add_f64 v[10:11], v[30:31], -v[34:35]
	v_add_f64 v[12:13], v[32:33], -v[20:21]
	ds_write_b128 v36, v[10:13] offset:42992
	ds_read_b128 v[10:13], v9 offset:40944
	s_waitcnt lgkmcnt(0)
	v_mul_f64 v[18:19], v[12:13], -v[24:25]
	v_mul_f64 v[12:13], v[12:13], v[22:23]
	v_fmac_f64_e32 v[18:19], v[22:23], v[10:11]
	v_fmac_f64_e32 v[12:13], v[24:25], v[10:11]
	v_add_f64 v[10:11], v[14:15], -v[18:19]
	v_add_f64 v[12:13], v[16:17], -v[12:13]
	ds_write_b128 v36, v[10:13] offset:34816
	ds_read_b128 v[14:17], v37 offset:36864
	s_waitcnt lgkmcnt(0)
	v_mul_f64 v[18:19], v[16:17], -v[28:29]
	v_mul_f64 v[16:17], v[16:17], v[26:27]
	v_fmac_f64_e32 v[18:19], v[26:27], v[14:15]
	v_fmac_f64_e32 v[16:17], v[28:29], v[14:15]
	v_add_f64 v[10:11], v[10:11], -v[18:19]
	v_add_f64 v[12:13], v[12:13], -v[16:17]
	ds_write_b128 v36, v[10:13] offset:34816
.LBB282_6:
	s_or_b64 exec, exec, s[0:1]
	v_cmp_gt_u32_e32 vcc, 4, v0
	v_lshlrev_b32_e32 v9, 7, v0
	s_waitcnt lgkmcnt(0)
	s_barrier
	s_and_saveexec_b64 s[0:1], vcc
	s_cbranch_execz .LBB282_8
; %bb.7:
	v_max_u32_e32 v10, 1, v9
	v_lshlrev_b32_e32 v37, 4, v10
	v_lshlrev_b32_e32 v36, 11, v0
	ds_read_b128 v[10:13], v37 offset:40944
	ds_read_b128 v[14:17], v36 offset:25584
	v_min_u32_e32 v18, 0x17f, v9
	v_lshlrev_b32_e32 v38, 4, v18
	ds_read_b128 v[18:21], v38 offset:34816
	ds_read_b128 v[22:25], v36 offset:17408
	ds_read_b128 v[26:29], v36 offset:41968
	s_waitcnt lgkmcnt(3)
	v_mul_f64 v[30:31], v[12:13], -v[16:17]
	v_mul_f64 v[32:33], v[12:13], v[14:15]
	v_fmac_f64_e32 v[30:31], v[14:15], v[10:11]
	v_fmac_f64_e32 v[32:33], v[16:17], v[10:11]
	ds_read_b128 v[10:13], v36 offset:9200
	ds_read_b128 v[14:17], v36 offset:33792
	s_waitcnt lgkmcnt(2)
	v_add_f64 v[30:31], v[26:27], -v[30:31]
	v_add_f64 v[32:33], v[28:29], -v[32:33]
	ds_read_b128 v[26:29], v36 offset:1024
	s_waitcnt lgkmcnt(2)
	v_mul_f64 v[34:35], v[20:21], -v[12:13]
	v_mul_f64 v[20:21], v[20:21], v[10:11]
	v_fmac_f64_e32 v[34:35], v[10:11], v[18:19]
	v_fmac_f64_e32 v[20:21], v[12:13], v[18:19]
	v_add_f64 v[10:11], v[30:31], -v[34:35]
	v_add_f64 v[12:13], v[32:33], -v[20:21]
	ds_write_b128 v36, v[10:13] offset:41968
	ds_read_b128 v[10:13], v37 offset:40944
	s_waitcnt lgkmcnt(0)
	v_mul_f64 v[18:19], v[12:13], -v[24:25]
	v_mul_f64 v[12:13], v[12:13], v[22:23]
	v_fmac_f64_e32 v[18:19], v[22:23], v[10:11]
	v_fmac_f64_e32 v[12:13], v[24:25], v[10:11]
	v_add_f64 v[10:11], v[14:15], -v[18:19]
	v_add_f64 v[12:13], v[16:17], -v[12:13]
	ds_write_b128 v36, v[10:13] offset:33792
	ds_read_b128 v[14:17], v38 offset:34816
	s_waitcnt lgkmcnt(0)
	v_mul_f64 v[18:19], v[16:17], -v[28:29]
	v_mul_f64 v[16:17], v[16:17], v[26:27]
	v_fmac_f64_e32 v[18:19], v[26:27], v[14:15]
	v_fmac_f64_e32 v[16:17], v[28:29], v[14:15]
	v_add_f64 v[10:11], v[10:11], -v[18:19]
	v_add_f64 v[12:13], v[12:13], -v[16:17]
	ds_write_b128 v36, v[10:13] offset:33792
.LBB282_8:
	s_or_b64 exec, exec, s[0:1]
	v_cmp_gt_u32_e32 vcc, 8, v0
	v_lshlrev_b32_e32 v10, 6, v0
	s_waitcnt lgkmcnt(0)
	s_barrier
	;; [unrolled: 56-line block ×3, first 2 shown]
	s_and_saveexec_b64 s[0:1], vcc
	s_cbranch_execz .LBB282_12
; %bb.11:
	v_max_u32_e32 v12, 1, v11
	v_lshlrev_b32_e32 v39, 4, v12
	v_lshlrev_b32_e32 v38, 9, v0
	ds_read_b128 v[12:15], v39 offset:40944
	ds_read_b128 v[16:19], v38 offset:24816
	v_min_u32_e32 v20, 0x1df, v11
	v_lshlrev_b32_e32 v40, 4, v20
	ds_read_b128 v[20:23], v40 offset:33280
	ds_read_b128 v[24:27], v38 offset:16640
	;; [unrolled: 1-line block ×3, first 2 shown]
	s_waitcnt lgkmcnt(3)
	v_mul_f64 v[32:33], v[14:15], -v[18:19]
	v_mul_f64 v[34:35], v[14:15], v[16:17]
	v_fmac_f64_e32 v[32:33], v[16:17], v[12:13]
	v_fmac_f64_e32 v[34:35], v[18:19], v[12:13]
	ds_read_b128 v[12:15], v38 offset:8432
	ds_read_b128 v[16:19], v38 offset:33024
	s_waitcnt lgkmcnt(2)
	v_add_f64 v[32:33], v[28:29], -v[32:33]
	v_add_f64 v[34:35], v[30:31], -v[34:35]
	ds_read_b128 v[28:31], v38 offset:256
	s_waitcnt lgkmcnt(2)
	v_mul_f64 v[36:37], v[22:23], -v[14:15]
	v_mul_f64 v[22:23], v[22:23], v[12:13]
	v_fmac_f64_e32 v[36:37], v[12:13], v[20:21]
	v_fmac_f64_e32 v[22:23], v[14:15], v[20:21]
	v_add_f64 v[12:13], v[32:33], -v[36:37]
	v_add_f64 v[14:15], v[34:35], -v[22:23]
	ds_write_b128 v38, v[12:15] offset:41200
	ds_read_b128 v[12:15], v39 offset:40944
	s_waitcnt lgkmcnt(0)
	v_mul_f64 v[20:21], v[14:15], -v[26:27]
	v_mul_f64 v[14:15], v[14:15], v[24:25]
	v_fmac_f64_e32 v[20:21], v[24:25], v[12:13]
	v_fmac_f64_e32 v[14:15], v[26:27], v[12:13]
	v_add_f64 v[12:13], v[16:17], -v[20:21]
	v_add_f64 v[14:15], v[18:19], -v[14:15]
	ds_write_b128 v38, v[12:15] offset:33024
	;; [unrolled: 9-line block ×3, first 2 shown]
.LBB282_12:
	s_or_b64 exec, exec, s[0:1]
	v_cmp_gt_u32_e32 vcc, 32, v0
	s_waitcnt lgkmcnt(0)
	s_barrier
	s_and_saveexec_b64 s[0:1], vcc
	s_cbranch_execz .LBB282_14
; %bb.13:
	v_max_u32_e32 v12, 1, v6
	v_lshlrev_b32_e32 v38, 4, v12
	v_min_u32_e32 v6, 0x1ef, v6
	ds_read_b128 v[12:15], v38 offset:40944
	ds_read_b128 v[16:19], v8 offset:24688
	v_lshlrev_b32_e32 v6, 4, v6
	ds_read_b128 v[20:23], v6 offset:33024
	ds_read_b128 v[24:27], v8 offset:16512
	ds_read_b128 v[28:31], v8 offset:41072
	ds_read_b128 v[32:35], v8 offset:8304
	s_waitcnt lgkmcnt(4)
	v_mul_f64 v[36:37], v[14:15], -v[18:19]
	v_mul_f64 v[14:15], v[14:15], v[16:17]
	v_fmac_f64_e32 v[36:37], v[16:17], v[12:13]
	v_fmac_f64_e32 v[14:15], v[18:19], v[12:13]
	s_waitcnt lgkmcnt(0)
	v_mul_f64 v[16:17], v[22:23], -v[34:35]
	v_mul_f64 v[18:19], v[22:23], v[32:33]
	v_add_f64 v[12:13], v[28:29], -v[36:37]
	v_add_f64 v[14:15], v[30:31], -v[14:15]
	v_fmac_f64_e32 v[16:17], v[32:33], v[20:21]
	v_fmac_f64_e32 v[18:19], v[34:35], v[20:21]
	v_add_f64 v[12:13], v[12:13], -v[16:17]
	v_add_f64 v[14:15], v[14:15], -v[18:19]
	ds_write_b128 v8, v[12:15] offset:41072
	ds_read_b128 v[12:15], v38 offset:40944
	ds_read_b128 v[16:19], v8 offset:32896
	s_waitcnt lgkmcnt(1)
	v_mul_f64 v[20:21], v[14:15], -v[26:27]
	v_mul_f64 v[14:15], v[14:15], v[24:25]
	v_fmac_f64_e32 v[20:21], v[24:25], v[12:13]
	v_fmac_f64_e32 v[14:15], v[26:27], v[12:13]
	s_waitcnt lgkmcnt(0)
	v_add_f64 v[12:13], v[16:17], -v[20:21]
	v_add_f64 v[14:15], v[18:19], -v[14:15]
	ds_write_b128 v8, v[12:15] offset:32896
	ds_read_b128 v[16:19], v6 offset:33024
	ds_read_b128 v[20:23], v8 offset:128
	s_waitcnt lgkmcnt(0)
	v_mul_f64 v[24:25], v[18:19], -v[22:23]
	v_mul_f64 v[18:19], v[18:19], v[20:21]
	v_fmac_f64_e32 v[24:25], v[20:21], v[16:17]
	v_fmac_f64_e32 v[18:19], v[22:23], v[16:17]
	v_add_f64 v[12:13], v[12:13], -v[24:25]
	v_add_f64 v[14:15], v[14:15], -v[18:19]
	ds_write_b128 v8, v[12:15] offset:32896
.LBB282_14:
	s_or_b64 exec, exec, s[0:1]
	v_cmp_gt_u32_e32 vcc, 64, v0
	s_waitcnt lgkmcnt(0)
	s_barrier
	s_and_saveexec_b64 s[0:1], vcc
	s_cbranch_execz .LBB282_16
; %bb.15:
	v_lshlrev_b32_e32 v6, 3, v0
	v_max_u32_e32 v8, 1, v6
	v_lshlrev_b32_e32 v8, 4, v8
	v_min_u32_e32 v6, 0x1f7, v6
	ds_read_b128 v[12:15], v8 offset:40944
	ds_read_b128 v[16:19], v9 offset:24624
	v_lshlrev_b32_e32 v6, 4, v6
	ds_read_b128 v[20:23], v6 offset:32896
	ds_read_b128 v[24:27], v9 offset:16448
	;; [unrolled: 1-line block ×4, first 2 shown]
	s_waitcnt lgkmcnt(4)
	v_mul_f64 v[36:37], v[14:15], -v[18:19]
	v_mul_f64 v[14:15], v[14:15], v[16:17]
	v_fmac_f64_e32 v[36:37], v[16:17], v[12:13]
	v_fmac_f64_e32 v[14:15], v[18:19], v[12:13]
	s_waitcnt lgkmcnt(0)
	v_mul_f64 v[16:17], v[22:23], -v[34:35]
	v_mul_f64 v[18:19], v[22:23], v[32:33]
	v_add_f64 v[12:13], v[28:29], -v[36:37]
	v_add_f64 v[14:15], v[30:31], -v[14:15]
	v_fmac_f64_e32 v[16:17], v[32:33], v[20:21]
	v_fmac_f64_e32 v[18:19], v[34:35], v[20:21]
	v_add_f64 v[12:13], v[12:13], -v[16:17]
	v_add_f64 v[14:15], v[14:15], -v[18:19]
	ds_write_b128 v9, v[12:15] offset:41008
	ds_read_b128 v[12:15], v8 offset:40944
	ds_read_b128 v[16:19], v9 offset:32832
	s_waitcnt lgkmcnt(1)
	v_mul_f64 v[20:21], v[14:15], -v[26:27]
	v_mul_f64 v[14:15], v[14:15], v[24:25]
	v_fmac_f64_e32 v[20:21], v[24:25], v[12:13]
	v_fmac_f64_e32 v[14:15], v[26:27], v[12:13]
	s_waitcnt lgkmcnt(0)
	v_add_f64 v[12:13], v[16:17], -v[20:21]
	v_add_f64 v[14:15], v[18:19], -v[14:15]
	ds_write_b128 v9, v[12:15] offset:32832
	ds_read_b128 v[16:19], v6 offset:32896
	ds_read_b128 v[20:23], v9 offset:64
	s_waitcnt lgkmcnt(0)
	v_mul_f64 v[24:25], v[18:19], -v[22:23]
	v_mul_f64 v[18:19], v[18:19], v[20:21]
	v_fmac_f64_e32 v[24:25], v[20:21], v[16:17]
	v_fmac_f64_e32 v[18:19], v[22:23], v[16:17]
	v_add_f64 v[12:13], v[12:13], -v[24:25]
	v_add_f64 v[14:15], v[14:15], -v[18:19]
	ds_write_b128 v9, v[12:15] offset:32832
.LBB282_16:
	s_or_b64 exec, exec, s[0:1]
	s_movk_i32 s0, 0x80
	v_cmp_gt_u32_e32 vcc, s0, v0
	s_waitcnt lgkmcnt(0)
	s_barrier
	s_and_saveexec_b64 s[0:1], vcc
	s_cbranch_execz .LBB282_18
; %bb.17:
	v_lshlrev_b32_e32 v6, 2, v0
	v_max_u32_e32 v8, 1, v6
	v_lshlrev_b32_e32 v36, 4, v8
	v_min_u32_e32 v6, 0x1fb, v6
	ds_read_b128 v[12:15], v36 offset:40944
	ds_read_b128 v[16:19], v10 offset:24592
	v_lshlrev_b32_e32 v6, 4, v6
	ds_read_b128 v[20:23], v6 offset:32832
	ds_read_b128 v[24:27], v10 offset:16416
	ds_read_b128 v[28:31], v10 offset:40976
	ds_read_b128 v[32:35], v10 offset:8208
	s_waitcnt lgkmcnt(4)
	v_mul_f64 v[8:9], v[14:15], -v[18:19]
	v_mul_f64 v[14:15], v[14:15], v[16:17]
	v_fmac_f64_e32 v[8:9], v[16:17], v[12:13]
	v_fmac_f64_e32 v[14:15], v[18:19], v[12:13]
	s_waitcnt lgkmcnt(0)
	v_mul_f64 v[12:13], v[22:23], -v[34:35]
	v_mul_f64 v[16:17], v[22:23], v[32:33]
	v_add_f64 v[8:9], v[28:29], -v[8:9]
	v_add_f64 v[14:15], v[30:31], -v[14:15]
	v_fmac_f64_e32 v[12:13], v[32:33], v[20:21]
	v_fmac_f64_e32 v[16:17], v[34:35], v[20:21]
	v_add_f64 v[12:13], v[8:9], -v[12:13]
	v_add_f64 v[14:15], v[14:15], -v[16:17]
	ds_write_b128 v10, v[12:15] offset:40976
	ds_read_b128 v[12:15], v36 offset:40944
	ds_read_b128 v[16:19], v10 offset:32800
	s_waitcnt lgkmcnt(1)
	v_mul_f64 v[8:9], v[14:15], -v[26:27]
	v_mul_f64 v[14:15], v[14:15], v[24:25]
	v_fmac_f64_e32 v[8:9], v[24:25], v[12:13]
	v_fmac_f64_e32 v[14:15], v[26:27], v[12:13]
	s_waitcnt lgkmcnt(0)
	v_add_f64 v[12:13], v[16:17], -v[8:9]
	v_add_f64 v[14:15], v[18:19], -v[14:15]
	ds_write_b128 v10, v[12:15] offset:32800
	ds_read_b128 v[16:19], v6 offset:32832
	ds_read_b128 v[20:23], v10 offset:32
	s_waitcnt lgkmcnt(0)
	v_mul_f64 v[8:9], v[18:19], -v[22:23]
	v_mul_f64 v[18:19], v[18:19], v[20:21]
	v_fmac_f64_e32 v[8:9], v[20:21], v[16:17]
	v_fmac_f64_e32 v[18:19], v[22:23], v[16:17]
	v_add_f64 v[12:13], v[12:13], -v[8:9]
	v_add_f64 v[14:15], v[14:15], -v[18:19]
	ds_write_b128 v10, v[12:15] offset:32800
.LBB282_18:
	s_or_b64 exec, exec, s[0:1]
	s_movk_i32 s0, 0x100
	v_cmp_gt_u32_e32 vcc, s0, v0
	s_waitcnt lgkmcnt(0)
	s_barrier
	s_and_saveexec_b64 s[0:1], vcc
	s_cbranch_execz .LBB282_20
; %bb.19:
	v_lshlrev_b32_e32 v0, 1, v0
	v_max_u32_e32 v6, 1, v0
	v_lshlrev_b32_e32 v6, 4, v6
	v_min_u32_e32 v0, 0x1fd, v0
	ds_read_b128 v[12:15], v6 offset:40944
	ds_read_b128 v[16:19], v11 offset:24576
	v_lshlrev_b32_e32 v0, 4, v0
	ds_read_b128 v[20:23], v0 offset:32800
	ds_read_b128 v[24:27], v11 offset:16400
	;; [unrolled: 1-line block ×4, first 2 shown]
	s_waitcnt lgkmcnt(4)
	v_mul_f64 v[8:9], v[14:15], -v[18:19]
	v_mul_f64 v[14:15], v[14:15], v[16:17]
	v_fmac_f64_e32 v[8:9], v[16:17], v[12:13]
	v_fmac_f64_e32 v[14:15], v[18:19], v[12:13]
	s_waitcnt lgkmcnt(0)
	v_mul_f64 v[12:13], v[22:23], -v[34:35]
	v_mul_f64 v[16:17], v[22:23], v[32:33]
	v_add_f64 v[8:9], v[28:29], -v[8:9]
	v_add_f64 v[14:15], v[30:31], -v[14:15]
	v_fmac_f64_e32 v[12:13], v[32:33], v[20:21]
	v_fmac_f64_e32 v[16:17], v[34:35], v[20:21]
	v_add_f64 v[12:13], v[8:9], -v[12:13]
	v_add_f64 v[14:15], v[14:15], -v[16:17]
	ds_write_b128 v11, v[12:15] offset:40960
	ds_read_b128 v[12:15], v6 offset:40944
	ds_read_b128 v[16:19], v11 offset:32784
	s_waitcnt lgkmcnt(1)
	v_mul_f64 v[8:9], v[14:15], -v[26:27]
	v_mul_f64 v[14:15], v[14:15], v[24:25]
	v_fmac_f64_e32 v[8:9], v[24:25], v[12:13]
	v_fmac_f64_e32 v[14:15], v[26:27], v[12:13]
	s_waitcnt lgkmcnt(0)
	v_add_f64 v[12:13], v[16:17], -v[8:9]
	v_add_f64 v[14:15], v[18:19], -v[14:15]
	ds_write_b128 v11, v[12:15] offset:32784
	ds_read_b128 v[16:19], v0 offset:32800
	ds_read_b128 v[20:23], v11 offset:16
	s_waitcnt lgkmcnt(0)
	v_mul_f64 v[8:9], v[18:19], -v[22:23]
	v_mul_f64 v[18:19], v[18:19], v[20:21]
	v_fmac_f64_e32 v[8:9], v[20:21], v[16:17]
	v_fmac_f64_e32 v[18:19], v[22:23], v[16:17]
	v_add_f64 v[12:13], v[12:13], -v[8:9]
	v_add_f64 v[14:15], v[14:15], -v[18:19]
	ds_write_b128 v11, v[12:15] offset:32784
.LBB282_20:
	s_or_b64 exec, exec, s[0:1]
	s_waitcnt lgkmcnt(0)
	s_barrier
	ds_read2_b64 v[6:9], v7 offset1:1
	ds_read2_b64 v[10:13], v1 offset1:1
	s_waitcnt lgkmcnt(1)
	global_store_dwordx4 v[2:3], v[6:9], off
	s_waitcnt lgkmcnt(0)
	global_store_dwordx4 v[4:5], v[10:13], off
	s_endpgm
	.section	.rodata,"a",@progbits
	.p2align	6, 0x0
	.amdhsa_kernel _ZN9rocsparseL34gtsv_solve_spike_grid_level_kernelILj512E21rocsparse_complex_numIdEEEviiiPT0_PKS3_S6_
		.amdhsa_group_segment_fixed_size 49152
		.amdhsa_private_segment_fixed_size 0
		.amdhsa_kernarg_size 40
		.amdhsa_user_sgpr_count 2
		.amdhsa_user_sgpr_dispatch_ptr 0
		.amdhsa_user_sgpr_queue_ptr 0
		.amdhsa_user_sgpr_kernarg_segment_ptr 1
		.amdhsa_user_sgpr_dispatch_id 0
		.amdhsa_user_sgpr_kernarg_preload_length 0
		.amdhsa_user_sgpr_kernarg_preload_offset 0
		.amdhsa_user_sgpr_private_segment_size 0
		.amdhsa_uses_dynamic_stack 0
		.amdhsa_enable_private_segment 0
		.amdhsa_system_sgpr_workgroup_id_x 1
		.amdhsa_system_sgpr_workgroup_id_y 1
		.amdhsa_system_sgpr_workgroup_id_z 0
		.amdhsa_system_sgpr_workgroup_info 0
		.amdhsa_system_vgpr_workitem_id 0
		.amdhsa_next_free_vgpr 73
		.amdhsa_next_free_sgpr 91
		.amdhsa_accum_offset 44
		.amdhsa_reserve_vcc 1
		.amdhsa_float_round_mode_32 0
		.amdhsa_float_round_mode_16_64 0
		.amdhsa_float_denorm_mode_32 3
		.amdhsa_float_denorm_mode_16_64 3
		.amdhsa_dx10_clamp 1
		.amdhsa_ieee_mode 1
		.amdhsa_fp16_overflow 0
		.amdhsa_tg_split 0
		.amdhsa_exception_fp_ieee_invalid_op 0
		.amdhsa_exception_fp_denorm_src 0
		.amdhsa_exception_fp_ieee_div_zero 0
		.amdhsa_exception_fp_ieee_overflow 0
		.amdhsa_exception_fp_ieee_underflow 0
		.amdhsa_exception_fp_ieee_inexact 0
		.amdhsa_exception_int_div_zero 0
	.end_amdhsa_kernel
	.section	.text._ZN9rocsparseL34gtsv_solve_spike_grid_level_kernelILj512E21rocsparse_complex_numIdEEEviiiPT0_PKS3_S6_,"axG",@progbits,_ZN9rocsparseL34gtsv_solve_spike_grid_level_kernelILj512E21rocsparse_complex_numIdEEEviiiPT0_PKS3_S6_,comdat
.Lfunc_end282:
	.size	_ZN9rocsparseL34gtsv_solve_spike_grid_level_kernelILj512E21rocsparse_complex_numIdEEEviiiPT0_PKS3_S6_, .Lfunc_end282-_ZN9rocsparseL34gtsv_solve_spike_grid_level_kernelILj512E21rocsparse_complex_numIdEEEviiiPT0_PKS3_S6_
                                        ; -- End function
	.set _ZN9rocsparseL34gtsv_solve_spike_grid_level_kernelILj512E21rocsparse_complex_numIdEEEviiiPT0_PKS3_S6_.num_vgpr, 43
	.set _ZN9rocsparseL34gtsv_solve_spike_grid_level_kernelILj512E21rocsparse_complex_numIdEEEviiiPT0_PKS3_S6_.num_agpr, 0
	.set _ZN9rocsparseL34gtsv_solve_spike_grid_level_kernelILj512E21rocsparse_complex_numIdEEEviiiPT0_PKS3_S6_.numbered_sgpr, 10
	.set _ZN9rocsparseL34gtsv_solve_spike_grid_level_kernelILj512E21rocsparse_complex_numIdEEEviiiPT0_PKS3_S6_.num_named_barrier, 0
	.set _ZN9rocsparseL34gtsv_solve_spike_grid_level_kernelILj512E21rocsparse_complex_numIdEEEviiiPT0_PKS3_S6_.private_seg_size, 0
	.set _ZN9rocsparseL34gtsv_solve_spike_grid_level_kernelILj512E21rocsparse_complex_numIdEEEviiiPT0_PKS3_S6_.uses_vcc, 1
	.set _ZN9rocsparseL34gtsv_solve_spike_grid_level_kernelILj512E21rocsparse_complex_numIdEEEviiiPT0_PKS3_S6_.uses_flat_scratch, 0
	.set _ZN9rocsparseL34gtsv_solve_spike_grid_level_kernelILj512E21rocsparse_complex_numIdEEEviiiPT0_PKS3_S6_.has_dyn_sized_stack, 0
	.set _ZN9rocsparseL34gtsv_solve_spike_grid_level_kernelILj512E21rocsparse_complex_numIdEEEviiiPT0_PKS3_S6_.has_recursion, 0
	.set _ZN9rocsparseL34gtsv_solve_spike_grid_level_kernelILj512E21rocsparse_complex_numIdEEEviiiPT0_PKS3_S6_.has_indirect_call, 0
	.section	.AMDGPU.csdata,"",@progbits
; Kernel info:
; codeLenInByte = 4044
; TotalNumSgprs: 16
; NumVgprs: 43
; NumAgprs: 0
; TotalNumVgprs: 43
; ScratchSize: 0
; MemoryBound: 0
; FloatMode: 240
; IeeeMode: 1
; LDSByteSize: 49152 bytes/workgroup (compile time only)
; SGPRBlocks: 12
; VGPRBlocks: 9
; NumSGPRsForWavesPerEU: 97
; NumVGPRsForWavesPerEU: 73
; AccumOffset: 44
; Occupancy: 6
; WaveLimiterHint : 0
; COMPUTE_PGM_RSRC2:SCRATCH_EN: 0
; COMPUTE_PGM_RSRC2:USER_SGPR: 2
; COMPUTE_PGM_RSRC2:TRAP_HANDLER: 0
; COMPUTE_PGM_RSRC2:TGID_X_EN: 1
; COMPUTE_PGM_RSRC2:TGID_Y_EN: 1
; COMPUTE_PGM_RSRC2:TGID_Z_EN: 0
; COMPUTE_PGM_RSRC2:TIDIG_COMP_CNT: 0
; COMPUTE_PGM_RSRC3_GFX90A:ACCUM_OFFSET: 10
; COMPUTE_PGM_RSRC3_GFX90A:TG_SPLIT: 0
	.section	.text._ZN9rocsparseL33gtsv_solve_spike_propagate_kernelILj256ELj2E21rocsparse_complex_numIdEEEviiiPT1_PKS3_S6_S6_,"axG",@progbits,_ZN9rocsparseL33gtsv_solve_spike_propagate_kernelILj256ELj2E21rocsparse_complex_numIdEEEviiiPT1_PKS3_S6_S6_,comdat
	.globl	_ZN9rocsparseL33gtsv_solve_spike_propagate_kernelILj256ELj2E21rocsparse_complex_numIdEEEviiiPT1_PKS3_S6_S6_ ; -- Begin function _ZN9rocsparseL33gtsv_solve_spike_propagate_kernelILj256ELj2E21rocsparse_complex_numIdEEEviiiPT1_PKS3_S6_S6_
	.p2align	8
	.type	_ZN9rocsparseL33gtsv_solve_spike_propagate_kernelILj256ELj2E21rocsparse_complex_numIdEEEviiiPT1_PKS3_S6_S6_,@function
_ZN9rocsparseL33gtsv_solve_spike_propagate_kernelILj256ELj2E21rocsparse_complex_numIdEEEviiiPT1_PKS3_S6_S6_: ; @_ZN9rocsparseL33gtsv_solve_spike_propagate_kernelILj256ELj2E21rocsparse_complex_numIdEEEviiiPT1_PKS3_S6_S6_
; %bb.0:
	s_load_dword s8, s[0:1], 0x0
	v_lshl_or_b32 v2, s2, 8, v0
	v_lshlrev_b32_e32 v6, 4, v0
	s_waitcnt lgkmcnt(0)
	s_lshr_b32 s20, s8, 1
	v_cmp_gt_i32_e32 vcc, s20, v2
	v_cmp_le_i32_e64 s[4:5], s20, v2
	s_and_saveexec_b64 s[6:7], s[4:5]
	s_xor_b64 s[6:7], exec, s[6:7]
; %bb.1:
	v_mov_b32_e32 v8, 0
	v_mov_b32_e32 v9, v8
	;; [unrolled: 1-line block ×4, first 2 shown]
	ds_write_b128 v6, v[8:11] offset:16416
; %bb.2:
	s_or_saveexec_b64 s[6:7], s[6:7]
	v_mov_b64_e32 v[8:9], 0
	v_ashrrev_i32_e32 v3, 31, v2
	v_add_u32_e32 v4, s20, v2
	v_mov_b64_e32 v[10:11], 0
	s_xor_b64 exec, exec, s[6:7]
	s_cbranch_execz .LBB283_4
; %bb.3:
	s_load_dwordx2 s[10:11], s[0:1], 0x18
	v_mov_b32_e32 v5, 0
	s_waitcnt lgkmcnt(0)
	v_lshl_add_u64 v[16:17], v[2:3], 4, s[10:11]
	v_lshl_add_u64 v[18:19], v[4:5], 4, s[10:11]
	global_load_dwordx4 v[12:15], v[16:17], off
	global_load_dwordx4 v[8:11], v[18:19], off
	s_waitcnt vmcnt(1)
	ds_write_b128 v6, v[12:15] offset:16416
.LBB283_4:
	s_or_b64 exec, exec, s[6:7]
	s_waitcnt vmcnt(0)
	ds_write_b128 v6, v[8:11] offset:20512
	s_and_saveexec_b64 s[6:7], s[4:5]
	s_xor_b64 s[4:5], exec, s[6:7]
; %bb.5:
	v_mov_b32_e32 v8, 0
	v_mov_b32_e32 v9, v8
	;; [unrolled: 1-line block ×4, first 2 shown]
	ds_write_b128 v6, v[8:11] offset:8224
                                        ; implicit-def: $vgpr4
; %bb.6:
	s_or_saveexec_b64 s[4:5], s[4:5]
	s_load_dwordx2 s[6:7], s[0:1], 0x10
	v_mov_b64_e32 v[10:11], 0
	v_mov_b64_e32 v[12:13], 0
	;; [unrolled: 1-line block ×3, first 2 shown]
	s_xor_b64 exec, exec, s[4:5]
	s_cbranch_execz .LBB283_8
; %bb.7:
	s_load_dwordx2 s[10:11], s[0:1], 0x20
	v_mov_b32_e32 v5, 0
	s_waitcnt lgkmcnt(0)
	v_lshl_add_u64 v[8:9], v[2:3], 4, s[10:11]
	v_lshl_add_u64 v[4:5], v[4:5], 4, s[10:11]
	global_load_dwordx4 v[16:19], v[8:9], off
	global_load_dwordx4 v[12:15], v[4:5], off
	s_waitcnt vmcnt(1)
	ds_write_b128 v6, v[16:19] offset:8224
.LBB283_8:
	s_or_b64 exec, exec, s[4:5]
	s_mul_i32 s8, s8, s3
	v_mov_b64_e32 v[8:9], 0
	s_waitcnt vmcnt(0)
	ds_write_b128 v6, v[12:15] offset:12320
	s_and_saveexec_b64 s[4:5], vcc
	s_cbranch_execz .LBB283_10
; %bb.9:
	s_add_i32 s9, s8, s20
	v_add_u32_e32 v4, s9, v2
	v_mov_b32_e32 v5, 0
	s_waitcnt lgkmcnt(0)
	v_lshl_add_u64 v[4:5], v[4:5], 4, s[6:7]
	global_load_dwordx4 v[8:11], v[4:5], off
.LBB283_10:
	s_or_b64 exec, exec, s[4:5]
	s_waitcnt vmcnt(0)
	ds_write_b128 v6, v[8:11] offset:16
	v_mov_b64_e32 v[10:11], 0
	v_add_u32_e32 v2, s8, v2
	v_mov_b64_e32 v[8:9], 0
	s_and_saveexec_b64 s[4:5], vcc
	s_cbranch_execz .LBB283_12
; %bb.11:
	v_ashrrev_i32_e32 v3, 31, v2
	s_waitcnt lgkmcnt(0)
	v_lshl_add_u64 v[4:5], v[2:3], 4, s[6:7]
	global_load_dwordx4 v[8:11], v[4:5], off
.LBB283_12:
	s_or_b64 exec, exec, s[4:5]
	v_cmp_eq_u32_e64 s[4:5], 0, v0
	s_waitcnt vmcnt(0)
	ds_write_b128 v6, v[8:11] offset:4112
	s_waitcnt lgkmcnt(0)
	s_barrier
	s_and_saveexec_b64 s[16:17], s[4:5]
	s_cbranch_execz .LBB283_18
; %bb.13:
	s_load_dword s21, s[0:1], 0x30
	s_load_dwordx2 s[18:19], s[0:1], 0x28
	s_cmp_lt_i32 s2, 1
	s_mov_b64 s[10:11], 0
	s_mov_b64 s[14:15], 0
	s_waitcnt lgkmcnt(0)
	s_mul_i32 s3, s3, s21
	s_mov_b64 s[12:13], 0
	s_cbranch_scc1 .LBB283_15
; %bb.14:
	s_lshl_b32 s0, s3, 1
	s_add_i32 s1, s2, s21
	s_add_i32 s0, s1, s0
	s_add_i32 s0, s0, -1
	s_mov_b32 s1, 0
	s_lshl_b64 s[0:1], s[0:1], 4
	s_add_u32 s0, s18, s0
	s_addc_u32 s1, s19, s1
	s_load_dwordx4 s[12:15], s[0:1], 0x0
.LBB283_15:
	s_add_i32 s0, s21, -1
	s_waitcnt lgkmcnt(0)
	v_mov_b32_e32 v8, s12
	v_mov_b32_e32 v9, s13
	;; [unrolled: 1-line block ×5, first 2 shown]
	s_cmp_ge_u32 s2, s0
	s_mov_b64 s[8:9], 0
	ds_write_b128 v1, v[8:11]
	s_cbranch_scc1 .LBB283_17
; %bb.16:
	s_lshl_b32 s0, s3, 1
	s_add_i32 s0, s2, s0
	s_add_i32 s0, s0, 1
	s_mov_b32 s1, 0
	s_lshl_b64 s[0:1], s[0:1], 4
	s_add_u32 s0, s18, s0
	s_addc_u32 s1, s19, s1
	s_load_dwordx4 s[8:11], s[0:1], 0x0
.LBB283_17:
	s_lshl_b32 s0, s3, 1
	s_add_i32 s0, s0, s2
	s_mov_b32 s1, 0
	s_lshl_b64 s[2:3], s[0:1], 4
	s_add_u32 s2, s18, s2
	s_addc_u32 s3, s19, s3
	s_add_i32 s0, s0, s21
	s_lshl_b64 s[0:1], s[0:1], 4
	s_add_u32 s0, s18, s0
	s_addc_u32 s1, s19, s1
	global_load_dwordx4 v[8:11], v1, s[2:3]
	global_load_dwordx4 v[12:15], v1, s[0:1]
	s_waitcnt lgkmcnt(0)
	v_mov_b32_e32 v16, s8
	v_mov_b32_e32 v17, s9
	;; [unrolled: 1-line block ×4, first 2 shown]
	ds_write_b128 v1, v[16:19] offset:8208
	s_waitcnt vmcnt(1)
	ds_write_b128 v1, v[8:11] offset:4112
	s_waitcnt vmcnt(0)
	ds_write_b128 v1, v[12:15] offset:4096
.LBB283_18:
	s_or_b64 exec, exec, s[16:17]
	v_add_u32_e32 v1, 16, v6
	v_add_u32_e32 v3, 0x1010, v6
	s_waitcnt lgkmcnt(0)
	s_barrier
	s_and_saveexec_b64 s[0:1], s[4:5]
	s_cbranch_execz .LBB283_20
; %bb.19:
	v_mov_b32_e32 v34, 0
	ds_read_b128 v[4:7], v34 offset:8208
	ds_read_b128 v[8:11], v34 offset:14352
	;; [unrolled: 1-line block ×5, first 2 shown]
	ds_read_b128 v[24:27], v34
	ds_read_b128 v[28:31], v34 offset:22544
	s_waitcnt lgkmcnt(5)
	v_mul_f64 v[32:33], v[6:7], -v[10:11]
	v_fmac_f64_e32 v[32:33], v[8:9], v[4:5]
	v_mul_f64 v[8:9], v[6:7], v[8:9]
	v_fmac_f64_e32 v[8:9], v[10:11], v[4:5]
	s_waitcnt lgkmcnt(4)
	v_add_f64 v[12:13], v[12:13], -v[32:33]
	s_waitcnt lgkmcnt(0)
	v_mul_f64 v[32:33], v[26:27], -v[30:31]
	v_add_f64 v[14:15], v[14:15], -v[8:9]
	ds_read_b128 v[8:11], v34 offset:18464
	v_fmac_f64_e32 v[32:33], v[28:29], v[24:25]
	v_mul_f64 v[28:29], v[26:27], v[28:29]
	v_fmac_f64_e32 v[28:29], v[30:31], v[24:25]
	v_add_f64 v[12:13], v[12:13], -v[32:33]
	v_add_f64 v[14:15], v[14:15], -v[28:29]
	ds_write_b128 v34, v[12:15] offset:2048
	v_mul_f64 v[12:13], v[6:7], -v[18:19]
	v_fmac_f64_e32 v[12:13], v[16:17], v[4:5]
	v_mul_f64 v[6:7], v[6:7], v[16:17]
	v_fmac_f64_e32 v[6:7], v[18:19], v[4:5]
	v_add_f64 v[4:5], v[20:21], -v[12:13]
	s_waitcnt lgkmcnt(1)
	v_mul_f64 v[12:13], v[26:27], -v[10:11]
	v_fmac_f64_e32 v[12:13], v[8:9], v[24:25]
	v_mul_f64 v[8:9], v[26:27], v[8:9]
	v_add_f64 v[6:7], v[22:23], -v[6:7]
	v_fmac_f64_e32 v[8:9], v[10:11], v[24:25]
	v_add_f64 v[4:5], v[4:5], -v[12:13]
	v_add_f64 v[6:7], v[6:7], -v[8:9]
	ds_write_b128 v34, v[4:7] offset:6160
.LBB283_20:
	s_or_b64 exec, exec, s[0:1]
	v_cmp_gt_u32_e64 s[0:1], 2, v0
	s_waitcnt lgkmcnt(0)
	s_barrier
	s_and_saveexec_b64 s[2:3], s[0:1]
	s_cbranch_execz .LBB283_22
; %bb.21:
	v_lshlrev_b32_e32 v34, 11, v0
	ds_read_b128 v[4:7], v34 offset:6160
	ds_read_b128 v[8:11], v34 offset:13328
	ds_read_b128 v[12:15], v34 offset:1024
	ds_read_b128 v[16:19], v34 offset:9248
	ds_read_b128 v[20:23], v34 offset:5136
	ds_read_b128 v[24:27], v34
	ds_read_b128 v[28:31], v34 offset:21520
	s_waitcnt lgkmcnt(5)
	v_mul_f64 v[32:33], v[6:7], -v[10:11]
	v_fmac_f64_e32 v[32:33], v[8:9], v[4:5]
	v_mul_f64 v[8:9], v[6:7], v[8:9]
	v_fmac_f64_e32 v[8:9], v[10:11], v[4:5]
	s_waitcnt lgkmcnt(4)
	v_add_f64 v[12:13], v[12:13], -v[32:33]
	s_waitcnt lgkmcnt(0)
	v_mul_f64 v[32:33], v[26:27], -v[30:31]
	v_add_f64 v[14:15], v[14:15], -v[8:9]
	ds_read_b128 v[8:11], v34 offset:17440
	v_fmac_f64_e32 v[32:33], v[28:29], v[24:25]
	v_mul_f64 v[28:29], v[26:27], v[28:29]
	v_fmac_f64_e32 v[28:29], v[30:31], v[24:25]
	v_add_f64 v[12:13], v[12:13], -v[32:33]
	v_add_f64 v[14:15], v[14:15], -v[28:29]
	ds_write_b128 v34, v[12:15] offset:1024
	v_mul_f64 v[12:13], v[6:7], -v[18:19]
	v_fmac_f64_e32 v[12:13], v[16:17], v[4:5]
	v_mul_f64 v[6:7], v[6:7], v[16:17]
	v_fmac_f64_e32 v[6:7], v[18:19], v[4:5]
	v_add_f64 v[4:5], v[20:21], -v[12:13]
	s_waitcnt lgkmcnt(1)
	v_mul_f64 v[12:13], v[26:27], -v[10:11]
	v_fmac_f64_e32 v[12:13], v[8:9], v[24:25]
	v_mul_f64 v[8:9], v[26:27], v[8:9]
	v_add_f64 v[6:7], v[22:23], -v[6:7]
	v_fmac_f64_e32 v[8:9], v[10:11], v[24:25]
	v_add_f64 v[4:5], v[4:5], -v[12:13]
	v_add_f64 v[6:7], v[6:7], -v[8:9]
	ds_write_b128 v34, v[4:7] offset:5136
.LBB283_22:
	s_or_b64 exec, exec, s[2:3]
	v_cmp_gt_u32_e64 s[0:1], 4, v0
	s_waitcnt lgkmcnt(0)
	s_barrier
	s_and_saveexec_b64 s[2:3], s[0:1]
	s_cbranch_execz .LBB283_24
; %bb.23:
	v_lshlrev_b32_e32 v34, 10, v0
	ds_read_b128 v[4:7], v34 offset:5136
	ds_read_b128 v[8:11], v34 offset:12816
	ds_read_b128 v[12:15], v34 offset:512
	ds_read_b128 v[16:19], v34 offset:8736
	ds_read_b128 v[20:23], v34 offset:4624
	ds_read_b128 v[24:27], v34
	ds_read_b128 v[28:31], v34 offset:21008
	s_waitcnt lgkmcnt(5)
	v_mul_f64 v[32:33], v[6:7], -v[10:11]
	v_fmac_f64_e32 v[32:33], v[8:9], v[4:5]
	v_mul_f64 v[8:9], v[6:7], v[8:9]
	v_fmac_f64_e32 v[8:9], v[10:11], v[4:5]
	s_waitcnt lgkmcnt(4)
	v_add_f64 v[12:13], v[12:13], -v[32:33]
	s_waitcnt lgkmcnt(0)
	v_mul_f64 v[32:33], v[26:27], -v[30:31]
	v_add_f64 v[14:15], v[14:15], -v[8:9]
	ds_read_b128 v[8:11], v34 offset:16928
	v_fmac_f64_e32 v[32:33], v[28:29], v[24:25]
	v_mul_f64 v[28:29], v[26:27], v[28:29]
	v_fmac_f64_e32 v[28:29], v[30:31], v[24:25]
	v_add_f64 v[12:13], v[12:13], -v[32:33]
	v_add_f64 v[14:15], v[14:15], -v[28:29]
	ds_write_b128 v34, v[12:15] offset:512
	v_mul_f64 v[12:13], v[6:7], -v[18:19]
	v_fmac_f64_e32 v[12:13], v[16:17], v[4:5]
	v_mul_f64 v[6:7], v[6:7], v[16:17]
	v_fmac_f64_e32 v[6:7], v[18:19], v[4:5]
	v_add_f64 v[4:5], v[20:21], -v[12:13]
	s_waitcnt lgkmcnt(1)
	v_mul_f64 v[12:13], v[26:27], -v[10:11]
	v_fmac_f64_e32 v[12:13], v[8:9], v[24:25]
	v_mul_f64 v[8:9], v[26:27], v[8:9]
	v_add_f64 v[6:7], v[22:23], -v[6:7]
	v_fmac_f64_e32 v[8:9], v[10:11], v[24:25]
	v_add_f64 v[4:5], v[4:5], -v[12:13]
	v_add_f64 v[6:7], v[6:7], -v[8:9]
	ds_write_b128 v34, v[4:7] offset:4624
.LBB283_24:
	;; [unrolled: 47-line block ×5, first 2 shown]
	s_or_b64 exec, exec, s[2:3]
	v_cmp_gt_u32_e64 s[0:1], 64, v0
	s_waitcnt lgkmcnt(0)
	s_barrier
	s_and_saveexec_b64 s[2:3], s[0:1]
	s_cbranch_execz .LBB283_32
; %bb.31:
	v_lshlrev_b32_e32 v34, 6, v0
	ds_read_b128 v[4:7], v34 offset:4176
	ds_read_b128 v[8:11], v34 offset:12336
	;; [unrolled: 1-line block ×4, first 2 shown]
	ds_read_b128 v[20:23], v34
	ds_read_b128 v[24:27], v34 offset:32
	ds_read_b128 v[28:31], v34 offset:20528
	s_waitcnt lgkmcnt(5)
	v_mul_f64 v[32:33], v[6:7], -v[10:11]
	v_fmac_f64_e32 v[32:33], v[8:9], v[4:5]
	v_mul_f64 v[8:9], v[6:7], v[8:9]
	v_fmac_f64_e32 v[8:9], v[10:11], v[4:5]
	s_waitcnt lgkmcnt(1)
	v_add_f64 v[24:25], v[24:25], -v[32:33]
	v_add_f64 v[26:27], v[26:27], -v[8:9]
	ds_read_b128 v[8:11], v34 offset:16448
	s_waitcnt lgkmcnt(1)
	v_mul_f64 v[32:33], v[22:23], -v[30:31]
	v_fmac_f64_e32 v[32:33], v[28:29], v[20:21]
	v_mul_f64 v[28:29], v[22:23], v[28:29]
	v_fmac_f64_e32 v[28:29], v[30:31], v[20:21]
	v_add_f64 v[24:25], v[24:25], -v[32:33]
	v_add_f64 v[26:27], v[26:27], -v[28:29]
	ds_write_b128 v34, v[24:27] offset:32
	v_mul_f64 v[24:25], v[6:7], -v[14:15]
	v_fmac_f64_e32 v[24:25], v[12:13], v[4:5]
	v_mul_f64 v[6:7], v[6:7], v[12:13]
	s_waitcnt lgkmcnt(1)
	v_mul_f64 v[12:13], v[22:23], -v[10:11]
	v_fmac_f64_e32 v[6:7], v[14:15], v[4:5]
	v_fmac_f64_e32 v[12:13], v[8:9], v[20:21]
	v_mul_f64 v[8:9], v[22:23], v[8:9]
	v_add_f64 v[4:5], v[16:17], -v[24:25]
	v_add_f64 v[6:7], v[18:19], -v[6:7]
	v_fmac_f64_e32 v[8:9], v[10:11], v[20:21]
	v_add_f64 v[4:5], v[4:5], -v[12:13]
	v_add_f64 v[6:7], v[6:7], -v[8:9]
	ds_write_b128 v34, v[4:7] offset:4144
.LBB283_32:
	s_or_b64 exec, exec, s[2:3]
	s_movk_i32 s0, 0x80
	v_cmp_gt_u32_e64 s[0:1], s0, v0
	s_waitcnt lgkmcnt(0)
	s_barrier
	s_and_saveexec_b64 s[2:3], s[0:1]
	s_cbranch_execz .LBB283_34
; %bb.33:
	v_lshlrev_b32_e32 v0, 5, v0
	ds_read_b128 v[4:7], v0 offset:4144
	ds_read_b128 v[8:11], v0 offset:12320
	;; [unrolled: 1-line block ×4, first 2 shown]
	ds_read_b128 v[20:23], v0
	ds_read_b128 v[24:27], v0 offset:16
	ds_read_b128 v[28:31], v0 offset:20512
	s_waitcnt lgkmcnt(5)
	v_mul_f64 v[32:33], v[6:7], -v[10:11]
	v_fmac_f64_e32 v[32:33], v[8:9], v[4:5]
	v_mul_f64 v[8:9], v[6:7], v[8:9]
	v_fmac_f64_e32 v[8:9], v[10:11], v[4:5]
	s_waitcnt lgkmcnt(1)
	v_add_f64 v[24:25], v[24:25], -v[32:33]
	v_add_f64 v[26:27], v[26:27], -v[8:9]
	ds_read_b128 v[8:11], v0 offset:16432
	s_waitcnt lgkmcnt(1)
	v_mul_f64 v[32:33], v[22:23], -v[30:31]
	v_fmac_f64_e32 v[32:33], v[28:29], v[20:21]
	v_mul_f64 v[28:29], v[22:23], v[28:29]
	v_fmac_f64_e32 v[28:29], v[30:31], v[20:21]
	v_add_f64 v[24:25], v[24:25], -v[32:33]
	v_add_f64 v[26:27], v[26:27], -v[28:29]
	ds_write_b128 v0, v[24:27] offset:16
	v_mul_f64 v[24:25], v[6:7], -v[14:15]
	v_fmac_f64_e32 v[24:25], v[12:13], v[4:5]
	v_mul_f64 v[6:7], v[6:7], v[12:13]
	s_waitcnt lgkmcnt(1)
	v_mul_f64 v[12:13], v[22:23], -v[10:11]
	v_fmac_f64_e32 v[6:7], v[14:15], v[4:5]
	v_fmac_f64_e32 v[12:13], v[8:9], v[20:21]
	v_mul_f64 v[8:9], v[22:23], v[8:9]
	v_add_f64 v[4:5], v[16:17], -v[24:25]
	v_add_f64 v[6:7], v[18:19], -v[6:7]
	v_fmac_f64_e32 v[8:9], v[10:11], v[20:21]
	v_add_f64 v[4:5], v[4:5], -v[12:13]
	v_add_f64 v[6:7], v[6:7], -v[8:9]
	ds_write_b128 v0, v[4:7] offset:4128
.LBB283_34:
	s_or_b64 exec, exec, s[2:3]
	s_waitcnt lgkmcnt(0)
	s_barrier
	s_and_saveexec_b64 s[0:1], vcc
	s_cbranch_execz .LBB283_36
; %bb.35:
	ds_read2_b64 v[4:7], v3 offset1:1
	ds_read2_b64 v[8:11], v1 offset1:1
	v_ashrrev_i32_e32 v3, 31, v2
	v_add_u32_e32 v0, s20, v2
	v_mov_b32_e32 v1, 0
	v_lshl_add_u64 v[2:3], v[2:3], 4, s[6:7]
	v_lshl_add_u64 v[0:1], v[0:1], 4, s[6:7]
	s_waitcnt lgkmcnt(1)
	global_store_dwordx4 v[2:3], v[4:7], off
	s_waitcnt lgkmcnt(0)
	global_store_dwordx4 v[0:1], v[8:11], off
.LBB283_36:
	s_endpgm
	.section	.rodata,"a",@progbits
	.p2align	6, 0x0
	.amdhsa_kernel _ZN9rocsparseL33gtsv_solve_spike_propagate_kernelILj256ELj2E21rocsparse_complex_numIdEEEviiiPT1_PKS3_S6_S6_
		.amdhsa_group_segment_fixed_size 24608
		.amdhsa_private_segment_fixed_size 0
		.amdhsa_kernarg_size 304
		.amdhsa_user_sgpr_count 2
		.amdhsa_user_sgpr_dispatch_ptr 0
		.amdhsa_user_sgpr_queue_ptr 0
		.amdhsa_user_sgpr_kernarg_segment_ptr 1
		.amdhsa_user_sgpr_dispatch_id 0
		.amdhsa_user_sgpr_kernarg_preload_length 0
		.amdhsa_user_sgpr_kernarg_preload_offset 0
		.amdhsa_user_sgpr_private_segment_size 0
		.amdhsa_uses_dynamic_stack 0
		.amdhsa_enable_private_segment 0
		.amdhsa_system_sgpr_workgroup_id_x 1
		.amdhsa_system_sgpr_workgroup_id_y 1
		.amdhsa_system_sgpr_workgroup_id_z 0
		.amdhsa_system_sgpr_workgroup_info 0
		.amdhsa_system_vgpr_workitem_id 0
		.amdhsa_next_free_vgpr 73
		.amdhsa_next_free_sgpr 91
		.amdhsa_accum_offset 36
		.amdhsa_reserve_vcc 1
		.amdhsa_float_round_mode_32 0
		.amdhsa_float_round_mode_16_64 0
		.amdhsa_float_denorm_mode_32 3
		.amdhsa_float_denorm_mode_16_64 3
		.amdhsa_dx10_clamp 1
		.amdhsa_ieee_mode 1
		.amdhsa_fp16_overflow 0
		.amdhsa_tg_split 0
		.amdhsa_exception_fp_ieee_invalid_op 0
		.amdhsa_exception_fp_denorm_src 0
		.amdhsa_exception_fp_ieee_div_zero 0
		.amdhsa_exception_fp_ieee_overflow 0
		.amdhsa_exception_fp_ieee_underflow 0
		.amdhsa_exception_fp_ieee_inexact 0
		.amdhsa_exception_int_div_zero 0
	.end_amdhsa_kernel
	.section	.text._ZN9rocsparseL33gtsv_solve_spike_propagate_kernelILj256ELj2E21rocsparse_complex_numIdEEEviiiPT1_PKS3_S6_S6_,"axG",@progbits,_ZN9rocsparseL33gtsv_solve_spike_propagate_kernelILj256ELj2E21rocsparse_complex_numIdEEEviiiPT1_PKS3_S6_S6_,comdat
.Lfunc_end283:
	.size	_ZN9rocsparseL33gtsv_solve_spike_propagate_kernelILj256ELj2E21rocsparse_complex_numIdEEEviiiPT1_PKS3_S6_S6_, .Lfunc_end283-_ZN9rocsparseL33gtsv_solve_spike_propagate_kernelILj256ELj2E21rocsparse_complex_numIdEEEviiiPT1_PKS3_S6_S6_
                                        ; -- End function
	.set _ZN9rocsparseL33gtsv_solve_spike_propagate_kernelILj256ELj2E21rocsparse_complex_numIdEEEviiiPT1_PKS3_S6_S6_.num_vgpr, 35
	.set _ZN9rocsparseL33gtsv_solve_spike_propagate_kernelILj256ELj2E21rocsparse_complex_numIdEEEviiiPT1_PKS3_S6_S6_.num_agpr, 0
	.set _ZN9rocsparseL33gtsv_solve_spike_propagate_kernelILj256ELj2E21rocsparse_complex_numIdEEEviiiPT1_PKS3_S6_S6_.numbered_sgpr, 22
	.set _ZN9rocsparseL33gtsv_solve_spike_propagate_kernelILj256ELj2E21rocsparse_complex_numIdEEEviiiPT1_PKS3_S6_S6_.num_named_barrier, 0
	.set _ZN9rocsparseL33gtsv_solve_spike_propagate_kernelILj256ELj2E21rocsparse_complex_numIdEEEviiiPT1_PKS3_S6_S6_.private_seg_size, 0
	.set _ZN9rocsparseL33gtsv_solve_spike_propagate_kernelILj256ELj2E21rocsparse_complex_numIdEEEviiiPT1_PKS3_S6_S6_.uses_vcc, 1
	.set _ZN9rocsparseL33gtsv_solve_spike_propagate_kernelILj256ELj2E21rocsparse_complex_numIdEEEviiiPT1_PKS3_S6_S6_.uses_flat_scratch, 0
	.set _ZN9rocsparseL33gtsv_solve_spike_propagate_kernelILj256ELj2E21rocsparse_complex_numIdEEEviiiPT1_PKS3_S6_S6_.has_dyn_sized_stack, 0
	.set _ZN9rocsparseL33gtsv_solve_spike_propagate_kernelILj256ELj2E21rocsparse_complex_numIdEEEviiiPT1_PKS3_S6_S6_.has_recursion, 0
	.set _ZN9rocsparseL33gtsv_solve_spike_propagate_kernelILj256ELj2E21rocsparse_complex_numIdEEEviiiPT1_PKS3_S6_S6_.has_indirect_call, 0
	.section	.AMDGPU.csdata,"",@progbits
; Kernel info:
; codeLenInByte = 3144
; TotalNumSgprs: 28
; NumVgprs: 35
; NumAgprs: 0
; TotalNumVgprs: 35
; ScratchSize: 0
; MemoryBound: 0
; FloatMode: 240
; IeeeMode: 1
; LDSByteSize: 24608 bytes/workgroup (compile time only)
; SGPRBlocks: 12
; VGPRBlocks: 9
; NumSGPRsForWavesPerEU: 97
; NumVGPRsForWavesPerEU: 73
; AccumOffset: 36
; Occupancy: 6
; WaveLimiterHint : 0
; COMPUTE_PGM_RSRC2:SCRATCH_EN: 0
; COMPUTE_PGM_RSRC2:USER_SGPR: 2
; COMPUTE_PGM_RSRC2:TRAP_HANDLER: 0
; COMPUTE_PGM_RSRC2:TGID_X_EN: 1
; COMPUTE_PGM_RSRC2:TGID_Y_EN: 1
; COMPUTE_PGM_RSRC2:TGID_Z_EN: 0
; COMPUTE_PGM_RSRC2:TIDIG_COMP_CNT: 0
; COMPUTE_PGM_RSRC3_GFX90A:ACCUM_OFFSET: 8
; COMPUTE_PGM_RSRC3_GFX90A:TG_SPLIT: 0
	.section	.text._ZN9rocsparseL39gtsv_spike_backward_substitution_kernelILj256ELj2E21rocsparse_complex_numIdEEEviiiPT1_PKS3_S6_,"axG",@progbits,_ZN9rocsparseL39gtsv_spike_backward_substitution_kernelILj256ELj2E21rocsparse_complex_numIdEEEviiiPT1_PKS3_S6_,comdat
	.globl	_ZN9rocsparseL39gtsv_spike_backward_substitution_kernelILj256ELj2E21rocsparse_complex_numIdEEEviiiPT1_PKS3_S6_ ; -- Begin function _ZN9rocsparseL39gtsv_spike_backward_substitution_kernelILj256ELj2E21rocsparse_complex_numIdEEEviiiPT1_PKS3_S6_
	.p2align	8
	.type	_ZN9rocsparseL39gtsv_spike_backward_substitution_kernelILj256ELj2E21rocsparse_complex_numIdEEEviiiPT1_PKS3_S6_,@function
_ZN9rocsparseL39gtsv_spike_backward_substitution_kernelILj256ELj2E21rocsparse_complex_numIdEEEviiiPT1_PKS3_S6_: ; @_ZN9rocsparseL39gtsv_spike_backward_substitution_kernelILj256ELj2E21rocsparse_complex_numIdEEEviiiPT1_PKS3_S6_
; %bb.0:
	s_endpgm
	.section	.rodata,"a",@progbits
	.p2align	6, 0x0
	.amdhsa_kernel _ZN9rocsparseL39gtsv_spike_backward_substitution_kernelILj256ELj2E21rocsparse_complex_numIdEEEviiiPT1_PKS3_S6_
		.amdhsa_group_segment_fixed_size 0
		.amdhsa_private_segment_fixed_size 0
		.amdhsa_kernarg_size 40
		.amdhsa_user_sgpr_count 2
		.amdhsa_user_sgpr_dispatch_ptr 0
		.amdhsa_user_sgpr_queue_ptr 0
		.amdhsa_user_sgpr_kernarg_segment_ptr 1
		.amdhsa_user_sgpr_dispatch_id 0
		.amdhsa_user_sgpr_kernarg_preload_length 0
		.amdhsa_user_sgpr_kernarg_preload_offset 0
		.amdhsa_user_sgpr_private_segment_size 0
		.amdhsa_uses_dynamic_stack 0
		.amdhsa_enable_private_segment 0
		.amdhsa_system_sgpr_workgroup_id_x 1
		.amdhsa_system_sgpr_workgroup_id_y 0
		.amdhsa_system_sgpr_workgroup_id_z 0
		.amdhsa_system_sgpr_workgroup_info 0
		.amdhsa_system_vgpr_workitem_id 0
		.amdhsa_next_free_vgpr 1
		.amdhsa_next_free_sgpr 0
		.amdhsa_accum_offset 4
		.amdhsa_reserve_vcc 0
		.amdhsa_float_round_mode_32 0
		.amdhsa_float_round_mode_16_64 0
		.amdhsa_float_denorm_mode_32 3
		.amdhsa_float_denorm_mode_16_64 3
		.amdhsa_dx10_clamp 1
		.amdhsa_ieee_mode 1
		.amdhsa_fp16_overflow 0
		.amdhsa_tg_split 0
		.amdhsa_exception_fp_ieee_invalid_op 0
		.amdhsa_exception_fp_denorm_src 0
		.amdhsa_exception_fp_ieee_div_zero 0
		.amdhsa_exception_fp_ieee_overflow 0
		.amdhsa_exception_fp_ieee_underflow 0
		.amdhsa_exception_fp_ieee_inexact 0
		.amdhsa_exception_int_div_zero 0
	.end_amdhsa_kernel
	.section	.text._ZN9rocsparseL39gtsv_spike_backward_substitution_kernelILj256ELj2E21rocsparse_complex_numIdEEEviiiPT1_PKS3_S6_,"axG",@progbits,_ZN9rocsparseL39gtsv_spike_backward_substitution_kernelILj256ELj2E21rocsparse_complex_numIdEEEviiiPT1_PKS3_S6_,comdat
.Lfunc_end284:
	.size	_ZN9rocsparseL39gtsv_spike_backward_substitution_kernelILj256ELj2E21rocsparse_complex_numIdEEEviiiPT1_PKS3_S6_, .Lfunc_end284-_ZN9rocsparseL39gtsv_spike_backward_substitution_kernelILj256ELj2E21rocsparse_complex_numIdEEEviiiPT1_PKS3_S6_
                                        ; -- End function
	.set _ZN9rocsparseL39gtsv_spike_backward_substitution_kernelILj256ELj2E21rocsparse_complex_numIdEEEviiiPT1_PKS3_S6_.num_vgpr, 0
	.set _ZN9rocsparseL39gtsv_spike_backward_substitution_kernelILj256ELj2E21rocsparse_complex_numIdEEEviiiPT1_PKS3_S6_.num_agpr, 0
	.set _ZN9rocsparseL39gtsv_spike_backward_substitution_kernelILj256ELj2E21rocsparse_complex_numIdEEEviiiPT1_PKS3_S6_.numbered_sgpr, 0
	.set _ZN9rocsparseL39gtsv_spike_backward_substitution_kernelILj256ELj2E21rocsparse_complex_numIdEEEviiiPT1_PKS3_S6_.num_named_barrier, 0
	.set _ZN9rocsparseL39gtsv_spike_backward_substitution_kernelILj256ELj2E21rocsparse_complex_numIdEEEviiiPT1_PKS3_S6_.private_seg_size, 0
	.set _ZN9rocsparseL39gtsv_spike_backward_substitution_kernelILj256ELj2E21rocsparse_complex_numIdEEEviiiPT1_PKS3_S6_.uses_vcc, 0
	.set _ZN9rocsparseL39gtsv_spike_backward_substitution_kernelILj256ELj2E21rocsparse_complex_numIdEEEviiiPT1_PKS3_S6_.uses_flat_scratch, 0
	.set _ZN9rocsparseL39gtsv_spike_backward_substitution_kernelILj256ELj2E21rocsparse_complex_numIdEEEviiiPT1_PKS3_S6_.has_dyn_sized_stack, 0
	.set _ZN9rocsparseL39gtsv_spike_backward_substitution_kernelILj256ELj2E21rocsparse_complex_numIdEEEviiiPT1_PKS3_S6_.has_recursion, 0
	.set _ZN9rocsparseL39gtsv_spike_backward_substitution_kernelILj256ELj2E21rocsparse_complex_numIdEEEviiiPT1_PKS3_S6_.has_indirect_call, 0
	.section	.AMDGPU.csdata,"",@progbits
; Kernel info:
; codeLenInByte = 4
; TotalNumSgprs: 6
; NumVgprs: 0
; NumAgprs: 0
; TotalNumVgprs: 0
; ScratchSize: 0
; MemoryBound: 0
; FloatMode: 240
; IeeeMode: 1
; LDSByteSize: 0 bytes/workgroup (compile time only)
; SGPRBlocks: 0
; VGPRBlocks: 0
; NumSGPRsForWavesPerEU: 6
; NumVGPRsForWavesPerEU: 1
; AccumOffset: 4
; Occupancy: 8
; WaveLimiterHint : 0
; COMPUTE_PGM_RSRC2:SCRATCH_EN: 0
; COMPUTE_PGM_RSRC2:USER_SGPR: 2
; COMPUTE_PGM_RSRC2:TRAP_HANDLER: 0
; COMPUTE_PGM_RSRC2:TGID_X_EN: 1
; COMPUTE_PGM_RSRC2:TGID_Y_EN: 0
; COMPUTE_PGM_RSRC2:TGID_Z_EN: 0
; COMPUTE_PGM_RSRC2:TIDIG_COMP_CNT: 0
; COMPUTE_PGM_RSRC3_GFX90A:ACCUM_OFFSET: 0
; COMPUTE_PGM_RSRC3_GFX90A:TG_SPLIT: 0
	.section	.text._ZN9rocsparseL32gtsv_transpose_back_array_kernelILj256ELj2E21rocsparse_complex_numIdEEEviiiPKT1_PS3_,"axG",@progbits,_ZN9rocsparseL32gtsv_transpose_back_array_kernelILj256ELj2E21rocsparse_complex_numIdEEEviiiPKT1_PS3_,comdat
	.globl	_ZN9rocsparseL32gtsv_transpose_back_array_kernelILj256ELj2E21rocsparse_complex_numIdEEEviiiPKT1_PS3_ ; -- Begin function _ZN9rocsparseL32gtsv_transpose_back_array_kernelILj256ELj2E21rocsparse_complex_numIdEEEviiiPKT1_PS3_
	.p2align	8
	.type	_ZN9rocsparseL32gtsv_transpose_back_array_kernelILj256ELj2E21rocsparse_complex_numIdEEEviiiPKT1_PS3_,@function
_ZN9rocsparseL32gtsv_transpose_back_array_kernelILj256ELj2E21rocsparse_complex_numIdEEEviiiPKT1_PS3_: ; @_ZN9rocsparseL32gtsv_transpose_back_array_kernelILj256ELj2E21rocsparse_complex_numIdEEEviiiPKT1_PS3_
; %bb.0:
	s_load_dwordx4 s[4:7], s[0:1], 0x0
	v_lshl_or_b32 v0, s2, 8, v0
	v_lshlrev_b32_e32 v2, 1, v0
	s_waitcnt lgkmcnt(0)
	v_cvt_f32_u32_e32 v1, s5
	s_sub_i32 s2, 0, s5
	v_rcp_iflag_f32_e32 v1, v1
	s_nop 0
	v_mul_f32_e32 v1, 0x4f7ffffe, v1
	v_cvt_u32_f32_e32 v1, v1
	v_mul_lo_u32 v3, s2, v1
	v_mul_hi_u32 v3, v1, v3
	v_add_u32_e32 v1, v1, v3
	v_mul_hi_u32 v1, v2, v1
	v_mul_lo_u32 v3, v1, s5
	v_sub_u32_e32 v3, v2, v3
	v_add_u32_e32 v4, 1, v1
	v_cmp_le_u32_e32 vcc, s5, v3
	s_nop 1
	v_cndmask_b32_e32 v1, v1, v4, vcc
	v_subrev_u32_e32 v4, s5, v3
	v_cndmask_b32_e32 v3, v3, v4, vcc
	v_add_u32_e32 v4, 1, v1
	v_cmp_le_u32_e32 vcc, s5, v3
	s_nop 1
	v_cndmask_b32_e32 v1, v1, v4, vcc
	v_mul_lo_u32 v3, v1, s5
	v_sub_u32_e32 v2, v2, v3
	v_add_u32_e32 v1, v1, v2
	v_cmp_gt_i32_e32 vcc, s4, v1
	s_and_saveexec_b64 s[8:9], vcc
	s_cbranch_execz .LBB285_2
; %bb.1:
	s_load_dwordx4 s[8:11], s[0:1], 0x10
	s_mul_i32 s0, s5, s3
	v_add_u32_e32 v2, s0, v0
	v_ashrrev_i32_e32 v3, 31, v2
	s_mul_i32 s0, s6, s3
	s_waitcnt lgkmcnt(0)
	v_lshl_add_u64 v[2:3], v[2:3], 4, s[8:9]
	global_load_dwordx4 v[2:5], v[2:3], off
	v_add_u32_e32 v0, s0, v1
	v_ashrrev_i32_e32 v1, 31, v0
	v_lshl_add_u64 v[0:1], v[0:1], 4, s[10:11]
	s_waitcnt vmcnt(0)
	global_store_dwordx4 v[0:1], v[2:5], off
.LBB285_2:
	s_endpgm
	.section	.rodata,"a",@progbits
	.p2align	6, 0x0
	.amdhsa_kernel _ZN9rocsparseL32gtsv_transpose_back_array_kernelILj256ELj2E21rocsparse_complex_numIdEEEviiiPKT1_PS3_
		.amdhsa_group_segment_fixed_size 0
		.amdhsa_private_segment_fixed_size 0
		.amdhsa_kernarg_size 32
		.amdhsa_user_sgpr_count 2
		.amdhsa_user_sgpr_dispatch_ptr 0
		.amdhsa_user_sgpr_queue_ptr 0
		.amdhsa_user_sgpr_kernarg_segment_ptr 1
		.amdhsa_user_sgpr_dispatch_id 0
		.amdhsa_user_sgpr_kernarg_preload_length 0
		.amdhsa_user_sgpr_kernarg_preload_offset 0
		.amdhsa_user_sgpr_private_segment_size 0
		.amdhsa_uses_dynamic_stack 0
		.amdhsa_enable_private_segment 0
		.amdhsa_system_sgpr_workgroup_id_x 1
		.amdhsa_system_sgpr_workgroup_id_y 1
		.amdhsa_system_sgpr_workgroup_id_z 0
		.amdhsa_system_sgpr_workgroup_info 0
		.amdhsa_system_vgpr_workitem_id 0
		.amdhsa_next_free_vgpr 6
		.amdhsa_next_free_sgpr 12
		.amdhsa_accum_offset 8
		.amdhsa_reserve_vcc 1
		.amdhsa_float_round_mode_32 0
		.amdhsa_float_round_mode_16_64 0
		.amdhsa_float_denorm_mode_32 3
		.amdhsa_float_denorm_mode_16_64 3
		.amdhsa_dx10_clamp 1
		.amdhsa_ieee_mode 1
		.amdhsa_fp16_overflow 0
		.amdhsa_tg_split 0
		.amdhsa_exception_fp_ieee_invalid_op 0
		.amdhsa_exception_fp_denorm_src 0
		.amdhsa_exception_fp_ieee_div_zero 0
		.amdhsa_exception_fp_ieee_overflow 0
		.amdhsa_exception_fp_ieee_underflow 0
		.amdhsa_exception_fp_ieee_inexact 0
		.amdhsa_exception_int_div_zero 0
	.end_amdhsa_kernel
	.section	.text._ZN9rocsparseL32gtsv_transpose_back_array_kernelILj256ELj2E21rocsparse_complex_numIdEEEviiiPKT1_PS3_,"axG",@progbits,_ZN9rocsparseL32gtsv_transpose_back_array_kernelILj256ELj2E21rocsparse_complex_numIdEEEviiiPKT1_PS3_,comdat
.Lfunc_end285:
	.size	_ZN9rocsparseL32gtsv_transpose_back_array_kernelILj256ELj2E21rocsparse_complex_numIdEEEviiiPKT1_PS3_, .Lfunc_end285-_ZN9rocsparseL32gtsv_transpose_back_array_kernelILj256ELj2E21rocsparse_complex_numIdEEEviiiPKT1_PS3_
                                        ; -- End function
	.set _ZN9rocsparseL32gtsv_transpose_back_array_kernelILj256ELj2E21rocsparse_complex_numIdEEEviiiPKT1_PS3_.num_vgpr, 6
	.set _ZN9rocsparseL32gtsv_transpose_back_array_kernelILj256ELj2E21rocsparse_complex_numIdEEEviiiPKT1_PS3_.num_agpr, 0
	.set _ZN9rocsparseL32gtsv_transpose_back_array_kernelILj256ELj2E21rocsparse_complex_numIdEEEviiiPKT1_PS3_.numbered_sgpr, 12
	.set _ZN9rocsparseL32gtsv_transpose_back_array_kernelILj256ELj2E21rocsparse_complex_numIdEEEviiiPKT1_PS3_.num_named_barrier, 0
	.set _ZN9rocsparseL32gtsv_transpose_back_array_kernelILj256ELj2E21rocsparse_complex_numIdEEEviiiPKT1_PS3_.private_seg_size, 0
	.set _ZN9rocsparseL32gtsv_transpose_back_array_kernelILj256ELj2E21rocsparse_complex_numIdEEEviiiPKT1_PS3_.uses_vcc, 1
	.set _ZN9rocsparseL32gtsv_transpose_back_array_kernelILj256ELj2E21rocsparse_complex_numIdEEEviiiPKT1_PS3_.uses_flat_scratch, 0
	.set _ZN9rocsparseL32gtsv_transpose_back_array_kernelILj256ELj2E21rocsparse_complex_numIdEEEviiiPKT1_PS3_.has_dyn_sized_stack, 0
	.set _ZN9rocsparseL32gtsv_transpose_back_array_kernelILj256ELj2E21rocsparse_complex_numIdEEEviiiPKT1_PS3_.has_recursion, 0
	.set _ZN9rocsparseL32gtsv_transpose_back_array_kernelILj256ELj2E21rocsparse_complex_numIdEEEviiiPKT1_PS3_.has_indirect_call, 0
	.section	.AMDGPU.csdata,"",@progbits
; Kernel info:
; codeLenInByte = 236
; TotalNumSgprs: 18
; NumVgprs: 6
; NumAgprs: 0
; TotalNumVgprs: 6
; ScratchSize: 0
; MemoryBound: 0
; FloatMode: 240
; IeeeMode: 1
; LDSByteSize: 0 bytes/workgroup (compile time only)
; SGPRBlocks: 2
; VGPRBlocks: 0
; NumSGPRsForWavesPerEU: 18
; NumVGPRsForWavesPerEU: 6
; AccumOffset: 8
; Occupancy: 8
; WaveLimiterHint : 0
; COMPUTE_PGM_RSRC2:SCRATCH_EN: 0
; COMPUTE_PGM_RSRC2:USER_SGPR: 2
; COMPUTE_PGM_RSRC2:TRAP_HANDLER: 0
; COMPUTE_PGM_RSRC2:TGID_X_EN: 1
; COMPUTE_PGM_RSRC2:TGID_Y_EN: 1
; COMPUTE_PGM_RSRC2:TGID_Z_EN: 0
; COMPUTE_PGM_RSRC2:TIDIG_COMP_CNT: 0
; COMPUTE_PGM_RSRC3_GFX90A:ACCUM_OFFSET: 1
; COMPUTE_PGM_RSRC3_GFX90A:TG_SPLIT: 0
	.section	.text._ZN9rocsparseL42gtsv_transpose_and_pad_array_shared_kernelILj256ELj4E21rocsparse_complex_numIdEEEviiiPKT1_PS3_S3_,"axG",@progbits,_ZN9rocsparseL42gtsv_transpose_and_pad_array_shared_kernelILj256ELj4E21rocsparse_complex_numIdEEEviiiPKT1_PS3_S3_,comdat
	.globl	_ZN9rocsparseL42gtsv_transpose_and_pad_array_shared_kernelILj256ELj4E21rocsparse_complex_numIdEEEviiiPKT1_PS3_S3_ ; -- Begin function _ZN9rocsparseL42gtsv_transpose_and_pad_array_shared_kernelILj256ELj4E21rocsparse_complex_numIdEEEviiiPKT1_PS3_S3_
	.p2align	8
	.type	_ZN9rocsparseL42gtsv_transpose_and_pad_array_shared_kernelILj256ELj4E21rocsparse_complex_numIdEEEviiiPKT1_PS3_S3_,@function
_ZN9rocsparseL42gtsv_transpose_and_pad_array_shared_kernelILj256ELj4E21rocsparse_complex_numIdEEEviiiPKT1_PS3_S3_: ; @_ZN9rocsparseL42gtsv_transpose_and_pad_array_shared_kernelILj256ELj4E21rocsparse_complex_numIdEEEviiiPKT1_PS3_S3_
; %bb.0:
	s_load_dwordx4 s[4:7], s[0:1], 0x0
	v_lshl_or_b32 v2, s2, 8, v0
	v_lshlrev_b32_e32 v1, 4, v0
	s_waitcnt lgkmcnt(0)
	v_cmp_le_i32_e32 vcc, s4, v2
	s_and_saveexec_b64 s[8:9], vcc
	s_xor_b64 s[8:9], exec, s[8:9]
	s_cbranch_execz .LBB286_2
; %bb.1:
	s_load_dwordx4 s[12:15], s[0:1], 0x20
	s_waitcnt lgkmcnt(0)
	v_mov_b64_e32 v[2:3], s[12:13]
	v_mov_b64_e32 v[4:5], s[14:15]
	ds_write_b128 v1, v[2:5]
                                        ; implicit-def: $vgpr2
                                        ; implicit-def: $vgpr1
.LBB286_2:
	s_andn2_saveexec_b64 s[8:9], s[8:9]
	s_cbranch_execz .LBB286_4
; %bb.3:
	s_load_dwordx2 s[10:11], s[0:1], 0x10
	s_mul_i32 s4, s6, s3
	v_add_u32_e32 v2, s4, v2
	v_ashrrev_i32_e32 v3, 31, v2
	s_waitcnt lgkmcnt(0)
	v_lshl_add_u64 v[2:3], v[2:3], 4, s[10:11]
	global_load_dwordx4 v[2:5], v[2:3], off
	s_waitcnt vmcnt(0)
	ds_write2_b64 v1, v[2:3], v[4:5] offset1:1
.LBB286_4:
	s_or_b64 exec, exec, s[8:9]
	v_and_b32_e32 v3, 63, v0
	v_lshrrev_b32_e32 v2, 6, v0
	s_lshr_b32 s4, s5, 2
	v_lshl_or_b32 v0, s2, 6, v3
	v_mad_u64_u32 v[0:1], s[6:7], s4, v2, v[0:1]
	v_cmp_gt_i32_e32 vcc, s5, v0
	s_waitcnt lgkmcnt(0)
	s_barrier
	s_and_saveexec_b64 s[6:7], vcc
	s_cbranch_execz .LBB286_6
; %bb.5:
	v_lshlrev_b32_e32 v1, 4, v2
	s_load_dwordx2 s[0:1], s[0:1], 0x18
	v_lshl_or_b32 v1, v3, 6, v1
	ds_read2_b64 v[2:5], v1 offset1:1
	s_mul_i32 s2, s5, s3
	v_add_u32_e32 v0, s2, v0
	v_ashrrev_i32_e32 v1, 31, v0
	s_waitcnt lgkmcnt(0)
	v_lshl_add_u64 v[0:1], v[0:1], 4, s[0:1]
	global_store_dwordx4 v[0:1], v[2:5], off
.LBB286_6:
	s_endpgm
	.section	.rodata,"a",@progbits
	.p2align	6, 0x0
	.amdhsa_kernel _ZN9rocsparseL42gtsv_transpose_and_pad_array_shared_kernelILj256ELj4E21rocsparse_complex_numIdEEEviiiPKT1_PS3_S3_
		.amdhsa_group_segment_fixed_size 4096
		.amdhsa_private_segment_fixed_size 0
		.amdhsa_kernarg_size 48
		.amdhsa_user_sgpr_count 2
		.amdhsa_user_sgpr_dispatch_ptr 0
		.amdhsa_user_sgpr_queue_ptr 0
		.amdhsa_user_sgpr_kernarg_segment_ptr 1
		.amdhsa_user_sgpr_dispatch_id 0
		.amdhsa_user_sgpr_kernarg_preload_length 0
		.amdhsa_user_sgpr_kernarg_preload_offset 0
		.amdhsa_user_sgpr_private_segment_size 0
		.amdhsa_uses_dynamic_stack 0
		.amdhsa_enable_private_segment 0
		.amdhsa_system_sgpr_workgroup_id_x 1
		.amdhsa_system_sgpr_workgroup_id_y 1
		.amdhsa_system_sgpr_workgroup_id_z 0
		.amdhsa_system_sgpr_workgroup_info 0
		.amdhsa_system_vgpr_workitem_id 0
		.amdhsa_next_free_vgpr 6
		.amdhsa_next_free_sgpr 16
		.amdhsa_accum_offset 8
		.amdhsa_reserve_vcc 1
		.amdhsa_float_round_mode_32 0
		.amdhsa_float_round_mode_16_64 0
		.amdhsa_float_denorm_mode_32 3
		.amdhsa_float_denorm_mode_16_64 3
		.amdhsa_dx10_clamp 1
		.amdhsa_ieee_mode 1
		.amdhsa_fp16_overflow 0
		.amdhsa_tg_split 0
		.amdhsa_exception_fp_ieee_invalid_op 0
		.amdhsa_exception_fp_denorm_src 0
		.amdhsa_exception_fp_ieee_div_zero 0
		.amdhsa_exception_fp_ieee_overflow 0
		.amdhsa_exception_fp_ieee_underflow 0
		.amdhsa_exception_fp_ieee_inexact 0
		.amdhsa_exception_int_div_zero 0
	.end_amdhsa_kernel
	.section	.text._ZN9rocsparseL42gtsv_transpose_and_pad_array_shared_kernelILj256ELj4E21rocsparse_complex_numIdEEEviiiPKT1_PS3_S3_,"axG",@progbits,_ZN9rocsparseL42gtsv_transpose_and_pad_array_shared_kernelILj256ELj4E21rocsparse_complex_numIdEEEviiiPKT1_PS3_S3_,comdat
.Lfunc_end286:
	.size	_ZN9rocsparseL42gtsv_transpose_and_pad_array_shared_kernelILj256ELj4E21rocsparse_complex_numIdEEEviiiPKT1_PS3_S3_, .Lfunc_end286-_ZN9rocsparseL42gtsv_transpose_and_pad_array_shared_kernelILj256ELj4E21rocsparse_complex_numIdEEEviiiPKT1_PS3_S3_
                                        ; -- End function
	.set _ZN9rocsparseL42gtsv_transpose_and_pad_array_shared_kernelILj256ELj4E21rocsparse_complex_numIdEEEviiiPKT1_PS3_S3_.num_vgpr, 6
	.set _ZN9rocsparseL42gtsv_transpose_and_pad_array_shared_kernelILj256ELj4E21rocsparse_complex_numIdEEEviiiPKT1_PS3_S3_.num_agpr, 0
	.set _ZN9rocsparseL42gtsv_transpose_and_pad_array_shared_kernelILj256ELj4E21rocsparse_complex_numIdEEEviiiPKT1_PS3_S3_.numbered_sgpr, 16
	.set _ZN9rocsparseL42gtsv_transpose_and_pad_array_shared_kernelILj256ELj4E21rocsparse_complex_numIdEEEviiiPKT1_PS3_S3_.num_named_barrier, 0
	.set _ZN9rocsparseL42gtsv_transpose_and_pad_array_shared_kernelILj256ELj4E21rocsparse_complex_numIdEEEviiiPKT1_PS3_S3_.private_seg_size, 0
	.set _ZN9rocsparseL42gtsv_transpose_and_pad_array_shared_kernelILj256ELj4E21rocsparse_complex_numIdEEEviiiPKT1_PS3_S3_.uses_vcc, 1
	.set _ZN9rocsparseL42gtsv_transpose_and_pad_array_shared_kernelILj256ELj4E21rocsparse_complex_numIdEEEviiiPKT1_PS3_S3_.uses_flat_scratch, 0
	.set _ZN9rocsparseL42gtsv_transpose_and_pad_array_shared_kernelILj256ELj4E21rocsparse_complex_numIdEEEviiiPKT1_PS3_S3_.has_dyn_sized_stack, 0
	.set _ZN9rocsparseL42gtsv_transpose_and_pad_array_shared_kernelILj256ELj4E21rocsparse_complex_numIdEEEviiiPKT1_PS3_S3_.has_recursion, 0
	.set _ZN9rocsparseL42gtsv_transpose_and_pad_array_shared_kernelILj256ELj4E21rocsparse_complex_numIdEEEviiiPKT1_PS3_S3_.has_indirect_call, 0
	.section	.AMDGPU.csdata,"",@progbits
; Kernel info:
; codeLenInByte = 244
; TotalNumSgprs: 22
; NumVgprs: 6
; NumAgprs: 0
; TotalNumVgprs: 6
; ScratchSize: 0
; MemoryBound: 0
; FloatMode: 240
; IeeeMode: 1
; LDSByteSize: 4096 bytes/workgroup (compile time only)
; SGPRBlocks: 2
; VGPRBlocks: 0
; NumSGPRsForWavesPerEU: 22
; NumVGPRsForWavesPerEU: 6
; AccumOffset: 8
; Occupancy: 8
; WaveLimiterHint : 0
; COMPUTE_PGM_RSRC2:SCRATCH_EN: 0
; COMPUTE_PGM_RSRC2:USER_SGPR: 2
; COMPUTE_PGM_RSRC2:TRAP_HANDLER: 0
; COMPUTE_PGM_RSRC2:TGID_X_EN: 1
; COMPUTE_PGM_RSRC2:TGID_Y_EN: 1
; COMPUTE_PGM_RSRC2:TGID_Z_EN: 0
; COMPUTE_PGM_RSRC2:TIDIG_COMP_CNT: 0
; COMPUTE_PGM_RSRC3_GFX90A:ACCUM_OFFSET: 1
; COMPUTE_PGM_RSRC3_GFX90A:TG_SPLIT: 0
	.section	.text._ZN9rocsparseL18gtsv_LBM_wv_kernelILj256ELj4E21rocsparse_complex_numIdEEEviiiPKT1_S5_S5_PS3_S6_S6_Pi,"axG",@progbits,_ZN9rocsparseL18gtsv_LBM_wv_kernelILj256ELj4E21rocsparse_complex_numIdEEEviiiPKT1_S5_S5_PS3_S6_S6_Pi,comdat
	.globl	_ZN9rocsparseL18gtsv_LBM_wv_kernelILj256ELj4E21rocsparse_complex_numIdEEEviiiPKT1_S5_S5_PS3_S6_S6_Pi ; -- Begin function _ZN9rocsparseL18gtsv_LBM_wv_kernelILj256ELj4E21rocsparse_complex_numIdEEEviiiPKT1_S5_S5_PS3_S6_S6_Pi
	.p2align	8
	.type	_ZN9rocsparseL18gtsv_LBM_wv_kernelILj256ELj4E21rocsparse_complex_numIdEEEviiiPKT1_S5_S5_PS3_S6_S6_Pi,@function
_ZN9rocsparseL18gtsv_LBM_wv_kernelILj256ELj4E21rocsparse_complex_numIdEEEviiiPKT1_S5_S5_PS3_S6_S6_Pi: ; @_ZN9rocsparseL18gtsv_LBM_wv_kernelILj256ELj4E21rocsparse_complex_numIdEEEviiiPKT1_S5_S5_PS3_S6_S6_Pi
; %bb.0:
	s_load_dword s29, s[0:1], 0x0
	v_lshl_or_b32 v40, s2, 8, v0
	s_waitcnt lgkmcnt(0)
	s_lshr_b32 s28, s29, 2
	v_cmp_gt_i32_e32 vcc, s28, v40
	s_and_saveexec_b64 s[2:3], vcc
	s_cbranch_execz .LBB287_72
; %bb.1:
	s_load_dwordx2 s[16:17], s[0:1], 0x10
	s_load_dwordx8 s[8:15], s[0:1], 0x20
	v_ashrrev_i32_e32 v41, 31, v40
	s_mul_i32 s30, s28, 3
	v_lshlrev_b64 v[8:9], 4, v[40:41]
	v_add_u32_e32 v10, s30, v40
	v_mov_b32_e32 v11, 0
	s_waitcnt lgkmcnt(0)
	v_lshl_add_u64 v[0:1], s[16:17], 0, v[8:9]
	v_lshlrev_b64 v[12:13], 4, v[10:11]
	global_load_dwordx4 v[0:3], v[0:1], off
	v_lshl_add_u64 v[4:5], s[8:9], 0, v[12:13]
	global_load_dwordx4 v[4:7], v[4:5], off
	s_load_dwordx2 s[6:7], s[0:1], 0x40
	s_cmp_lt_i32 s29, 1
	v_add_u32_e32 v58, s28, v40
	v_lshl_add_u64 v[42:43], s[10:11], 0, v[8:9]
	v_mov_b32_e32 v44, v11
	v_lshl_add_u64 v[8:9], s[12:13], 0, v[12:13]
	s_waitcnt vmcnt(1)
	global_store_dwordx4 v[42:43], v[0:3], off
	s_waitcnt vmcnt(1)
	global_store_dwordx4 v[8:9], v[4:7], off
	s_cbranch_scc1 .LBB287_65
; %bb.2:
	s_load_dwordx2 s[18:19], s[0:1], 0x18
	s_mov_b32 s22, 0
	s_mov_b32 s24, 0x372fe950
	s_lshl_b32 s31, s28, 1
	v_mov_b32_e32 v44, 0
	s_waitcnt lgkmcnt(0)
	v_lshl_add_u64 v[0:1], v[40:41], 4, s[18:19]
	global_load_dwordx4 v[0:3], v[0:1], off
	v_add_u32_e32 v41, s28, v58
	s_mov_b64 s[20:21], 0
	s_brev_b32 s23, 8
	v_mov_b32_e32 v59, 0x260
	s_mov_b32 s25, 0x3fe3c6ef
	v_mov_b32_e32 v60, 2
	v_mov_b32_e32 v61, 1
	;; [unrolled: 1-line block ×4, first 2 shown]
	s_branch .LBB287_5
.LBB287_3:                              ;   in Loop: Header=BB287_5 Depth=1
	s_or_b64 exec, exec, s[4:5]
	v_mul_f64 v[4:5], v[2:3], -v[50:51]
	v_mul_f64 v[2:3], v[2:3], v[48:49]
	v_fmac_f64_e32 v[4:5], v[48:49], v[0:1]
	v_fmac_f64_e32 v[2:3], v[50:51], v[0:1]
	v_add_f64 v[0:1], v[8:9], -v[4:5]
	v_add_f64 v[2:3], v[10:11], -v[2:3]
	v_mov_b32_e32 v12, s28
.LBB287_4:                              ;   in Loop: Header=BB287_5 Depth=1
	s_or_b64 exec, exec, s[2:3]
	v_add_u32_e32 v44, v12, v44
	v_cmp_le_i32_e32 vcc, s29, v44
	s_or_b64 s[20:21], vcc, s[20:21]
	s_andn2_b64 exec, exec, s[20:21]
	s_cbranch_execz .LBB287_64
.LBB287_5:                              ; =>This Inner Loop Header: Depth=1
	v_add_u32_e32 v46, v44, v40
	v_ashrrev_i32_e32 v47, 31, v46
	v_lshl_add_u64 v[4:5], v[46:47], 4, s[8:9]
	global_load_dwordx4 v[16:19], v[4:5], off
	v_cmp_gt_u32_e64 s[0:1], s30, v44
	v_mov_b64_e32 v[8:9], 0
	v_mov_b64_e32 v[4:5], 0
	;; [unrolled: 1-line block ×3, first 2 shown]
	s_and_saveexec_b64 s[2:3], s[0:1]
	s_cbranch_execz .LBB287_7
; %bb.6:                                ;   in Loop: Header=BB287_5 Depth=1
	v_add_u32_e32 v4, v58, v44
	v_ashrrev_i32_e32 v5, 31, v4
	v_lshl_add_u64 v[4:5], v[4:5], 4, s[16:17]
	global_load_dwordx4 v[4:7], v[4:5], off
.LBB287_7:                              ;   in Loop: Header=BB287_5 Depth=1
	s_or_b64 exec, exec, s[2:3]
	v_mov_b64_e32 v[10:11], 0
	s_and_saveexec_b64 s[2:3], s[0:1]
	s_cbranch_execz .LBB287_9
; %bb.8:                                ;   in Loop: Header=BB287_5 Depth=1
	v_add_u32_e32 v8, v58, v44
	v_ashrrev_i32_e32 v9, 31, v8
	v_lshl_add_u64 v[8:9], v[8:9], 4, s[18:19]
	global_load_dwordx4 v[8:11], v[8:9], off
.LBB287_9:                              ;   in Loop: Header=BB287_5 Depth=1
	s_or_b64 exec, exec, s[2:3]
	v_mov_b64_e32 v[20:21], 0
	v_mov_b64_e32 v[12:13], 0
	;; [unrolled: 1-line block ×3, first 2 shown]
	s_and_saveexec_b64 s[2:3], s[0:1]
	s_cbranch_execz .LBB287_11
; %bb.10:                               ;   in Loop: Header=BB287_5 Depth=1
	v_add_u32_e32 v12, v58, v44
	v_ashrrev_i32_e32 v13, 31, v12
	v_lshl_add_u64 v[12:13], v[12:13], 4, s[8:9]
	global_load_dwordx4 v[12:15], v[12:13], off
.LBB287_11:                             ;   in Loop: Header=BB287_5 Depth=1
	s_or_b64 exec, exec, s[2:3]
	v_cmp_gt_u32_e64 s[2:3], s31, v44
	v_mov_b64_e32 v[22:23], 0
	s_and_saveexec_b64 s[4:5], s[2:3]
	s_cbranch_execz .LBB287_13
; %bb.12:                               ;   in Loop: Header=BB287_5 Depth=1
	v_add_u32_e32 v20, v41, v44
	v_ashrrev_i32_e32 v21, 31, v20
	v_lshl_add_u64 v[20:21], v[20:21], 4, s[16:17]
	global_load_dwordx4 v[20:23], v[20:21], off
.LBB287_13:                             ;   in Loop: Header=BB287_5 Depth=1
	s_or_b64 exec, exec, s[4:5]
	s_waitcnt vmcnt(0)
	v_xor_b32_e32 v24, 0x80000000, v5
	v_cmp_gt_f64_e32 vcc, 0, v[4:5]
	v_mov_b32_e32 v26, v4
	v_mov_b32_e32 v28, v6
	v_cndmask_b32_e32 v27, v5, v24, vcc
	v_xor_b32_e32 v24, 0x80000000, v7
	v_cmp_gt_f64_e32 vcc, 0, v[6:7]
	s_nop 1
	v_cndmask_b32_e32 v29, v7, v24, vcc
	v_cmp_ngt_f64_e32 vcc, v[26:27], v[28:29]
                                        ; implicit-def: $vgpr24_vgpr25
	s_and_saveexec_b64 s[4:5], vcc
	s_xor_b64 s[4:5], exec, s[4:5]
	s_cbranch_execz .LBB287_17
; %bb.14:                               ;   in Loop: Header=BB287_5 Depth=1
	v_mov_b64_e32 v[24:25], 0
	v_cmp_neq_f64_e32 vcc, 0, v[6:7]
	s_and_saveexec_b64 s[26:27], vcc
	s_cbranch_execz .LBB287_16
; %bb.15:                               ;   in Loop: Header=BB287_5 Depth=1
	v_div_scale_f64 v[24:25], s[34:35], v[28:29], v[28:29], v[26:27]
	v_rcp_f64_e32 v[30:31], v[24:25]
	v_div_scale_f64 v[32:33], vcc, v[26:27], v[28:29], v[26:27]
	v_fma_f64 v[34:35], -v[24:25], v[30:31], 1.0
	v_fmac_f64_e32 v[30:31], v[30:31], v[34:35]
	v_fma_f64 v[34:35], -v[24:25], v[30:31], 1.0
	v_fmac_f64_e32 v[30:31], v[30:31], v[34:35]
	v_mul_f64 v[34:35], v[32:33], v[30:31]
	v_fma_f64 v[24:25], -v[24:25], v[34:35], v[32:33]
	v_div_fmas_f64 v[24:25], v[24:25], v[30:31], v[34:35]
	v_div_fixup_f64 v[24:25], v[24:25], v[28:29], v[26:27]
	v_fma_f64 v[24:25], v[24:25], v[24:25], 1.0
	v_cmp_gt_f64_e32 vcc, s[22:23], v[24:25]
	s_nop 1
	v_cndmask_b32_e32 v26, 0, v62, vcc
	v_ldexp_f64 v[24:25], v[24:25], v26
	v_rsq_f64_e32 v[26:27], v[24:25]
	s_nop 0
	v_mul_f64 v[30:31], v[24:25], v[26:27]
	v_mul_f64 v[26:27], v[26:27], 0.5
	v_fma_f64 v[32:33], -v[26:27], v[30:31], 0.5
	v_fmac_f64_e32 v[30:31], v[30:31], v[32:33]
	v_fma_f64 v[34:35], -v[30:31], v[30:31], v[24:25]
	v_fmac_f64_e32 v[26:27], v[26:27], v[32:33]
	v_fmac_f64_e32 v[30:31], v[34:35], v[26:27]
	v_fma_f64 v[32:33], -v[30:31], v[30:31], v[24:25]
	v_fmac_f64_e32 v[30:31], v[32:33], v[26:27]
	v_cndmask_b32_e32 v26, 0, v63, vcc
	v_ldexp_f64 v[26:27], v[30:31], v26
	v_cmp_class_f64_e32 vcc, v[24:25], v59
	s_nop 1
	v_cndmask_b32_e32 v25, v27, v25, vcc
	v_cndmask_b32_e32 v24, v26, v24, vcc
	v_mul_f64 v[24:25], v[28:29], v[24:25]
.LBB287_16:                             ;   in Loop: Header=BB287_5 Depth=1
	s_or_b64 exec, exec, s[26:27]
                                        ; implicit-def: $vgpr26_vgpr27
                                        ; implicit-def: $vgpr28_vgpr29
.LBB287_17:                             ;   in Loop: Header=BB287_5 Depth=1
	s_andn2_saveexec_b64 s[4:5], s[4:5]
	s_cbranch_execz .LBB287_19
; %bb.18:                               ;   in Loop: Header=BB287_5 Depth=1
	v_div_scale_f64 v[24:25], s[26:27], v[26:27], v[26:27], v[28:29]
	v_rcp_f64_e32 v[30:31], v[24:25]
	v_div_scale_f64 v[32:33], vcc, v[28:29], v[26:27], v[28:29]
	v_fma_f64 v[34:35], -v[24:25], v[30:31], 1.0
	v_fmac_f64_e32 v[30:31], v[30:31], v[34:35]
	v_fma_f64 v[34:35], -v[24:25], v[30:31], 1.0
	v_fmac_f64_e32 v[30:31], v[30:31], v[34:35]
	v_mul_f64 v[34:35], v[32:33], v[30:31]
	v_fma_f64 v[24:25], -v[24:25], v[34:35], v[32:33]
	v_div_fmas_f64 v[24:25], v[24:25], v[30:31], v[34:35]
	v_div_fixup_f64 v[24:25], v[24:25], v[26:27], v[28:29]
	v_fma_f64 v[24:25], v[24:25], v[24:25], 1.0
	v_cmp_gt_f64_e32 vcc, s[22:23], v[24:25]
	s_nop 1
	v_cndmask_b32_e32 v28, 0, v62, vcc
	v_ldexp_f64 v[24:25], v[24:25], v28
	v_rsq_f64_e32 v[28:29], v[24:25]
	s_nop 0
	v_mul_f64 v[30:31], v[24:25], v[28:29]
	v_mul_f64 v[28:29], v[28:29], 0.5
	v_fma_f64 v[32:33], -v[28:29], v[30:31], 0.5
	v_fmac_f64_e32 v[30:31], v[30:31], v[32:33]
	v_fma_f64 v[34:35], -v[30:31], v[30:31], v[24:25]
	v_fmac_f64_e32 v[28:29], v[28:29], v[32:33]
	v_fmac_f64_e32 v[30:31], v[34:35], v[28:29]
	v_fma_f64 v[32:33], -v[30:31], v[30:31], v[24:25]
	v_fmac_f64_e32 v[30:31], v[32:33], v[28:29]
	v_cndmask_b32_e32 v28, 0, v63, vcc
	v_ldexp_f64 v[28:29], v[30:31], v28
	v_cmp_class_f64_e32 vcc, v[24:25], v59
	s_nop 1
	v_cndmask_b32_e32 v25, v29, v25, vcc
	v_cndmask_b32_e32 v24, v28, v24, vcc
	v_mul_f64 v[24:25], v[26:27], v[24:25]
.LBB287_19:                             ;   in Loop: Header=BB287_5 Depth=1
	s_or_b64 exec, exec, s[4:5]
	v_xor_b32_e32 v26, 0x80000000, v21
	v_cmp_gt_f64_e32 vcc, 0, v[20:21]
	v_mov_b32_e32 v28, v20
	v_mov_b32_e32 v30, v22
	v_cndmask_b32_e32 v29, v21, v26, vcc
	v_xor_b32_e32 v26, 0x80000000, v23
	v_cmp_gt_f64_e32 vcc, 0, v[22:23]
	s_nop 1
	v_cndmask_b32_e32 v31, v23, v26, vcc
	v_cmp_ngt_f64_e32 vcc, v[28:29], v[30:31]
                                        ; implicit-def: $vgpr26_vgpr27
	s_and_saveexec_b64 s[4:5], vcc
	s_xor_b64 s[4:5], exec, s[4:5]
	s_cbranch_execz .LBB287_23
; %bb.20:                               ;   in Loop: Header=BB287_5 Depth=1
	v_mov_b64_e32 v[26:27], 0
	v_cmp_neq_f64_e32 vcc, 0, v[22:23]
	s_and_saveexec_b64 s[26:27], vcc
	s_cbranch_execz .LBB287_22
; %bb.21:                               ;   in Loop: Header=BB287_5 Depth=1
	v_div_scale_f64 v[26:27], s[34:35], v[30:31], v[30:31], v[28:29]
	v_rcp_f64_e32 v[32:33], v[26:27]
	v_div_scale_f64 v[34:35], vcc, v[28:29], v[30:31], v[28:29]
	v_fma_f64 v[36:37], -v[26:27], v[32:33], 1.0
	v_fmac_f64_e32 v[32:33], v[32:33], v[36:37]
	v_fma_f64 v[36:37], -v[26:27], v[32:33], 1.0
	v_fmac_f64_e32 v[32:33], v[32:33], v[36:37]
	v_mul_f64 v[36:37], v[34:35], v[32:33]
	v_fma_f64 v[26:27], -v[26:27], v[36:37], v[34:35]
	v_div_fmas_f64 v[26:27], v[26:27], v[32:33], v[36:37]
	v_div_fixup_f64 v[26:27], v[26:27], v[30:31], v[28:29]
	v_fma_f64 v[26:27], v[26:27], v[26:27], 1.0
	v_cmp_gt_f64_e32 vcc, s[22:23], v[26:27]
	s_nop 1
	v_cndmask_b32_e32 v28, 0, v62, vcc
	v_ldexp_f64 v[26:27], v[26:27], v28
	v_rsq_f64_e32 v[28:29], v[26:27]
	s_nop 0
	v_mul_f64 v[32:33], v[26:27], v[28:29]
	v_mul_f64 v[28:29], v[28:29], 0.5
	v_fma_f64 v[34:35], -v[28:29], v[32:33], 0.5
	v_fmac_f64_e32 v[32:33], v[32:33], v[34:35]
	v_fma_f64 v[36:37], -v[32:33], v[32:33], v[26:27]
	v_fmac_f64_e32 v[28:29], v[28:29], v[34:35]
	v_fmac_f64_e32 v[32:33], v[36:37], v[28:29]
	v_fma_f64 v[34:35], -v[32:33], v[32:33], v[26:27]
	v_fmac_f64_e32 v[32:33], v[34:35], v[28:29]
	v_cndmask_b32_e32 v28, 0, v63, vcc
	v_ldexp_f64 v[28:29], v[32:33], v28
	v_cmp_class_f64_e32 vcc, v[26:27], v59
	s_nop 1
	v_cndmask_b32_e32 v27, v29, v27, vcc
	v_cndmask_b32_e32 v26, v28, v26, vcc
	v_mul_f64 v[26:27], v[30:31], v[26:27]
.LBB287_22:                             ;   in Loop: Header=BB287_5 Depth=1
	s_or_b64 exec, exec, s[26:27]
                                        ; implicit-def: $vgpr28_vgpr29
                                        ; implicit-def: $vgpr30_vgpr31
.LBB287_23:                             ;   in Loop: Header=BB287_5 Depth=1
	s_andn2_saveexec_b64 s[4:5], s[4:5]
	s_cbranch_execz .LBB287_25
; %bb.24:                               ;   in Loop: Header=BB287_5 Depth=1
	v_div_scale_f64 v[26:27], s[26:27], v[28:29], v[28:29], v[30:31]
	v_rcp_f64_e32 v[32:33], v[26:27]
	v_div_scale_f64 v[34:35], vcc, v[30:31], v[28:29], v[30:31]
	v_fma_f64 v[36:37], -v[26:27], v[32:33], 1.0
	v_fmac_f64_e32 v[32:33], v[32:33], v[36:37]
	v_fma_f64 v[36:37], -v[26:27], v[32:33], 1.0
	v_fmac_f64_e32 v[32:33], v[32:33], v[36:37]
	v_mul_f64 v[36:37], v[34:35], v[32:33]
	v_fma_f64 v[26:27], -v[26:27], v[36:37], v[34:35]
	v_div_fmas_f64 v[26:27], v[26:27], v[32:33], v[36:37]
	v_div_fixup_f64 v[26:27], v[26:27], v[28:29], v[30:31]
	v_fma_f64 v[26:27], v[26:27], v[26:27], 1.0
	v_cmp_gt_f64_e32 vcc, s[22:23], v[26:27]
	s_nop 1
	v_cndmask_b32_e32 v30, 0, v62, vcc
	v_ldexp_f64 v[26:27], v[26:27], v30
	v_rsq_f64_e32 v[30:31], v[26:27]
	s_nop 0
	v_mul_f64 v[32:33], v[26:27], v[30:31]
	v_mul_f64 v[30:31], v[30:31], 0.5
	v_fma_f64 v[34:35], -v[30:31], v[32:33], 0.5
	v_fmac_f64_e32 v[32:33], v[32:33], v[34:35]
	v_fma_f64 v[36:37], -v[32:33], v[32:33], v[26:27]
	v_fmac_f64_e32 v[30:31], v[30:31], v[34:35]
	v_fmac_f64_e32 v[32:33], v[36:37], v[30:31]
	v_fma_f64 v[34:35], -v[32:33], v[32:33], v[26:27]
	v_fmac_f64_e32 v[32:33], v[34:35], v[30:31]
	v_cndmask_b32_e32 v30, 0, v63, vcc
	v_ldexp_f64 v[30:31], v[32:33], v30
	v_cmp_class_f64_e32 vcc, v[26:27], v59
	s_nop 1
	v_cndmask_b32_e32 v27, v31, v27, vcc
	v_cndmask_b32_e32 v26, v30, v26, vcc
	v_mul_f64 v[26:27], v[28:29], v[26:27]
.LBB287_25:                             ;   in Loop: Header=BB287_5 Depth=1
	s_or_b64 exec, exec, s[4:5]
	v_xor_b32_e32 v28, 0x80000000, v9
	v_cmp_gt_f64_e32 vcc, 0, v[8:9]
	v_mov_b32_e32 v30, v8
	v_mov_b32_e32 v32, v10
	v_cndmask_b32_e32 v31, v9, v28, vcc
	v_xor_b32_e32 v28, 0x80000000, v11
	v_cmp_gt_f64_e32 vcc, 0, v[10:11]
	s_nop 1
	v_cndmask_b32_e32 v33, v11, v28, vcc
	v_cmp_ngt_f64_e32 vcc, v[30:31], v[32:33]
                                        ; implicit-def: $vgpr28_vgpr29
	s_and_saveexec_b64 s[4:5], vcc
	s_xor_b64 s[4:5], exec, s[4:5]
	s_cbranch_execz .LBB287_29
; %bb.26:                               ;   in Loop: Header=BB287_5 Depth=1
	v_mov_b64_e32 v[28:29], 0
	v_cmp_neq_f64_e32 vcc, 0, v[10:11]
	s_and_saveexec_b64 s[26:27], vcc
	s_cbranch_execz .LBB287_28
; %bb.27:                               ;   in Loop: Header=BB287_5 Depth=1
	v_div_scale_f64 v[28:29], s[34:35], v[32:33], v[32:33], v[30:31]
	v_rcp_f64_e32 v[34:35], v[28:29]
	v_div_scale_f64 v[36:37], vcc, v[30:31], v[32:33], v[30:31]
	v_fma_f64 v[38:39], -v[28:29], v[34:35], 1.0
	v_fmac_f64_e32 v[34:35], v[34:35], v[38:39]
	v_fma_f64 v[38:39], -v[28:29], v[34:35], 1.0
	v_fmac_f64_e32 v[34:35], v[34:35], v[38:39]
	v_mul_f64 v[38:39], v[36:37], v[34:35]
	v_fma_f64 v[28:29], -v[28:29], v[38:39], v[36:37]
	v_div_fmas_f64 v[28:29], v[28:29], v[34:35], v[38:39]
	v_div_fixup_f64 v[28:29], v[28:29], v[32:33], v[30:31]
	v_fma_f64 v[28:29], v[28:29], v[28:29], 1.0
	v_cmp_gt_f64_e32 vcc, s[22:23], v[28:29]
	s_nop 1
	v_cndmask_b32_e32 v30, 0, v62, vcc
	v_ldexp_f64 v[28:29], v[28:29], v30
	v_rsq_f64_e32 v[30:31], v[28:29]
	s_nop 0
	v_mul_f64 v[34:35], v[28:29], v[30:31]
	v_mul_f64 v[30:31], v[30:31], 0.5
	v_fma_f64 v[36:37], -v[30:31], v[34:35], 0.5
	v_fmac_f64_e32 v[34:35], v[34:35], v[36:37]
	v_fma_f64 v[38:39], -v[34:35], v[34:35], v[28:29]
	v_fmac_f64_e32 v[30:31], v[30:31], v[36:37]
	v_fmac_f64_e32 v[34:35], v[38:39], v[30:31]
	v_fma_f64 v[36:37], -v[34:35], v[34:35], v[28:29]
	v_fmac_f64_e32 v[34:35], v[36:37], v[30:31]
	v_cndmask_b32_e32 v30, 0, v63, vcc
	v_ldexp_f64 v[30:31], v[34:35], v30
	v_cmp_class_f64_e32 vcc, v[28:29], v59
	s_nop 1
	v_cndmask_b32_e32 v29, v31, v29, vcc
	v_cndmask_b32_e32 v28, v30, v28, vcc
	v_mul_f64 v[28:29], v[32:33], v[28:29]
.LBB287_28:                             ;   in Loop: Header=BB287_5 Depth=1
	s_or_b64 exec, exec, s[26:27]
                                        ; implicit-def: $vgpr30_vgpr31
                                        ; implicit-def: $vgpr32_vgpr33
.LBB287_29:                             ;   in Loop: Header=BB287_5 Depth=1
	s_andn2_saveexec_b64 s[4:5], s[4:5]
	s_cbranch_execz .LBB287_31
; %bb.30:                               ;   in Loop: Header=BB287_5 Depth=1
	v_div_scale_f64 v[28:29], s[26:27], v[30:31], v[30:31], v[32:33]
	v_rcp_f64_e32 v[34:35], v[28:29]
	v_div_scale_f64 v[36:37], vcc, v[32:33], v[30:31], v[32:33]
	v_fma_f64 v[38:39], -v[28:29], v[34:35], 1.0
	v_fmac_f64_e32 v[34:35], v[34:35], v[38:39]
	v_fma_f64 v[38:39], -v[28:29], v[34:35], 1.0
	v_fmac_f64_e32 v[34:35], v[34:35], v[38:39]
	v_mul_f64 v[38:39], v[36:37], v[34:35]
	v_fma_f64 v[28:29], -v[28:29], v[38:39], v[36:37]
	v_div_fmas_f64 v[28:29], v[28:29], v[34:35], v[38:39]
	v_div_fixup_f64 v[28:29], v[28:29], v[30:31], v[32:33]
	v_fma_f64 v[28:29], v[28:29], v[28:29], 1.0
	v_cmp_gt_f64_e32 vcc, s[22:23], v[28:29]
	s_nop 1
	v_cndmask_b32_e32 v32, 0, v62, vcc
	v_ldexp_f64 v[28:29], v[28:29], v32
	v_rsq_f64_e32 v[32:33], v[28:29]
	s_nop 0
	v_mul_f64 v[34:35], v[28:29], v[32:33]
	v_mul_f64 v[32:33], v[32:33], 0.5
	v_fma_f64 v[36:37], -v[32:33], v[34:35], 0.5
	v_fmac_f64_e32 v[34:35], v[34:35], v[36:37]
	v_fma_f64 v[38:39], -v[34:35], v[34:35], v[28:29]
	v_fmac_f64_e32 v[32:33], v[32:33], v[36:37]
	v_fmac_f64_e32 v[34:35], v[38:39], v[32:33]
	v_fma_f64 v[36:37], -v[34:35], v[34:35], v[28:29]
	v_fmac_f64_e32 v[34:35], v[36:37], v[32:33]
	v_cndmask_b32_e32 v32, 0, v63, vcc
	v_ldexp_f64 v[32:33], v[34:35], v32
	v_cmp_class_f64_e32 vcc, v[28:29], v59
	s_nop 1
	v_cndmask_b32_e32 v29, v33, v29, vcc
	v_cndmask_b32_e32 v28, v32, v28, vcc
	v_mul_f64 v[28:29], v[30:31], v[28:29]
.LBB287_31:                             ;   in Loop: Header=BB287_5 Depth=1
	s_or_b64 exec, exec, s[4:5]
	v_xor_b32_e32 v30, 0x80000000, v17
	v_cmp_gt_f64_e32 vcc, 0, v[16:17]
	v_mov_b32_e32 v32, v16
	v_mov_b32_e32 v34, v18
	v_cndmask_b32_e32 v33, v17, v30, vcc
	v_xor_b32_e32 v30, 0x80000000, v19
	v_cmp_gt_f64_e32 vcc, 0, v[18:19]
	s_nop 1
	v_cndmask_b32_e32 v35, v19, v30, vcc
	v_cmp_ngt_f64_e32 vcc, v[32:33], v[34:35]
                                        ; implicit-def: $vgpr30_vgpr31
	s_and_saveexec_b64 s[4:5], vcc
	s_xor_b64 s[4:5], exec, s[4:5]
	s_cbranch_execz .LBB287_35
; %bb.32:                               ;   in Loop: Header=BB287_5 Depth=1
	v_mov_b64_e32 v[30:31], 0
	v_cmp_neq_f64_e32 vcc, 0, v[18:19]
	s_and_saveexec_b64 s[26:27], vcc
	s_cbranch_execz .LBB287_34
; %bb.33:                               ;   in Loop: Header=BB287_5 Depth=1
	v_div_scale_f64 v[30:31], s[34:35], v[34:35], v[34:35], v[32:33]
	v_rcp_f64_e32 v[36:37], v[30:31]
	v_div_scale_f64 v[38:39], vcc, v[32:33], v[34:35], v[32:33]
	v_fma_f64 v[48:49], -v[30:31], v[36:37], 1.0
	v_fmac_f64_e32 v[36:37], v[36:37], v[48:49]
	v_fma_f64 v[48:49], -v[30:31], v[36:37], 1.0
	v_fmac_f64_e32 v[36:37], v[36:37], v[48:49]
	v_mul_f64 v[48:49], v[38:39], v[36:37]
	v_fma_f64 v[30:31], -v[30:31], v[48:49], v[38:39]
	v_div_fmas_f64 v[30:31], v[30:31], v[36:37], v[48:49]
	v_div_fixup_f64 v[30:31], v[30:31], v[34:35], v[32:33]
	v_fma_f64 v[30:31], v[30:31], v[30:31], 1.0
	v_cmp_gt_f64_e32 vcc, s[22:23], v[30:31]
	s_nop 1
	v_cndmask_b32_e32 v32, 0, v62, vcc
	v_ldexp_f64 v[30:31], v[30:31], v32
	v_rsq_f64_e32 v[32:33], v[30:31]
	s_nop 0
	v_mul_f64 v[36:37], v[30:31], v[32:33]
	v_mul_f64 v[32:33], v[32:33], 0.5
	v_fma_f64 v[38:39], -v[32:33], v[36:37], 0.5
	v_fmac_f64_e32 v[36:37], v[36:37], v[38:39]
	v_fma_f64 v[48:49], -v[36:37], v[36:37], v[30:31]
	v_fmac_f64_e32 v[32:33], v[32:33], v[38:39]
	v_fmac_f64_e32 v[36:37], v[48:49], v[32:33]
	v_fma_f64 v[38:39], -v[36:37], v[36:37], v[30:31]
	v_fmac_f64_e32 v[36:37], v[38:39], v[32:33]
	v_cndmask_b32_e32 v32, 0, v63, vcc
	v_ldexp_f64 v[32:33], v[36:37], v32
	v_cmp_class_f64_e32 vcc, v[30:31], v59
	s_nop 1
	v_cndmask_b32_e32 v31, v33, v31, vcc
	v_cndmask_b32_e32 v30, v32, v30, vcc
	v_mul_f64 v[30:31], v[34:35], v[30:31]
.LBB287_34:                             ;   in Loop: Header=BB287_5 Depth=1
	s_or_b64 exec, exec, s[26:27]
                                        ; implicit-def: $vgpr32_vgpr33
                                        ; implicit-def: $vgpr34_vgpr35
.LBB287_35:                             ;   in Loop: Header=BB287_5 Depth=1
	s_andn2_saveexec_b64 s[4:5], s[4:5]
	s_cbranch_execz .LBB287_37
; %bb.36:                               ;   in Loop: Header=BB287_5 Depth=1
	v_div_scale_f64 v[30:31], s[26:27], v[32:33], v[32:33], v[34:35]
	v_rcp_f64_e32 v[36:37], v[30:31]
	v_div_scale_f64 v[38:39], vcc, v[34:35], v[32:33], v[34:35]
	v_fma_f64 v[48:49], -v[30:31], v[36:37], 1.0
	v_fmac_f64_e32 v[36:37], v[36:37], v[48:49]
	v_fma_f64 v[48:49], -v[30:31], v[36:37], 1.0
	v_fmac_f64_e32 v[36:37], v[36:37], v[48:49]
	v_mul_f64 v[48:49], v[38:39], v[36:37]
	v_fma_f64 v[30:31], -v[30:31], v[48:49], v[38:39]
	v_div_fmas_f64 v[30:31], v[30:31], v[36:37], v[48:49]
	v_div_fixup_f64 v[30:31], v[30:31], v[32:33], v[34:35]
	v_fma_f64 v[30:31], v[30:31], v[30:31], 1.0
	v_cmp_gt_f64_e32 vcc, s[22:23], v[30:31]
	s_nop 1
	v_cndmask_b32_e32 v34, 0, v62, vcc
	v_ldexp_f64 v[30:31], v[30:31], v34
	v_rsq_f64_e32 v[34:35], v[30:31]
	s_nop 0
	v_mul_f64 v[36:37], v[30:31], v[34:35]
	v_mul_f64 v[34:35], v[34:35], 0.5
	v_fma_f64 v[38:39], -v[34:35], v[36:37], 0.5
	v_fmac_f64_e32 v[36:37], v[36:37], v[38:39]
	v_fma_f64 v[48:49], -v[36:37], v[36:37], v[30:31]
	v_fmac_f64_e32 v[34:35], v[34:35], v[38:39]
	v_fmac_f64_e32 v[36:37], v[48:49], v[34:35]
	v_fma_f64 v[38:39], -v[36:37], v[36:37], v[30:31]
	v_fmac_f64_e32 v[36:37], v[38:39], v[34:35]
	v_cndmask_b32_e32 v34, 0, v63, vcc
	v_ldexp_f64 v[34:35], v[36:37], v34
	v_cmp_class_f64_e32 vcc, v[30:31], v59
	s_nop 1
	v_cndmask_b32_e32 v31, v35, v31, vcc
	v_cndmask_b32_e32 v30, v34, v30, vcc
	v_mul_f64 v[30:31], v[32:33], v[30:31]
.LBB287_37:                             ;   in Loop: Header=BB287_5 Depth=1
	s_or_b64 exec, exec, s[4:5]
	v_xor_b32_e32 v32, 0x80000000, v13
	v_cmp_gt_f64_e32 vcc, 0, v[12:13]
	v_mov_b32_e32 v34, v12
	v_mov_b32_e32 v36, v14
	v_cndmask_b32_e32 v35, v13, v32, vcc
	v_xor_b32_e32 v32, 0x80000000, v15
	v_cmp_gt_f64_e32 vcc, 0, v[14:15]
	s_nop 1
	v_cndmask_b32_e32 v37, v15, v32, vcc
	v_cmp_ngt_f64_e32 vcc, v[34:35], v[36:37]
                                        ; implicit-def: $vgpr32_vgpr33
	s_and_saveexec_b64 s[4:5], vcc
	s_xor_b64 s[4:5], exec, s[4:5]
	s_cbranch_execz .LBB287_41
; %bb.38:                               ;   in Loop: Header=BB287_5 Depth=1
	v_mov_b64_e32 v[32:33], 0
	v_cmp_neq_f64_e32 vcc, 0, v[14:15]
	s_and_saveexec_b64 s[26:27], vcc
	s_cbranch_execz .LBB287_40
; %bb.39:                               ;   in Loop: Header=BB287_5 Depth=1
	v_div_scale_f64 v[32:33], s[34:35], v[36:37], v[36:37], v[34:35]
	v_rcp_f64_e32 v[38:39], v[32:33]
	v_div_scale_f64 v[48:49], vcc, v[34:35], v[36:37], v[34:35]
	v_fma_f64 v[50:51], -v[32:33], v[38:39], 1.0
	v_fmac_f64_e32 v[38:39], v[38:39], v[50:51]
	v_fma_f64 v[50:51], -v[32:33], v[38:39], 1.0
	v_fmac_f64_e32 v[38:39], v[38:39], v[50:51]
	v_mul_f64 v[50:51], v[48:49], v[38:39]
	v_fma_f64 v[32:33], -v[32:33], v[50:51], v[48:49]
	v_div_fmas_f64 v[32:33], v[32:33], v[38:39], v[50:51]
	v_div_fixup_f64 v[32:33], v[32:33], v[36:37], v[34:35]
	v_fma_f64 v[32:33], v[32:33], v[32:33], 1.0
	v_cmp_gt_f64_e32 vcc, s[22:23], v[32:33]
	s_nop 1
	v_cndmask_b32_e32 v34, 0, v62, vcc
	v_ldexp_f64 v[32:33], v[32:33], v34
	v_rsq_f64_e32 v[34:35], v[32:33]
	s_nop 0
	v_mul_f64 v[38:39], v[32:33], v[34:35]
	v_mul_f64 v[34:35], v[34:35], 0.5
	v_fma_f64 v[48:49], -v[34:35], v[38:39], 0.5
	v_fmac_f64_e32 v[38:39], v[38:39], v[48:49]
	v_fma_f64 v[50:51], -v[38:39], v[38:39], v[32:33]
	v_fmac_f64_e32 v[34:35], v[34:35], v[48:49]
	v_fmac_f64_e32 v[38:39], v[50:51], v[34:35]
	v_fma_f64 v[48:49], -v[38:39], v[38:39], v[32:33]
	v_fmac_f64_e32 v[38:39], v[48:49], v[34:35]
	v_cndmask_b32_e32 v34, 0, v63, vcc
	v_ldexp_f64 v[34:35], v[38:39], v34
	v_cmp_class_f64_e32 vcc, v[32:33], v59
	s_nop 1
	v_cndmask_b32_e32 v33, v35, v33, vcc
	v_cndmask_b32_e32 v32, v34, v32, vcc
	v_mul_f64 v[32:33], v[36:37], v[32:33]
.LBB287_40:                             ;   in Loop: Header=BB287_5 Depth=1
	s_or_b64 exec, exec, s[26:27]
                                        ; implicit-def: $vgpr34_vgpr35
                                        ; implicit-def: $vgpr36_vgpr37
.LBB287_41:                             ;   in Loop: Header=BB287_5 Depth=1
	s_andn2_saveexec_b64 s[4:5], s[4:5]
	s_cbranch_execz .LBB287_43
; %bb.42:                               ;   in Loop: Header=BB287_5 Depth=1
	v_div_scale_f64 v[32:33], s[26:27], v[34:35], v[34:35], v[36:37]
	v_rcp_f64_e32 v[38:39], v[32:33]
	v_div_scale_f64 v[48:49], vcc, v[36:37], v[34:35], v[36:37]
	v_fma_f64 v[50:51], -v[32:33], v[38:39], 1.0
	v_fmac_f64_e32 v[38:39], v[38:39], v[50:51]
	v_fma_f64 v[50:51], -v[32:33], v[38:39], 1.0
	v_fmac_f64_e32 v[38:39], v[38:39], v[50:51]
	v_mul_f64 v[50:51], v[48:49], v[38:39]
	v_fma_f64 v[32:33], -v[32:33], v[50:51], v[48:49]
	v_div_fmas_f64 v[32:33], v[32:33], v[38:39], v[50:51]
	v_div_fixup_f64 v[32:33], v[32:33], v[34:35], v[36:37]
	v_fma_f64 v[32:33], v[32:33], v[32:33], 1.0
	v_cmp_gt_f64_e32 vcc, s[22:23], v[32:33]
	s_nop 1
	v_cndmask_b32_e32 v36, 0, v62, vcc
	v_ldexp_f64 v[32:33], v[32:33], v36
	v_rsq_f64_e32 v[36:37], v[32:33]
	s_nop 0
	v_mul_f64 v[38:39], v[32:33], v[36:37]
	v_mul_f64 v[36:37], v[36:37], 0.5
	v_fma_f64 v[48:49], -v[36:37], v[38:39], 0.5
	v_fmac_f64_e32 v[38:39], v[38:39], v[48:49]
	v_fma_f64 v[50:51], -v[38:39], v[38:39], v[32:33]
	v_fmac_f64_e32 v[36:37], v[36:37], v[48:49]
	v_fmac_f64_e32 v[38:39], v[50:51], v[36:37]
	v_fma_f64 v[48:49], -v[38:39], v[38:39], v[32:33]
	v_fmac_f64_e32 v[38:39], v[48:49], v[36:37]
	v_cndmask_b32_e32 v36, 0, v63, vcc
	v_ldexp_f64 v[36:37], v[38:39], v36
	v_cmp_class_f64_e32 vcc, v[32:33], v59
	s_nop 1
	v_cndmask_b32_e32 v33, v37, v33, vcc
	v_cndmask_b32_e32 v32, v36, v32, vcc
	v_mul_f64 v[32:33], v[34:35], v[32:33]
.LBB287_43:                             ;   in Loop: Header=BB287_5 Depth=1
	s_or_b64 exec, exec, s[4:5]
	v_xor_b32_e32 v34, 0x80000000, v1
	v_cmp_gt_f64_e32 vcc, 0, v[0:1]
	v_mov_b32_e32 v36, v0
	v_mov_b32_e32 v38, v2
	v_cndmask_b32_e32 v37, v1, v34, vcc
	v_xor_b32_e32 v34, 0x80000000, v3
	v_cmp_gt_f64_e32 vcc, 0, v[2:3]
	s_nop 1
	v_cndmask_b32_e32 v39, v3, v34, vcc
	v_cmp_ngt_f64_e32 vcc, v[36:37], v[38:39]
                                        ; implicit-def: $vgpr34_vgpr35
	s_and_saveexec_b64 s[4:5], vcc
	s_xor_b64 s[4:5], exec, s[4:5]
	s_cbranch_execz .LBB287_47
; %bb.44:                               ;   in Loop: Header=BB287_5 Depth=1
	v_mov_b64_e32 v[34:35], 0
	v_cmp_neq_f64_e32 vcc, 0, v[2:3]
	s_and_saveexec_b64 s[26:27], vcc
	s_cbranch_execz .LBB287_46
; %bb.45:                               ;   in Loop: Header=BB287_5 Depth=1
	v_div_scale_f64 v[34:35], s[34:35], v[38:39], v[38:39], v[36:37]
	v_rcp_f64_e32 v[48:49], v[34:35]
	v_div_scale_f64 v[50:51], vcc, v[36:37], v[38:39], v[36:37]
	v_fma_f64 v[52:53], -v[34:35], v[48:49], 1.0
	v_fmac_f64_e32 v[48:49], v[48:49], v[52:53]
	v_fma_f64 v[52:53], -v[34:35], v[48:49], 1.0
	v_fmac_f64_e32 v[48:49], v[48:49], v[52:53]
	v_mul_f64 v[52:53], v[50:51], v[48:49]
	v_fma_f64 v[34:35], -v[34:35], v[52:53], v[50:51]
	v_div_fmas_f64 v[34:35], v[34:35], v[48:49], v[52:53]
	v_div_fixup_f64 v[34:35], v[34:35], v[38:39], v[36:37]
	v_fma_f64 v[34:35], v[34:35], v[34:35], 1.0
	v_cmp_gt_f64_e32 vcc, s[22:23], v[34:35]
	s_nop 1
	v_cndmask_b32_e32 v36, 0, v62, vcc
	v_ldexp_f64 v[34:35], v[34:35], v36
	v_rsq_f64_e32 v[36:37], v[34:35]
	s_nop 0
	v_mul_f64 v[48:49], v[34:35], v[36:37]
	v_mul_f64 v[36:37], v[36:37], 0.5
	v_fma_f64 v[50:51], -v[36:37], v[48:49], 0.5
	v_fmac_f64_e32 v[48:49], v[48:49], v[50:51]
	v_fma_f64 v[52:53], -v[48:49], v[48:49], v[34:35]
	v_fmac_f64_e32 v[36:37], v[36:37], v[50:51]
	v_fmac_f64_e32 v[48:49], v[52:53], v[36:37]
	v_fma_f64 v[50:51], -v[48:49], v[48:49], v[34:35]
	v_fmac_f64_e32 v[48:49], v[50:51], v[36:37]
	v_cndmask_b32_e32 v36, 0, v63, vcc
	v_ldexp_f64 v[36:37], v[48:49], v36
	v_cmp_class_f64_e32 vcc, v[34:35], v59
	s_nop 1
	v_cndmask_b32_e32 v35, v37, v35, vcc
	v_cndmask_b32_e32 v34, v36, v34, vcc
	v_mul_f64 v[34:35], v[38:39], v[34:35]
.LBB287_46:                             ;   in Loop: Header=BB287_5 Depth=1
	s_or_b64 exec, exec, s[26:27]
                                        ; implicit-def: $vgpr36_vgpr37
                                        ; implicit-def: $vgpr38_vgpr39
.LBB287_47:                             ;   in Loop: Header=BB287_5 Depth=1
	s_andn2_saveexec_b64 s[4:5], s[4:5]
	s_cbranch_execz .LBB287_49
; %bb.48:                               ;   in Loop: Header=BB287_5 Depth=1
	v_div_scale_f64 v[34:35], s[26:27], v[36:37], v[36:37], v[38:39]
	v_rcp_f64_e32 v[48:49], v[34:35]
	v_div_scale_f64 v[50:51], vcc, v[38:39], v[36:37], v[38:39]
	v_fma_f64 v[52:53], -v[34:35], v[48:49], 1.0
	v_fmac_f64_e32 v[48:49], v[48:49], v[52:53]
	v_fma_f64 v[52:53], -v[34:35], v[48:49], 1.0
	v_fmac_f64_e32 v[48:49], v[48:49], v[52:53]
	v_mul_f64 v[52:53], v[50:51], v[48:49]
	v_fma_f64 v[34:35], -v[34:35], v[52:53], v[50:51]
	v_div_fmas_f64 v[34:35], v[34:35], v[48:49], v[52:53]
	v_div_fixup_f64 v[34:35], v[34:35], v[36:37], v[38:39]
	v_fma_f64 v[34:35], v[34:35], v[34:35], 1.0
	v_cmp_gt_f64_e32 vcc, s[22:23], v[34:35]
	s_nop 1
	v_cndmask_b32_e32 v38, 0, v62, vcc
	v_ldexp_f64 v[34:35], v[34:35], v38
	v_rsq_f64_e32 v[38:39], v[34:35]
	s_nop 0
	v_mul_f64 v[48:49], v[34:35], v[38:39]
	v_mul_f64 v[38:39], v[38:39], 0.5
	v_fma_f64 v[50:51], -v[38:39], v[48:49], 0.5
	v_fmac_f64_e32 v[48:49], v[48:49], v[50:51]
	v_fma_f64 v[52:53], -v[48:49], v[48:49], v[34:35]
	v_fmac_f64_e32 v[38:39], v[38:39], v[50:51]
	v_fmac_f64_e32 v[48:49], v[52:53], v[38:39]
	v_fma_f64 v[50:51], -v[48:49], v[48:49], v[34:35]
	v_fmac_f64_e32 v[48:49], v[50:51], v[38:39]
	v_cndmask_b32_e32 v38, 0, v63, vcc
	v_ldexp_f64 v[38:39], v[48:49], v38
	v_cmp_class_f64_e32 vcc, v[34:35], v59
	s_nop 1
	v_cndmask_b32_e32 v35, v39, v35, vcc
	v_cndmask_b32_e32 v34, v38, v34, vcc
	v_mul_f64 v[34:35], v[36:37], v[34:35]
.LBB287_49:                             ;   in Loop: Header=BB287_5 Depth=1
	s_or_b64 exec, exec, s[4:5]
	v_mul_f64 v[48:49], v[18:19], -v[6:7]
	v_fmac_f64_e32 v[48:49], v[4:5], v[16:17]
	v_mul_f64 v[50:51], v[18:19], v[4:5]
	v_fmac_f64_e32 v[50:51], v[6:7], v[16:17]
	v_xor_b32_e32 v36, 0x80000000, v49
	v_cmp_gt_f64_e32 vcc, 0, v[48:49]
	v_xor_b32_e32 v38, 0x80000000, v51
                                        ; implicit-def: $vgpr52_vgpr53
	s_nop 0
	v_cndmask_b32_e32 v37, v49, v36, vcc
	v_cmp_gt_f64_e32 vcc, 0, v[50:51]
	v_mov_b32_e32 v36, v48
	s_nop 0
	v_cndmask_b32_e32 v39, v51, v38, vcc
	v_mov_b32_e32 v38, v50
	v_cmp_ngt_f64_e32 vcc, v[36:37], v[38:39]
	s_and_saveexec_b64 s[4:5], vcc
	s_xor_b64 s[4:5], exec, s[4:5]
	s_cbranch_execz .LBB287_53
; %bb.50:                               ;   in Loop: Header=BB287_5 Depth=1
	v_mov_b64_e32 v[52:53], 0
	v_cmp_neq_f64_e32 vcc, 0, v[50:51]
	s_and_saveexec_b64 s[26:27], vcc
	s_cbranch_execz .LBB287_52
; %bb.51:                               ;   in Loop: Header=BB287_5 Depth=1
	v_div_scale_f64 v[52:53], s[34:35], v[38:39], v[38:39], v[36:37]
	v_rcp_f64_e32 v[54:55], v[52:53]
	v_div_scale_f64 v[56:57], vcc, v[36:37], v[38:39], v[36:37]
	v_fma_f64 v[64:65], -v[52:53], v[54:55], 1.0
	v_fmac_f64_e32 v[54:55], v[54:55], v[64:65]
	v_fma_f64 v[64:65], -v[52:53], v[54:55], 1.0
	v_fmac_f64_e32 v[54:55], v[54:55], v[64:65]
	v_mul_f64 v[64:65], v[56:57], v[54:55]
	v_fma_f64 v[52:53], -v[52:53], v[64:65], v[56:57]
	v_div_fmas_f64 v[52:53], v[52:53], v[54:55], v[64:65]
	v_div_fixup_f64 v[36:37], v[52:53], v[38:39], v[36:37]
	v_fma_f64 v[36:37], v[36:37], v[36:37], 1.0
	v_cmp_gt_f64_e32 vcc, s[22:23], v[36:37]
	s_nop 1
	v_cndmask_b32_e32 v45, 0, v62, vcc
	v_ldexp_f64 v[36:37], v[36:37], v45
	v_rsq_f64_e32 v[52:53], v[36:37]
	v_cndmask_b32_e32 v45, 0, v63, vcc
	v_cmp_class_f64_e32 vcc, v[36:37], v59
	v_mul_f64 v[54:55], v[36:37], v[52:53]
	v_mul_f64 v[52:53], v[52:53], 0.5
	v_fma_f64 v[56:57], -v[52:53], v[54:55], 0.5
	v_fmac_f64_e32 v[54:55], v[54:55], v[56:57]
	v_fma_f64 v[64:65], -v[54:55], v[54:55], v[36:37]
	v_fmac_f64_e32 v[52:53], v[52:53], v[56:57]
	v_fmac_f64_e32 v[54:55], v[64:65], v[52:53]
	v_fma_f64 v[56:57], -v[54:55], v[54:55], v[36:37]
	v_fmac_f64_e32 v[54:55], v[56:57], v[52:53]
	v_ldexp_f64 v[52:53], v[54:55], v45
	v_cndmask_b32_e32 v37, v53, v37, vcc
	v_cndmask_b32_e32 v36, v52, v36, vcc
	v_mul_f64 v[52:53], v[38:39], v[36:37]
.LBB287_52:                             ;   in Loop: Header=BB287_5 Depth=1
	s_or_b64 exec, exec, s[26:27]
                                        ; implicit-def: $vgpr36_vgpr37
                                        ; implicit-def: $vgpr38_vgpr39
.LBB287_53:                             ;   in Loop: Header=BB287_5 Depth=1
	s_andn2_saveexec_b64 s[4:5], s[4:5]
	s_cbranch_execz .LBB287_55
; %bb.54:                               ;   in Loop: Header=BB287_5 Depth=1
	v_div_scale_f64 v[52:53], s[26:27], v[36:37], v[36:37], v[38:39]
	v_rcp_f64_e32 v[54:55], v[52:53]
	v_div_scale_f64 v[56:57], vcc, v[38:39], v[36:37], v[38:39]
	v_fma_f64 v[64:65], -v[52:53], v[54:55], 1.0
	v_fmac_f64_e32 v[54:55], v[54:55], v[64:65]
	v_fma_f64 v[64:65], -v[52:53], v[54:55], 1.0
	v_fmac_f64_e32 v[54:55], v[54:55], v[64:65]
	v_mul_f64 v[64:65], v[56:57], v[54:55]
	v_fma_f64 v[52:53], -v[52:53], v[64:65], v[56:57]
	v_div_fmas_f64 v[52:53], v[52:53], v[54:55], v[64:65]
	v_div_fixup_f64 v[38:39], v[52:53], v[36:37], v[38:39]
	v_fma_f64 v[38:39], v[38:39], v[38:39], 1.0
	v_cmp_gt_f64_e32 vcc, s[22:23], v[38:39]
	s_nop 1
	v_cndmask_b32_e32 v45, 0, v62, vcc
	v_ldexp_f64 v[38:39], v[38:39], v45
	v_rsq_f64_e32 v[52:53], v[38:39]
	v_cndmask_b32_e32 v45, 0, v63, vcc
	v_cmp_class_f64_e32 vcc, v[38:39], v59
	v_mul_f64 v[54:55], v[38:39], v[52:53]
	v_mul_f64 v[52:53], v[52:53], 0.5
	v_fma_f64 v[56:57], -v[52:53], v[54:55], 0.5
	v_fmac_f64_e32 v[54:55], v[54:55], v[56:57]
	v_fma_f64 v[64:65], -v[54:55], v[54:55], v[38:39]
	v_fmac_f64_e32 v[52:53], v[52:53], v[56:57]
	v_fmac_f64_e32 v[54:55], v[64:65], v[52:53]
	v_fma_f64 v[56:57], -v[54:55], v[54:55], v[38:39]
	v_fmac_f64_e32 v[54:55], v[56:57], v[52:53]
	v_ldexp_f64 v[52:53], v[54:55], v45
	v_cndmask_b32_e32 v39, v53, v39, vcc
	v_cndmask_b32_e32 v38, v52, v38, vcc
	v_mul_f64 v[52:53], v[36:37], v[38:39]
.LBB287_55:                             ;   in Loop: Header=BB287_5 Depth=1
	s_or_b64 exec, exec, s[4:5]
	v_cmp_lt_f64_e32 vcc, v[24:25], v[26:27]
	v_cmp_ne_u32_e64 s[4:5], s30, v44
	s_nop 0
	v_cndmask_b32_e32 v25, v25, v27, vcc
	v_cndmask_b32_e32 v24, v24, v26, vcc
	v_cmp_lt_f64_e32 vcc, v[28:29], v[24:25]
	v_mul_f64 v[26:27], v[52:53], s[24:25]
	s_nop 0
	v_cndmask_b32_e32 v25, v29, v25, vcc
	v_cndmask_b32_e32 v24, v28, v24, vcc
	v_cmp_lt_f64_e32 vcc, v[30:31], v[24:25]
	s_nop 1
	v_cndmask_b32_e32 v25, v31, v25, vcc
	v_cndmask_b32_e32 v24, v30, v24, vcc
	v_cmp_lt_f64_e32 vcc, v[32:33], v[24:25]
	s_nop 1
	v_cndmask_b32_e32 v25, v33, v25, vcc
	v_cndmask_b32_e32 v24, v32, v24, vcc
	v_mul_f64 v[24:25], v[24:25], v[34:35]
	v_cmp_nge_f64_e32 vcc, v[24:25], v[26:27]
	s_and_b64 s[4:5], s[4:5], vcc
	s_and_saveexec_b64 s[26:27], s[4:5]
	s_xor_b64 s[4:5], exec, s[26:27]
	s_cbranch_execz .LBB287_61
; %bb.56:                               ;   in Loop: Header=BB287_5 Depth=1
	v_add_u32_e32 v52, v58, v44
	v_ashrrev_i32_e32 v45, 31, v44
	v_lshlrev_b64 v[64:65], 4, v[46:47]
	v_ashrrev_i32_e32 v53, 31, v52
	v_lshl_add_u64 v[68:69], v[44:45], 4, v[42:43]
	v_lshl_add_u64 v[70:71], s[12:13], 0, v[64:65]
	v_lshlrev_b64 v[36:37], 4, v[52:53]
	global_load_dwordx4 v[24:27], v[68:69], off
	global_load_dwordx4 v[32:35], v[70:71], off
	v_lshl_add_u64 v[56:57], s[10:11], 0, v[36:37]
	global_load_dwordx4 v[28:31], v[56:57], off
	v_lshl_add_u64 v[54:55], s[12:13], 0, v[36:37]
	global_load_dwordx4 v[36:39], v[54:55], off
	v_mul_f64 v[66:67], v[10:11], -v[2:3]
	v_mul_f64 v[72:73], v[0:1], v[10:11]
	v_fmac_f64_e32 v[66:67], v[0:1], v[8:9]
	v_fmac_f64_e32 v[72:73], v[2:3], v[8:9]
	v_lshl_add_u64 v[78:79], v[46:47], 2, s[6:7]
	v_add_f64 v[46:47], v[66:67], -v[48:49]
	v_add_f64 v[48:49], v[72:73], -v[50:51]
	v_mul_f64 v[50:51], v[48:49], v[48:49]
	v_fmac_f64_e32 v[50:51], v[46:47], v[46:47]
	v_div_scale_f64 v[66:67], s[26:27], v[50:51], v[50:51], 1.0
	v_rcp_f64_e32 v[72:73], v[66:67]
	v_lshl_add_u64 v[80:81], s[14:15], 0, v[64:65]
	v_fma_f64 v[64:65], 0, v[48:49], v[46:47]
	v_fma_f64 v[48:49], v[46:47], 0, -v[48:49]
	v_fma_f64 v[82:83], -v[66:67], v[72:73], 1.0
	v_fmac_f64_e32 v[72:73], v[72:73], v[82:83]
	v_fma_f64 v[82:83], -v[66:67], v[72:73], 1.0
	v_div_scale_f64 v[46:47], vcc, 1.0, v[50:51], 1.0
	v_fmac_f64_e32 v[72:73], v[72:73], v[82:83]
	v_mul_f64 v[82:83], v[46:47], v[72:73]
	v_fma_f64 v[46:47], -v[66:67], v[82:83], v[46:47]
	s_nop 0
	v_div_fmas_f64 v[46:47], v[46:47], v[72:73], v[82:83]
	v_mul_f64 v[74:75], v[18:19], v[14:15]
	v_mul_f64 v[76:77], v[14:15], -v[16:17]
	v_div_fixup_f64 v[50:51], v[46:47], v[50:51], 1.0
	v_fma_f64 v[74:75], -v[16:17], v[12:13], v[74:75]
	v_fma_f64 v[76:77], -v[18:19], v[12:13], v[76:77]
	v_mul_f64 v[48:49], v[48:49], v[50:51]
	v_mul_f64 v[46:47], v[64:65], v[50:51]
	v_mul_f64 v[64:65], v[48:49], -v[76:77]
	v_mul_f64 v[66:67], v[48:49], v[74:75]
	v_fmac_f64_e32 v[64:65], v[74:75], v[46:47]
	v_fmac_f64_e32 v[66:67], v[76:77], v[46:47]
	global_store_dwordx4 v[80:81], v[64:67], off
	s_waitcnt vmcnt(4)
	v_mul_f64 v[50:51], v[26:27], -v[10:11]
	v_mul_f64 v[64:65], v[8:9], v[26:27]
	s_waitcnt vmcnt(3)
	v_mul_f64 v[66:67], v[34:35], -v[10:11]
	v_mul_f64 v[72:73], v[8:9], v[34:35]
	v_fmac_f64_e32 v[50:51], v[8:9], v[24:25]
	v_fmac_f64_e32 v[64:65], v[10:11], v[24:25]
	;; [unrolled: 1-line block ×4, first 2 shown]
	s_waitcnt vmcnt(2)
	v_mul_f64 v[8:9], v[30:31], -v[18:19]
	v_mul_f64 v[10:11], v[16:17], v[30:31]
	s_waitcnt vmcnt(1)
	v_mul_f64 v[74:75], v[38:39], -v[18:19]
	v_mul_f64 v[76:77], v[16:17], v[38:39]
	v_fmac_f64_e32 v[8:9], v[16:17], v[28:29]
	v_fmac_f64_e32 v[10:11], v[18:19], v[28:29]
	;; [unrolled: 1-line block ×4, first 2 shown]
	v_add_f64 v[50:51], v[50:51], -v[8:9]
	v_add_f64 v[64:65], v[64:65], -v[10:11]
	;; [unrolled: 1-line block ×4, first 2 shown]
	v_mul_f64 v[8:9], v[48:49], -v[64:65]
	v_mul_f64 v[10:11], v[48:49], v[50:51]
	v_mul_f64 v[16:17], v[48:49], -v[72:73]
	v_mul_f64 v[18:19], v[48:49], v[66:67]
	v_fmac_f64_e32 v[8:9], v[50:51], v[46:47]
	v_fmac_f64_e32 v[10:11], v[64:65], v[46:47]
	v_fmac_f64_e32 v[16:17], v[66:67], v[46:47]
	v_fmac_f64_e32 v[18:19], v[72:73], v[46:47]
	global_store_dwordx4 v[68:69], v[8:11], off
	global_store_dwordx4 v[70:71], v[16:19], off
	global_store_dword v[78:79], v60, off
	s_and_saveexec_b64 s[26:27], s[0:1]
	s_cbranch_execz .LBB287_58
; %bb.57:                               ;   in Loop: Header=BB287_5 Depth=1
	v_mul_f64 v[8:9], v[6:7], v[26:27]
	v_mul_f64 v[10:11], v[26:27], -v[4:5]
	v_mul_f64 v[16:17], v[30:31], -v[2:3]
	v_mul_f64 v[18:19], v[0:1], v[30:31]
	v_fma_f64 v[8:9], -v[4:5], v[24:25], v[8:9]
	v_fma_f64 v[10:11], -v[6:7], v[24:25], v[10:11]
	v_fmac_f64_e32 v[16:17], v[0:1], v[28:29]
	v_fmac_f64_e32 v[18:19], v[2:3], v[28:29]
	v_add_f64 v[16:17], v[8:9], v[16:17]
	v_add_f64 v[18:19], v[10:11], v[18:19]
	v_mul_f64 v[8:9], v[48:49], -v[18:19]
	v_mul_f64 v[10:11], v[48:49], v[16:17]
	v_fmac_f64_e32 v[8:9], v[16:17], v[46:47]
	v_fmac_f64_e32 v[10:11], v[18:19], v[46:47]
	global_store_dwordx4 v[56:57], v[8:11], off
	v_mul_f64 v[16:17], v[38:39], -v[2:3]
	v_mul_f64 v[18:19], v[0:1], v[38:39]
	v_mul_f64 v[8:9], v[6:7], v[34:35]
	v_mul_f64 v[10:11], v[34:35], -v[4:5]
	v_fma_f64 v[8:9], -v[4:5], v[32:33], v[8:9]
	v_fma_f64 v[10:11], -v[6:7], v[32:33], v[10:11]
	v_fmac_f64_e32 v[16:17], v[0:1], v[36:37]
	v_fmac_f64_e32 v[18:19], v[2:3], v[36:37]
	v_add_f64 v[16:17], v[8:9], v[16:17]
	v_add_f64 v[18:19], v[10:11], v[18:19]
	v_mul_f64 v[8:9], v[48:49], -v[18:19]
	v_mul_f64 v[10:11], v[48:49], v[16:17]
	v_fmac_f64_e32 v[8:9], v[16:17], v[46:47]
	v_fmac_f64_e32 v[10:11], v[18:19], v[46:47]
	v_mul_f64 v[16:17], v[0:1], v[14:15]
	global_store_dwordx4 v[54:55], v[8:11], off
	v_fmac_f64_e32 v[16:17], v[2:3], v[12:13]
	s_nop 0
	v_mul_f64 v[10:11], v[14:15], -v[2:3]
	v_fmac_f64_e32 v[10:11], v[0:1], v[12:13]
	v_mul_f64 v[8:9], v[48:49], -v[16:17]
	v_fmac_f64_e32 v[8:9], v[10:11], v[46:47]
	v_mul_f64 v[10:11], v[48:49], v[10:11]
	v_fmac_f64_e32 v[10:11], v[16:17], v[46:47]
	v_lshl_add_u64 v[16:17], v[52:53], 4, s[14:15]
	global_store_dwordx4 v[16:17], v[8:11], off
	s_nop 1
	v_lshl_add_u64 v[8:9], v[52:53], 2, s[6:7]
	global_store_dword v[8:9], v60, off
.LBB287_58:                             ;   in Loop: Header=BB287_5 Depth=1
	s_or_b64 exec, exec, s[26:27]
	v_mov_b64_e32 v[10:11], 0
	v_mov_b64_e32 v[8:9], 0
	s_and_saveexec_b64 s[26:27], s[2:3]
	s_cbranch_execz .LBB287_60
; %bb.59:                               ;   in Loop: Header=BB287_5 Depth=1
	v_add_u32_e32 v8, v41, v44
	v_ashrrev_i32_e32 v9, 31, v8
	v_lshlrev_b64 v[16:17], 4, v[8:9]
	v_lshl_add_u64 v[32:33], s[10:11], 0, v[16:17]
	v_lshl_add_u64 v[16:17], s[18:19], 0, v[16:17]
	global_load_dwordx4 v[8:11], v[32:33], off
	v_mul_f64 v[34:35], v[6:7], v[22:23]
	global_load_dwordx4 v[16:19], v[16:17], off
	v_mul_f64 v[36:37], v[22:23], -v[4:5]
	v_mul_f64 v[38:39], v[22:23], -v[2:3]
	v_mul_f64 v[50:51], v[0:1], v[22:23]
	v_mul_f64 v[52:53], v[2:3], -v[22:23]
	v_mul_f64 v[54:55], v[2:3], v[20:21]
	v_fma_f64 v[4:5], -v[4:5], v[20:21], v[34:35]
	v_fma_f64 v[6:7], -v[6:7], v[20:21], v[36:37]
	v_fmac_f64_e32 v[38:39], v[0:1], v[20:21]
	v_fmac_f64_e32 v[50:51], v[2:3], v[20:21]
	;; [unrolled: 1-line block ×4, first 2 shown]
	v_mul_f64 v[0:1], v[48:49], -v[6:7]
	v_mul_f64 v[2:3], v[48:49], v[4:5]
	v_mul_f64 v[20:21], v[48:49], -v[50:51]
	v_mul_f64 v[22:23], v[48:49], v[38:39]
	;; [unrolled: 2-line block ×3, first 2 shown]
	v_fmac_f64_e32 v[0:1], v[4:5], v[46:47]
	v_fmac_f64_e32 v[2:3], v[6:7], v[46:47]
	;; [unrolled: 1-line block ×6, first 2 shown]
	v_mul_f64 v[4:5], v[2:3], v[26:27]
	v_mul_f64 v[6:7], v[26:27], -v[0:1]
	v_mul_f64 v[12:13], v[30:31], -v[22:23]
	v_mul_f64 v[26:27], v[20:21], v[30:31]
	v_mul_f64 v[30:31], v[48:49], -v[14:15]
	v_mul_f64 v[36:37], v[48:49], v[34:35]
	v_fma_f64 v[0:1], -v[0:1], v[24:25], v[4:5]
	v_fma_f64 v[2:3], -v[2:3], v[24:25], v[6:7]
	v_fmac_f64_e32 v[12:13], v[20:21], v[28:29]
	v_fmac_f64_e32 v[26:27], v[22:23], v[28:29]
	;; [unrolled: 1-line block ×4, first 2 shown]
	v_add_f64 v[0:1], v[0:1], -v[12:13]
	v_add_f64 v[2:3], v[2:3], -v[26:27]
	s_waitcnt vmcnt(1)
	v_add_f64 v[0:1], v[0:1], v[8:9]
	v_add_f64 v[2:3], v[2:3], v[10:11]
	s_waitcnt vmcnt(0)
	v_add_f64 v[8:9], v[16:17], -v[30:31]
	v_add_f64 v[10:11], v[18:19], -v[36:37]
	global_store_dwordx4 v[32:33], v[0:3], off
.LBB287_60:                             ;   in Loop: Header=BB287_5 Depth=1
	s_or_b64 exec, exec, s[26:27]
	s_nop 0
	v_mov_b64_e32 v[2:3], v[10:11]
	v_mov_b64_e32 v[0:1], v[8:9]
                                        ; implicit-def: $vgpr4_vgpr5
                                        ; implicit-def: $vgpr8_vgpr9
                                        ; implicit-def: $vgpr48_vgpr49
                                        ; implicit-def: $vgpr50_vgpr51
                                        ; implicit-def: $vgpr46_vgpr47
                                        ; implicit-def: $vgpr18_vgpr19
.LBB287_61:                             ;   in Loop: Header=BB287_5 Depth=1
	s_or_saveexec_b64 s[2:3], s[4:5]
	v_mov_b32_e32 v12, s31
	s_xor_b64 exec, exec, s[2:3]
	s_cbranch_execz .LBB287_4
; %bb.62:                               ;   in Loop: Header=BB287_5 Depth=1
	v_ashrrev_i32_e32 v45, 31, v44
	v_lshl_add_u64 v[28:29], v[44:45], 4, v[42:43]
	v_lshlrev_b64 v[24:25], 4, v[46:47]
	global_load_dwordx4 v[12:15], v[28:29], off
	v_lshl_add_u64 v[30:31], s[12:13], 0, v[24:25]
	global_load_dwordx4 v[20:23], v[30:31], off
	v_mul_f64 v[26:27], v[2:3], v[2:3]
	v_fmac_f64_e32 v[26:27], v[0:1], v[0:1]
	v_fma_f64 v[32:33], 0, v[2:3], v[0:1]
	v_fma_f64 v[2:3], v[0:1], 0, -v[2:3]
	v_div_scale_f64 v[0:1], s[4:5], v[26:27], v[26:27], 1.0
	v_rcp_f64_e32 v[36:37], v[0:1]
	v_lshl_add_u64 v[34:35], v[46:47], 2, s[6:7]
	v_lshl_add_u64 v[38:39], s[14:15], 0, v[24:25]
	v_div_scale_f64 v[24:25], vcc, 1.0, v[26:27], 1.0
	v_fma_f64 v[46:47], -v[0:1], v[36:37], 1.0
	v_fmac_f64_e32 v[36:37], v[36:37], v[46:47]
	v_fma_f64 v[46:47], -v[0:1], v[36:37], 1.0
	v_fmac_f64_e32 v[36:37], v[36:37], v[46:47]
	v_mul_f64 v[46:47], v[24:25], v[36:37]
	v_fma_f64 v[0:1], -v[0:1], v[46:47], v[24:25]
	v_div_fmas_f64 v[0:1], v[0:1], v[36:37], v[46:47]
	v_div_fixup_f64 v[24:25], v[0:1], v[26:27], 1.0
	v_mul_f64 v[2:3], v[2:3], v[24:25]
	v_mul_f64 v[0:1], v[32:33], v[24:25]
	v_mul_f64 v[24:25], v[2:3], -v[18:19]
	v_mul_f64 v[26:27], v[2:3], v[16:17]
	v_fmac_f64_e32 v[24:25], v[16:17], v[0:1]
	v_fmac_f64_e32 v[26:27], v[18:19], v[0:1]
	global_store_dwordx4 v[38:39], v[24:27], off
	s_waitcnt vmcnt(2)
	v_mul_f64 v[16:17], v[2:3], -v[14:15]
	v_mul_f64 v[18:19], v[2:3], v[12:13]
	s_waitcnt vmcnt(1)
	v_mul_f64 v[24:25], v[2:3], -v[22:23]
	v_mul_f64 v[26:27], v[2:3], v[20:21]
	v_fmac_f64_e32 v[16:17], v[12:13], v[0:1]
	v_fmac_f64_e32 v[18:19], v[14:15], v[0:1]
	;; [unrolled: 1-line block ×4, first 2 shown]
	global_store_dwordx4 v[28:29], v[16:19], off
	global_store_dwordx4 v[30:31], v[24:27], off
	global_store_dword v[34:35], v61, off
	s_and_saveexec_b64 s[4:5], s[0:1]
	s_cbranch_execz .LBB287_3
; %bb.63:                               ;   in Loop: Header=BB287_5 Depth=1
	v_add_u32_e32 v16, v58, v44
	v_ashrrev_i32_e32 v17, 31, v16
	v_lshl_add_u64 v[20:21], v[16:17], 4, s[10:11]
	global_load_dwordx4 v[16:19], v[20:21], off
	v_mul_f64 v[22:23], v[2:3], v[4:5]
	v_mul_f64 v[24:25], v[2:3], -v[6:7]
	v_fmac_f64_e32 v[22:23], v[6:7], v[0:1]
	v_fmac_f64_e32 v[24:25], v[4:5], v[0:1]
	v_mul_f64 v[4:5], v[22:23], v[14:15]
	v_mul_f64 v[6:7], v[14:15], -v[24:25]
	v_fma_f64 v[4:5], -v[24:25], v[12:13], v[4:5]
	v_fma_f64 v[6:7], -v[22:23], v[12:13], v[6:7]
	s_waitcnt vmcnt(0)
	v_add_f64 v[4:5], v[4:5], v[16:17]
	v_add_f64 v[6:7], v[6:7], v[18:19]
	global_store_dwordx4 v[20:21], v[4:7], off
	s_branch .LBB287_3
.LBB287_64:
	s_or_b64 exec, exec, s[20:21]
.LBB287_65:
	v_subrev_u32_e32 v2, s28, v44
	v_add_u32_e32 v0, v2, v40
	v_ashrrev_i32_e32 v1, 31, v0
	s_waitcnt lgkmcnt(0)
	v_lshl_add_u64 v[0:1], v[0:1], 2, s[6:7]
	buffer_wbl2 sc1
	s_waitcnt vmcnt(0)
	buffer_inv sc1
	global_load_dword v0, v[0:1], off
	s_waitcnt vmcnt(0)
	v_mul_lo_u32 v0, v0, s28
	v_sub_u32_e32 v4, v2, v0
	v_cmp_lt_i32_e32 vcc, -1, v4
	s_and_b64 exec, exec, vcc
	s_cbranch_execz .LBB287_72
; %bb.66:
	v_subrev_u32_e32 v12, s28, v40
	s_lshl_b32 s4, s28, 1
	s_mov_b64 s[0:1], 0
	s_branch .LBB287_68
.LBB287_67:                             ;   in Loop: Header=BB287_68 Depth=1
	s_or_b64 exec, exec, s[2:3]
	v_lshl_add_u64 v[6:7], v[6:7], 4, s[12:13]
	global_load_dwordx4 v[0:3], v[6:7], off
	v_sub_u32_e32 v4, v4, v5
	v_cmp_gt_i32_e32 vcc, 0, v4
	s_or_b64 s[0:1], vcc, s[0:1]
	s_waitcnt vmcnt(0)
	v_add_f64 v[0:1], v[0:1], v[8:9]
	v_add_f64 v[2:3], v[10:11], v[2:3]
	global_store_dwordx4 v[6:7], v[0:3], off
	s_andn2_b64 exec, exec, s[0:1]
	s_cbranch_execz .LBB287_72
.LBB287_68:                             ; =>This Inner Loop Header: Depth=1
	v_add_u32_e32 v6, v4, v40
	v_ashrrev_i32_e32 v7, 31, v6
	v_lshl_add_u64 v[0:1], v[6:7], 2, s[6:7]
	global_load_dword v5, v[0:1], off
	v_lshl_add_u64 v[0:1], v[6:7], 4, s[14:15]
	global_load_dwordx4 v[0:3], v[0:1], off
                                        ; implicit-def: $vgpr10_vgpr11
                                        ; implicit-def: $vgpr8_vgpr9
	s_waitcnt vmcnt(1)
	v_cmp_ne_u32_e32 vcc, 1, v5
	s_and_saveexec_b64 s[2:3], vcc
	s_xor_b64 s[2:3], exec, s[2:3]
	s_cbranch_execz .LBB287_70
; %bb.69:                               ;   in Loop: Header=BB287_68 Depth=1
	v_add_u32_e32 v8, v58, v4
	v_ashrrev_i32_e32 v9, 31, v8
	v_lshlrev_b64 v[14:15], 4, v[8:9]
	v_lshl_add_u64 v[30:31], s[10:11], 0, v[14:15]
	global_load_dwordx4 v[8:11], v[30:31], off
	v_lshl_add_u64 v[32:33], s[12:13], 0, v[14:15]
	v_ashrrev_i32_e32 v5, 31, v4
	global_load_dwordx4 v[14:17], v[32:33], off
	v_lshl_add_u64 v[34:35], v[4:5], 4, v[42:43]
	global_load_dwordx4 v[18:21], v[34:35], off
	v_lshl_add_u64 v[36:37], v[6:7], 4, s[12:13]
	global_load_dwordx4 v[22:25], v[36:37], off
	v_add_u32_e32 v38, v12, v4
	v_ashrrev_i32_e32 v39, 31, v38
	v_lshlrev_b64 v[44:45], 4, v[38:39]
	v_lshl_add_u64 v[6:7], s[14:15], 0, v[44:45]
	global_load_dwordx4 v[26:29], v[6:7], off
	s_waitcnt vmcnt(4)
	v_mul_f64 v[6:7], v[2:3], v[10:11]
	v_mul_f64 v[10:11], v[10:11], -v[0:1]
	v_fma_f64 v[6:7], -v[0:1], v[8:9], v[6:7]
	s_waitcnt vmcnt(3)
	v_mul_f64 v[46:47], v[2:3], v[16:17]
	v_mul_f64 v[16:17], v[16:17], -v[0:1]
	v_fma_f64 v[8:9], -v[2:3], v[8:9], v[10:11]
	v_fma_f64 v[10:11], -v[0:1], v[14:15], v[46:47]
	;; [unrolled: 1-line block ×3, first 2 shown]
	s_waitcnt vmcnt(2)
	v_add_f64 v[0:1], v[18:19], v[6:7]
	v_add_f64 v[2:3], v[8:9], v[20:21]
	global_store_dwordx4 v[34:35], v[0:3], off
	s_waitcnt vmcnt(2)
	v_add_f64 v[6:7], v[22:23], v[10:11]
	v_add_f64 v[8:9], v[14:15], v[24:25]
	global_load_dwordx4 v[0:3], v[30:31], off
	v_lshl_add_u64 v[18:19], s[10:11], 0, v[44:45]
	global_store_dwordx4 v[36:37], v[6:9], off
	global_load_dwordx4 v[6:9], v[32:33], off
	s_waitcnt vmcnt(0)
	v_mul_f64 v[20:21], v[28:29], v[8:9]
	global_load_dwordx4 v[14:17], v[18:19], off
	v_mul_f64 v[10:11], v[28:29], v[2:3]
	v_mul_f64 v[2:3], v[2:3], -v[26:27]
	v_fma_f64 v[24:25], -v[26:27], v[0:1], v[10:11]
	v_fma_f64 v[2:3], -v[28:29], v[0:1], v[2:3]
	v_mul_f64 v[22:23], v[8:9], -v[26:27]
	v_fma_f64 v[8:9], -v[26:27], v[6:7], v[20:21]
	v_fma_f64 v[10:11], -v[28:29], v[6:7], v[22:23]
	v_mov_b64_e32 v[6:7], v[38:39]
	s_waitcnt vmcnt(0)
	v_add_f64 v[0:1], v[14:15], v[24:25]
	v_add_f64 v[2:3], v[2:3], v[16:17]
	global_store_dwordx4 v[18:19], v[0:3], off
                                        ; implicit-def: $vgpr2_vgpr3
.LBB287_70:                             ;   in Loop: Header=BB287_68 Depth=1
	s_or_saveexec_b64 s[2:3], s[2:3]
	v_mov_b32_e32 v5, s4
	s_xor_b64 exec, exec, s[2:3]
	s_cbranch_execz .LBB287_67
; %bb.71:                               ;   in Loop: Header=BB287_68 Depth=1
	v_add_u32_e32 v8, v58, v4
	v_ashrrev_i32_e32 v9, 31, v8
	v_lshlrev_b64 v[14:15], 4, v[8:9]
	v_lshl_add_u64 v[8:9], s[10:11], 0, v[14:15]
	global_load_dwordx4 v[8:11], v[8:9], off
	v_lshl_add_u64 v[14:15], s[12:13], 0, v[14:15]
	v_ashrrev_i32_e32 v5, 31, v4
	global_load_dwordx4 v[14:17], v[14:15], off
	v_lshl_add_u64 v[22:23], v[4:5], 4, v[42:43]
	global_load_dwordx4 v[18:21], v[22:23], off
	v_mov_b32_e32 v5, s28
	s_waitcnt vmcnt(2)
	v_mul_f64 v[24:25], v[2:3], v[10:11]
	v_mul_f64 v[10:11], v[10:11], -v[0:1]
	v_fma_f64 v[24:25], -v[0:1], v[8:9], v[24:25]
	s_waitcnt vmcnt(1)
	v_mul_f64 v[26:27], v[2:3], v[16:17]
	v_mul_f64 v[16:17], v[16:17], -v[0:1]
	v_fma_f64 v[28:29], -v[2:3], v[8:9], v[10:11]
	v_fma_f64 v[8:9], -v[0:1], v[14:15], v[26:27]
	;; [unrolled: 1-line block ×3, first 2 shown]
	s_waitcnt vmcnt(0)
	v_add_f64 v[0:1], v[18:19], v[24:25]
	v_add_f64 v[2:3], v[28:29], v[20:21]
	global_store_dwordx4 v[22:23], v[0:3], off
	s_branch .LBB287_67
.LBB287_72:
	s_endpgm
	.section	.rodata,"a",@progbits
	.p2align	6, 0x0
	.amdhsa_kernel _ZN9rocsparseL18gtsv_LBM_wv_kernelILj256ELj4E21rocsparse_complex_numIdEEEviiiPKT1_S5_S5_PS3_S6_S6_Pi
		.amdhsa_group_segment_fixed_size 0
		.amdhsa_private_segment_fixed_size 0
		.amdhsa_kernarg_size 72
		.amdhsa_user_sgpr_count 2
		.amdhsa_user_sgpr_dispatch_ptr 0
		.amdhsa_user_sgpr_queue_ptr 0
		.amdhsa_user_sgpr_kernarg_segment_ptr 1
		.amdhsa_user_sgpr_dispatch_id 0
		.amdhsa_user_sgpr_kernarg_preload_length 0
		.amdhsa_user_sgpr_kernarg_preload_offset 0
		.amdhsa_user_sgpr_private_segment_size 0
		.amdhsa_uses_dynamic_stack 0
		.amdhsa_enable_private_segment 0
		.amdhsa_system_sgpr_workgroup_id_x 1
		.amdhsa_system_sgpr_workgroup_id_y 0
		.amdhsa_system_sgpr_workgroup_id_z 0
		.amdhsa_system_sgpr_workgroup_info 0
		.amdhsa_system_vgpr_workitem_id 0
		.amdhsa_next_free_vgpr 84
		.amdhsa_next_free_sgpr 36
		.amdhsa_accum_offset 84
		.amdhsa_reserve_vcc 1
		.amdhsa_float_round_mode_32 0
		.amdhsa_float_round_mode_16_64 0
		.amdhsa_float_denorm_mode_32 3
		.amdhsa_float_denorm_mode_16_64 3
		.amdhsa_dx10_clamp 1
		.amdhsa_ieee_mode 1
		.amdhsa_fp16_overflow 0
		.amdhsa_tg_split 0
		.amdhsa_exception_fp_ieee_invalid_op 0
		.amdhsa_exception_fp_denorm_src 0
		.amdhsa_exception_fp_ieee_div_zero 0
		.amdhsa_exception_fp_ieee_overflow 0
		.amdhsa_exception_fp_ieee_underflow 0
		.amdhsa_exception_fp_ieee_inexact 0
		.amdhsa_exception_int_div_zero 0
	.end_amdhsa_kernel
	.section	.text._ZN9rocsparseL18gtsv_LBM_wv_kernelILj256ELj4E21rocsparse_complex_numIdEEEviiiPKT1_S5_S5_PS3_S6_S6_Pi,"axG",@progbits,_ZN9rocsparseL18gtsv_LBM_wv_kernelILj256ELj4E21rocsparse_complex_numIdEEEviiiPKT1_S5_S5_PS3_S6_S6_Pi,comdat
.Lfunc_end287:
	.size	_ZN9rocsparseL18gtsv_LBM_wv_kernelILj256ELj4E21rocsparse_complex_numIdEEEviiiPKT1_S5_S5_PS3_S6_S6_Pi, .Lfunc_end287-_ZN9rocsparseL18gtsv_LBM_wv_kernelILj256ELj4E21rocsparse_complex_numIdEEEviiiPKT1_S5_S5_PS3_S6_S6_Pi
                                        ; -- End function
	.set _ZN9rocsparseL18gtsv_LBM_wv_kernelILj256ELj4E21rocsparse_complex_numIdEEEviiiPKT1_S5_S5_PS3_S6_S6_Pi.num_vgpr, 84
	.set _ZN9rocsparseL18gtsv_LBM_wv_kernelILj256ELj4E21rocsparse_complex_numIdEEEviiiPKT1_S5_S5_PS3_S6_S6_Pi.num_agpr, 0
	.set _ZN9rocsparseL18gtsv_LBM_wv_kernelILj256ELj4E21rocsparse_complex_numIdEEEviiiPKT1_S5_S5_PS3_S6_S6_Pi.numbered_sgpr, 36
	.set _ZN9rocsparseL18gtsv_LBM_wv_kernelILj256ELj4E21rocsparse_complex_numIdEEEviiiPKT1_S5_S5_PS3_S6_S6_Pi.num_named_barrier, 0
	.set _ZN9rocsparseL18gtsv_LBM_wv_kernelILj256ELj4E21rocsparse_complex_numIdEEEviiiPKT1_S5_S5_PS3_S6_S6_Pi.private_seg_size, 0
	.set _ZN9rocsparseL18gtsv_LBM_wv_kernelILj256ELj4E21rocsparse_complex_numIdEEEviiiPKT1_S5_S5_PS3_S6_S6_Pi.uses_vcc, 1
	.set _ZN9rocsparseL18gtsv_LBM_wv_kernelILj256ELj4E21rocsparse_complex_numIdEEEviiiPKT1_S5_S5_PS3_S6_S6_Pi.uses_flat_scratch, 0
	.set _ZN9rocsparseL18gtsv_LBM_wv_kernelILj256ELj4E21rocsparse_complex_numIdEEEviiiPKT1_S5_S5_PS3_S6_S6_Pi.has_dyn_sized_stack, 0
	.set _ZN9rocsparseL18gtsv_LBM_wv_kernelILj256ELj4E21rocsparse_complex_numIdEEEviiiPKT1_S5_S5_PS3_S6_S6_Pi.has_recursion, 0
	.set _ZN9rocsparseL18gtsv_LBM_wv_kernelILj256ELj4E21rocsparse_complex_numIdEEEviiiPKT1_S5_S5_PS3_S6_S6_Pi.has_indirect_call, 0
	.section	.AMDGPU.csdata,"",@progbits
; Kernel info:
; codeLenInByte = 6664
; TotalNumSgprs: 42
; NumVgprs: 84
; NumAgprs: 0
; TotalNumVgprs: 84
; ScratchSize: 0
; MemoryBound: 1
; FloatMode: 240
; IeeeMode: 1
; LDSByteSize: 0 bytes/workgroup (compile time only)
; SGPRBlocks: 5
; VGPRBlocks: 10
; NumSGPRsForWavesPerEU: 42
; NumVGPRsForWavesPerEU: 84
; AccumOffset: 84
; Occupancy: 5
; WaveLimiterHint : 0
; COMPUTE_PGM_RSRC2:SCRATCH_EN: 0
; COMPUTE_PGM_RSRC2:USER_SGPR: 2
; COMPUTE_PGM_RSRC2:TRAP_HANDLER: 0
; COMPUTE_PGM_RSRC2:TGID_X_EN: 1
; COMPUTE_PGM_RSRC2:TGID_Y_EN: 0
; COMPUTE_PGM_RSRC2:TGID_Z_EN: 0
; COMPUTE_PGM_RSRC2:TIDIG_COMP_CNT: 0
; COMPUTE_PGM_RSRC3_GFX90A:ACCUM_OFFSET: 20
; COMPUTE_PGM_RSRC3_GFX90A:TG_SPLIT: 0
	.section	.text._ZN9rocsparseL19gtsv_LBM_rhs_kernelILj256ELj4ELj8E21rocsparse_complex_numIdEEEviiiPKT2_S5_S5_PS3_S5_PKi,"axG",@progbits,_ZN9rocsparseL19gtsv_LBM_rhs_kernelILj256ELj4ELj8E21rocsparse_complex_numIdEEEviiiPKT2_S5_S5_PS3_S5_PKi,comdat
	.globl	_ZN9rocsparseL19gtsv_LBM_rhs_kernelILj256ELj4ELj8E21rocsparse_complex_numIdEEEviiiPKT2_S5_S5_PS3_S5_PKi ; -- Begin function _ZN9rocsparseL19gtsv_LBM_rhs_kernelILj256ELj4ELj8E21rocsparse_complex_numIdEEEviiiPKT2_S5_S5_PS3_S5_PKi
	.p2align	8
	.type	_ZN9rocsparseL19gtsv_LBM_rhs_kernelILj256ELj4ELj8E21rocsparse_complex_numIdEEEviiiPKT2_S5_S5_PS3_S5_PKi,@function
_ZN9rocsparseL19gtsv_LBM_rhs_kernelILj256ELj4ELj8E21rocsparse_complex_numIdEEEviiiPKT2_S5_S5_PS3_S5_PKi: ; @_ZN9rocsparseL19gtsv_LBM_rhs_kernelILj256ELj4ELj8E21rocsparse_complex_numIdEEEviiiPKT2_S5_S5_PS3_S5_PKi
; %bb.0:
	s_load_dword s23, s[0:1], 0x0
	v_lshl_or_b32 v44, s2, 8, v0
	s_waitcnt lgkmcnt(0)
	s_lshr_b32 s22, s23, 2
	v_cmp_gt_i32_e32 vcc, s22, v44
	s_and_saveexec_b64 s[4:5], vcc
	s_cbranch_execz .LBB288_29
; %bb.1:
	s_load_dwordx4 s[8:11], s[0:1], 0x28
	s_load_dwordx2 s[6:7], s[0:1], 0x38
	s_cmp_lt_i32 s23, 1
	v_add_u32_e32 v114, s22, v44
	s_mul_i32 s24, s3, s23
	s_cbranch_scc1 .LBB288_21
; %bb.2:
	s_load_dwordx4 s[12:15], s[0:1], 0x10
	s_load_dwordx2 s[16:17], s[0:1], 0x20
	v_ashrrev_i32_e32 v45, 31, v44
	s_lshl_b32 s27, s24, 3
	s_add_i32 s28, s27, s23
	s_waitcnt lgkmcnt(0)
	v_lshl_add_u64 v[0:1], v[44:45], 4, s[14:15]
	global_load_dwordx4 v[0:3], v[0:1], off
	s_add_i32 s29, s28, s23
	s_add_i32 s30, s29, s23
	;; [unrolled: 1-line block ×5, first 2 shown]
	s_mul_i32 s25, s22, 3
	s_lshl_b32 s26, s22, 1
	v_add_u32_e32 v45, s22, v114
	s_add_i32 s35, s34, s23
	v_mov_b32_e32 v47, 0
	s_mov_b64 s[18:19], 0
	v_mov_b32_e32 v115, 0
	s_branch .LBB288_5
.LBB288_3:                              ;   in Loop: Header=BB288_5 Depth=1
	s_or_b64 exec, exec, s[4:5]
	v_fmac_f64_e32 v[50:51], v[4:5], v[8:9]
	v_fmac_f64_e32 v[48:49], v[6:7], v[8:9]
	v_mul_f64 v[0:1], v[52:53], -v[48:49]
	v_mul_f64 v[2:3], v[52:53], v[50:51]
	v_fmac_f64_e32 v[0:1], v[50:51], v[10:11]
	v_fmac_f64_e32 v[2:3], v[48:49], v[10:11]
	v_add_f64 v[0:1], v[12:13], -v[0:1]
	v_add_f64 v[2:3], v[14:15], -v[2:3]
	v_mov_b32_e32 v10, s22
.LBB288_4:                              ;   in Loop: Header=BB288_5 Depth=1
	s_or_b64 exec, exec, s[2:3]
	v_add_u32_e32 v115, v10, v115
	v_cmp_le_i32_e32 vcc, s23, v115
	s_or_b64 s[18:19], vcc, s[18:19]
	s_andn2_b64 exec, exec, s[18:19]
	s_cbranch_execz .LBB288_20
.LBB288_5:                              ; =>This Inner Loop Header: Depth=1
	v_add_u32_e32 v24, v115, v44
	v_ashrrev_i32_e32 v25, 31, v24
	v_lshl_add_u64 v[4:5], v[24:25], 4, s[16:17]
	global_load_dwordx4 v[8:11], v[4:5], off
	v_cmp_gt_u32_e64 s[0:1], s25, v115
	v_mov_b64_e32 v[12:13], 0
	v_mov_b64_e32 v[4:5], 0
	;; [unrolled: 1-line block ×3, first 2 shown]
	s_and_saveexec_b64 s[2:3], s[0:1]
	s_cbranch_execz .LBB288_7
; %bb.6:                                ;   in Loop: Header=BB288_5 Depth=1
	v_add_u32_e32 v4, v114, v115
	v_ashrrev_i32_e32 v5, 31, v4
	v_lshl_add_u64 v[4:5], v[4:5], 4, s[12:13]
	global_load_dwordx4 v[4:7], v[4:5], off
.LBB288_7:                              ;   in Loop: Header=BB288_5 Depth=1
	s_or_b64 exec, exec, s[2:3]
	v_mov_b64_e32 v[14:15], 0
	s_and_saveexec_b64 s[2:3], s[0:1]
	s_cbranch_execz .LBB288_9
; %bb.8:                                ;   in Loop: Header=BB288_5 Depth=1
	v_add_u32_e32 v12, v114, v115
	v_ashrrev_i32_e32 v13, 31, v12
	v_lshl_add_u64 v[12:13], v[12:13], 4, s[14:15]
	global_load_dwordx4 v[12:15], v[12:13], off
.LBB288_9:                              ;   in Loop: Header=BB288_5 Depth=1
	s_or_b64 exec, exec, s[2:3]
	v_mov_b64_e32 v[20:21], 0
	v_mov_b64_e32 v[16:17], 0
	;; [unrolled: 1-line block ×3, first 2 shown]
	s_and_saveexec_b64 s[2:3], s[0:1]
	s_cbranch_execz .LBB288_11
; %bb.10:                               ;   in Loop: Header=BB288_5 Depth=1
	v_add_u32_e32 v16, v114, v115
	v_ashrrev_i32_e32 v17, 31, v16
	v_lshl_add_u64 v[16:17], v[16:17], 4, s[16:17]
	global_load_dwordx4 v[16:19], v[16:17], off
.LBB288_11:                             ;   in Loop: Header=BB288_5 Depth=1
	s_or_b64 exec, exec, s[2:3]
	v_cmp_gt_u32_e64 s[2:3], s26, v115
	v_mov_b64_e32 v[22:23], 0
	s_and_saveexec_b64 s[4:5], s[2:3]
	s_cbranch_execz .LBB288_13
; %bb.12:                               ;   in Loop: Header=BB288_5 Depth=1
	v_add_u32_e32 v20, v45, v115
	v_ashrrev_i32_e32 v21, 31, v20
	v_lshl_add_u64 v[20:21], v[20:21], 4, s[12:13]
	global_load_dwordx4 v[20:23], v[20:21], off
.LBB288_13:                             ;   in Loop: Header=BB288_5 Depth=1
	s_or_b64 exec, exec, s[4:5]
	v_lshl_add_u64 v[26:27], v[24:25], 2, s[6:7]
	global_load_dword v25, v[26:27], off
	v_cmp_ne_u32_e32 vcc, s25, v115
	s_waitcnt vmcnt(1)
	v_mul_f64 v[50:51], v[10:11], -v[6:7]
	v_mul_f64 v[48:49], v[10:11], v[4:5]
	v_add_u32_e32 v46, s27, v24
	v_add_u32_e32 v42, s28, v24
	v_add_u32_e32 v40, s29, v24
	v_add_u32_e32 v38, s30, v24
	v_add_u32_e32 v36, s31, v24
	v_add_u32_e32 v32, s33, v24
	v_add_u32_e32 v30, s34, v24
	v_add_u32_e32 v28, s35, v24
	s_waitcnt vmcnt(0)
	v_cmp_ne_u32_e64 s[4:5], 1, v25
	s_and_b64 s[4:5], vcc, s[4:5]
	s_and_saveexec_b64 s[20:21], s[4:5]
	s_xor_b64 s[4:5], exec, s[20:21]
	s_cbranch_execz .LBB288_17
; %bb.14:                               ;   in Loop: Header=BB288_5 Depth=1
	v_add_u32_e32 v82, v114, v115
	v_lshl_add_u64 v[34:35], v[46:47], 4, s[8:9]
	v_add_u32_e32 v46, s27, v82
	v_lshl_add_u64 v[54:55], v[46:47], 4, s[8:9]
	global_load_dwordx4 v[24:27], v[34:35], off
	global_load_dwordx4 v[56:59], v[54:55], off
	v_mov_b32_e32 v43, v47
	v_add_u32_e32 v46, s28, v82
	v_lshl_add_u64 v[42:43], v[42:43], 4, s[8:9]
	v_lshl_add_u64 v[72:73], v[46:47], 4, s[8:9]
	global_load_dwordx4 v[60:63], v[42:43], off
	global_load_dwordx4 v[64:67], v[72:73], off
	v_mul_f64 v[68:69], v[14:15], -v[2:3]
	v_mul_f64 v[70:71], v[0:1], v[14:15]
	v_mov_b32_e32 v41, v47
	v_add_u32_e32 v46, s29, v82
	v_fmac_f64_e32 v[50:51], v[4:5], v[8:9]
	v_fmac_f64_e32 v[48:49], v[6:7], v[8:9]
	v_mov_b32_e32 v39, v47
	v_mov_b32_e32 v37, v47
	;; [unrolled: 1-line block ×4, first 2 shown]
	v_fmac_f64_e32 v[68:69], v[0:1], v[12:13]
	v_fmac_f64_e32 v[70:71], v[2:3], v[12:13]
	v_lshl_add_u64 v[52:53], v[40:41], 4, s[8:9]
	v_lshl_add_u64 v[112:113], v[46:47], 4, s[8:9]
	;; [unrolled: 1-line block ×6, first 2 shown]
	v_add_f64 v[28:29], v[68:69], -v[50:51]
	v_add_f64 v[30:31], v[70:71], -v[48:49]
	global_load_dwordx4 v[48:51], v[52:53], off
	global_load_dwordx4 v[76:79], v[40:41], off
	global_load_dwordx4 v[116:119], v[38:39], off
	global_load_dwordx4 v[120:123], v[112:113], off
	v_add_u32_e32 v46, s30, v82
	v_lshl_add_u64 v[110:111], v[46:47], 4, s[8:9]
	global_load_dwordx4 v[124:127], v[110:111], off
	v_add_u32_e32 v46, s31, v82
	v_lshl_add_u64 v[108:109], v[46:47], 4, s[8:9]
	global_load_dwordx4 v[128:131], v[108:109], off
	v_add_u32_e32 v46, s33, v82
	v_mov_b32_e32 v33, v47
	v_lshl_add_u64 v[106:107], v[46:47], 4, s[8:9]
	v_add_u32_e32 v46, s34, v82
	v_lshl_add_u64 v[32:33], v[32:33], 4, s[8:9]
	v_lshl_add_u64 v[104:105], v[46:47], 4, s[8:9]
	v_add_u32_e32 v46, s35, v82
	v_lshl_add_u64 v[102:103], v[46:47], 4, s[8:9]
	global_load_dwordx4 v[132:135], v[32:33], off
	global_load_dwordx4 v[136:139], v[36:37], off
	;; [unrolled: 1-line block ×6, first 2 shown]
	v_mul_f64 v[68:69], v[30:31], v[30:31]
	v_fmac_f64_e32 v[68:69], v[28:29], v[28:29]
	v_fma_f64 v[70:71], 0, v[30:31], v[28:29]
	v_fma_f64 v[30:31], v[28:29], 0, -v[30:31]
	v_div_scale_f64 v[28:29], s[20:21], v[68:69], v[68:69], 1.0
	v_rcp_f64_e32 v[80:81], v[28:29]
	v_div_scale_f64 v[74:75], vcc, 1.0, v[68:69], 1.0
	v_fma_f64 v[82:83], -v[28:29], v[80:81], 1.0
	v_fmac_f64_e32 v[80:81], v[80:81], v[82:83]
	v_fma_f64 v[82:83], -v[28:29], v[80:81], 1.0
	v_fmac_f64_e32 v[80:81], v[80:81], v[82:83]
	v_mul_f64 v[82:83], v[74:75], v[80:81]
	v_fma_f64 v[28:29], -v[28:29], v[82:83], v[74:75]
	v_div_fmas_f64 v[28:29], v[28:29], v[80:81], v[82:83]
	v_div_fixup_f64 v[68:69], v[28:29], v[68:69], 1.0
	v_mul_f64 v[30:31], v[30:31], v[68:69]
	v_mul_f64 v[28:29], v[70:71], v[68:69]
	s_waitcnt vmcnt(15)
	v_mul_f64 v[96:97], v[30:31], v[24:25]
	s_waitcnt vmcnt(14)
	v_mul_f64 v[98:99], v[30:31], v[56:57]
	v_mul_f64 v[84:85], v[30:31], -v[26:27]
	v_fmac_f64_e32 v[96:97], v[26:27], v[28:29]
	v_mul_f64 v[88:89], v[30:31], -v[58:59]
	v_fmac_f64_e32 v[98:99], v[58:59], v[28:29]
	v_fmac_f64_e32 v[84:85], v[24:25], v[28:29]
	v_mul_f64 v[24:25], v[96:97], -v[14:15]
	v_mul_f64 v[26:27], v[12:13], v[96:97]
	v_fmac_f64_e32 v[88:89], v[56:57], v[28:29]
	v_mul_f64 v[56:57], v[98:99], -v[10:11]
	v_mul_f64 v[58:59], v[8:9], v[98:99]
	v_fmac_f64_e32 v[24:25], v[12:13], v[84:85]
	v_fmac_f64_e32 v[26:27], v[14:15], v[84:85]
	;; [unrolled: 1-line block ×4, first 2 shown]
	s_waitcnt vmcnt(13)
	v_mul_f64 v[80:81], v[30:31], v[60:61]
	s_waitcnt vmcnt(12)
	v_mul_f64 v[82:83], v[30:31], v[64:65]
	v_add_f64 v[24:25], v[24:25], -v[56:57]
	v_add_f64 v[26:27], v[26:27], -v[58:59]
	v_mul_f64 v[70:71], v[30:31], -v[62:63]
	v_fmac_f64_e32 v[80:81], v[62:63], v[28:29]
	v_mul_f64 v[74:75], v[30:31], -v[66:67]
	v_fmac_f64_e32 v[82:83], v[66:67], v[28:29]
	global_store_dwordx4 v[34:35], v[24:27], off
	v_fmac_f64_e32 v[70:71], v[60:61], v[28:29]
	v_fmac_f64_e32 v[74:75], v[64:65], v[28:29]
	v_mul_f64 v[24:25], v[80:81], -v[14:15]
	v_mul_f64 v[26:27], v[12:13], v[80:81]
	v_mul_f64 v[34:35], v[82:83], -v[10:11]
	v_mul_f64 v[56:57], v[8:9], v[82:83]
	v_fmac_f64_e32 v[24:25], v[12:13], v[70:71]
	v_fmac_f64_e32 v[26:27], v[14:15], v[70:71]
	v_fmac_f64_e32 v[34:35], v[8:9], v[74:75]
	v_fmac_f64_e32 v[56:57], v[10:11], v[74:75]
	s_waitcnt vmcnt(12)
	v_mul_f64 v[92:93], v[30:31], v[48:49]
	s_waitcnt vmcnt(9)
	v_mul_f64 v[94:95], v[30:31], v[120:121]
	v_add_f64 v[24:25], v[24:25], -v[34:35]
	v_add_f64 v[26:27], v[26:27], -v[56:57]
	v_mul_f64 v[86:87], v[30:31], -v[50:51]
	v_fmac_f64_e32 v[92:93], v[50:51], v[28:29]
	v_mul_f64 v[90:91], v[30:31], -v[122:123]
	v_fmac_f64_e32 v[94:95], v[122:123], v[28:29]
	global_store_dwordx4 v[42:43], v[24:27], off
	v_fmac_f64_e32 v[86:87], v[48:49], v[28:29]
	v_fmac_f64_e32 v[90:91], v[120:121], v[28:29]
	v_mul_f64 v[24:25], v[92:93], -v[14:15]
	v_mul_f64 v[26:27], v[12:13], v[92:93]
	v_mul_f64 v[34:35], v[94:95], -v[10:11]
	v_mul_f64 v[42:43], v[8:9], v[94:95]
	v_fmac_f64_e32 v[24:25], v[12:13], v[86:87]
	v_fmac_f64_e32 v[26:27], v[14:15], v[86:87]
	v_fmac_f64_e32 v[34:35], v[8:9], v[90:91]
	v_fmac_f64_e32 v[42:43], v[10:11], v[90:91]
	v_mul_f64 v[58:59], v[30:31], v[76:77]
	s_waitcnt vmcnt(9)
	v_mul_f64 v[62:63], v[30:31], v[124:125]
	v_add_f64 v[24:25], v[24:25], -v[34:35]
	v_add_f64 v[26:27], v[26:27], -v[42:43]
	v_mul_f64 v[48:49], v[30:31], -v[78:79]
	v_fmac_f64_e32 v[58:59], v[78:79], v[28:29]
	v_mul_f64 v[50:51], v[30:31], -v[126:127]
	v_fmac_f64_e32 v[62:63], v[126:127], v[28:29]
	global_store_dwordx4 v[52:53], v[24:27], off
	v_fmac_f64_e32 v[48:49], v[76:77], v[28:29]
	v_fmac_f64_e32 v[50:51], v[124:125], v[28:29]
	v_mul_f64 v[24:25], v[58:59], -v[14:15]
	v_mul_f64 v[26:27], v[12:13], v[58:59]
	v_mul_f64 v[34:35], v[62:63], -v[10:11]
	v_mul_f64 v[42:43], v[8:9], v[62:63]
	v_fmac_f64_e32 v[24:25], v[12:13], v[48:49]
	v_fmac_f64_e32 v[26:27], v[14:15], v[48:49]
	v_fmac_f64_e32 v[34:35], v[8:9], v[50:51]
	v_fmac_f64_e32 v[42:43], v[10:11], v[50:51]
	;; [unrolled: 20-line block ×3, first 2 shown]
	s_waitcnt vmcnt(9)
	v_mul_f64 v[60:61], v[30:31], v[132:133]
	s_waitcnt vmcnt(6)
	v_mul_f64 v[64:65], v[30:31], v[144:145]
	v_add_f64 v[24:25], v[24:25], -v[34:35]
	v_add_f64 v[26:27], v[26:27], -v[40:41]
	v_mul_f64 v[52:53], v[30:31], -v[134:135]
	v_fmac_f64_e32 v[60:61], v[134:135], v[28:29]
	v_mul_f64 v[56:57], v[30:31], -v[146:147]
	v_fmac_f64_e32 v[64:65], v[146:147], v[28:29]
	global_store_dwordx4 v[38:39], v[24:27], off
	v_fmac_f64_e32 v[52:53], v[132:133], v[28:29]
	v_fmac_f64_e32 v[56:57], v[144:145], v[28:29]
	v_mul_f64 v[24:25], v[60:61], -v[14:15]
	v_mul_f64 v[26:27], v[12:13], v[60:61]
	v_mul_f64 v[34:35], v[64:65], -v[10:11]
	v_mul_f64 v[38:39], v[8:9], v[64:65]
	v_fmac_f64_e32 v[24:25], v[12:13], v[52:53]
	v_fmac_f64_e32 v[26:27], v[14:15], v[52:53]
	;; [unrolled: 1-line block ×4, first 2 shown]
	v_add_f64 v[24:25], v[24:25], -v[34:35]
	v_add_f64 v[26:27], v[26:27], -v[38:39]
	v_mul_f64 v[40:41], v[30:31], v[136:137]
	s_waitcnt vmcnt(6)
	v_mul_f64 v[42:43], v[30:31], v[148:149]
	global_store_dwordx4 v[32:33], v[24:27], off
	v_mul_f64 v[32:33], v[30:31], -v[138:139]
	v_fmac_f64_e32 v[40:41], v[138:139], v[28:29]
	v_mul_f64 v[34:35], v[30:31], -v[150:151]
	v_fmac_f64_e32 v[42:43], v[150:151], v[28:29]
	v_fmac_f64_e32 v[32:33], v[136:137], v[28:29]
	;; [unrolled: 1-line block ×3, first 2 shown]
	v_mul_f64 v[24:25], v[40:41], -v[14:15]
	v_mul_f64 v[26:27], v[12:13], v[40:41]
	v_mul_f64 v[38:39], v[42:43], -v[10:11]
	v_mul_f64 v[116:117], v[8:9], v[42:43]
	v_fmac_f64_e32 v[24:25], v[12:13], v[32:33]
	v_fmac_f64_e32 v[26:27], v[14:15], v[32:33]
	;; [unrolled: 1-line block ×4, first 2 shown]
	v_add_f64 v[24:25], v[24:25], -v[38:39]
	v_add_f64 v[26:27], v[26:27], -v[116:117]
	global_store_dwordx4 v[36:37], v[24:27], off
	v_mul_f64 v[36:37], v[30:31], v[140:141]
	v_fmac_f64_e32 v[36:37], v[142:143], v[28:29]
	v_mul_f64 v[24:25], v[30:31], -v[142:143]
	v_fmac_f64_e32 v[24:25], v[140:141], v[28:29]
	s_waitcnt vmcnt(7)
	v_mul_f64 v[38:39], v[30:31], v[152:153]
	v_mul_f64 v[116:117], v[36:37], -v[14:15]
	v_mul_f64 v[26:27], v[30:31], -v[154:155]
	v_fmac_f64_e32 v[38:39], v[154:155], v[28:29]
	v_fmac_f64_e32 v[116:117], v[12:13], v[24:25]
	v_mul_f64 v[12:13], v[12:13], v[36:37]
	v_fmac_f64_e32 v[26:27], v[152:153], v[28:29]
	v_fmac_f64_e32 v[12:13], v[14:15], v[24:25]
	v_mul_f64 v[14:15], v[38:39], -v[10:11]
	v_mul_f64 v[118:119], v[8:9], v[38:39]
	v_fmac_f64_e32 v[14:15], v[8:9], v[26:27]
	v_fmac_f64_e32 v[118:119], v[10:11], v[26:27]
	v_add_f64 v[8:9], v[116:117], -v[14:15]
	v_add_f64 v[10:11], v[12:13], -v[118:119]
	global_store_dwordx4 v[100:101], v[8:11], off
	v_mul_f64 v[12:13], v[98:99], -v[2:3]
	v_mul_f64 v[14:15], v[0:1], v[98:99]
	v_mul_f64 v[8:9], v[6:7], v[96:97]
	v_mul_f64 v[10:11], v[96:97], -v[4:5]
	v_fma_f64 v[8:9], -v[4:5], v[84:85], v[8:9]
	v_fma_f64 v[10:11], -v[6:7], v[84:85], v[10:11]
	v_fmac_f64_e32 v[12:13], v[0:1], v[88:89]
	v_fmac_f64_e32 v[14:15], v[2:3], v[88:89]
	v_add_f64 v[8:9], v[8:9], v[12:13]
	v_add_f64 v[10:11], v[10:11], v[14:15]
	global_store_dwordx4 v[54:55], v[8:11], off
	v_mul_f64 v[12:13], v[82:83], -v[2:3]
	v_mul_f64 v[14:15], v[0:1], v[82:83]
	v_mul_f64 v[8:9], v[6:7], v[80:81]
	v_mul_f64 v[10:11], v[80:81], -v[4:5]
	v_fma_f64 v[8:9], -v[4:5], v[70:71], v[8:9]
	v_fma_f64 v[10:11], -v[6:7], v[70:71], v[10:11]
	v_fmac_f64_e32 v[12:13], v[0:1], v[74:75]
	v_fmac_f64_e32 v[14:15], v[2:3], v[74:75]
	v_add_f64 v[8:9], v[8:9], v[12:13]
	v_add_f64 v[10:11], v[10:11], v[14:15]
	;; [unrolled: 11-line block ×8, first 2 shown]
	global_store_dwordx4 v[102:103], v[8:11], off
	s_nop 1
	v_mov_b64_e32 v[10:11], 0
	v_mov_b64_e32 v[8:9], 0
	s_and_saveexec_b64 s[20:21], s[2:3]
	s_cbranch_execz .LBB288_16
; %bb.15:                               ;   in Loop: Header=BB288_5 Depth=1
	v_add_u32_e32 v12, v45, v115
	v_add_u32_e32 v46, s27, v12
	v_lshl_add_u64 v[14:15], v[46:47], 4, s[8:9]
	global_load_dwordx4 v[100:103], v[14:15], off
	v_mul_f64 v[54:55], v[6:7], v[22:23]
	v_mul_f64 v[72:73], v[22:23], -v[4:5]
	v_mul_f64 v[8:9], v[22:23], -v[2:3]
	v_mul_f64 v[10:11], v[0:1], v[22:23]
	v_fma_f64 v[4:5], -v[4:5], v[20:21], v[54:55]
	v_fma_f64 v[6:7], -v[6:7], v[20:21], v[72:73]
	v_fmac_f64_e32 v[8:9], v[0:1], v[20:21]
	v_fmac_f64_e32 v[10:11], v[2:3], v[20:21]
	v_mul_f64 v[54:55], v[6:7], v[96:97]
	v_mul_f64 v[72:73], v[96:97], -v[4:5]
	v_mul_f64 v[96:97], v[98:99], -v[10:11]
	v_mul_f64 v[98:99], v[8:9], v[98:99]
	v_add_u32_e32 v46, s28, v12
	v_fma_f64 v[54:55], -v[4:5], v[84:85], v[54:55]
	v_fma_f64 v[72:73], -v[6:7], v[84:85], v[72:73]
	v_fmac_f64_e32 v[96:97], v[8:9], v[88:89]
	v_fmac_f64_e32 v[98:99], v[10:11], v[88:89]
	v_lshl_add_u64 v[84:85], v[46:47], 4, s[8:9]
	v_add_f64 v[54:55], v[54:55], -v[96:97]
	v_add_f64 v[72:73], v[72:73], -v[98:99]
	v_add_u32_e32 v46, s29, v12
	global_load_dwordx4 v[96:99], v[84:85], off
	v_lshl_add_u64 v[88:89], v[46:47], 4, s[8:9]
	v_mul_f64 v[104:105], v[94:95], -v[10:11]
	v_mul_f64 v[94:95], v[8:9], v[94:95]
	v_fmac_f64_e32 v[104:105], v[8:9], v[90:91]
	v_fmac_f64_e32 v[94:95], v[10:11], v[90:91]
	v_add_u32_e32 v46, s30, v12
	v_ashrrev_i32_e32 v13, 31, v12
	s_waitcnt vmcnt(1)
	v_add_f64 v[100:101], v[54:55], v[100:101]
	v_add_f64 v[102:103], v[72:73], v[102:103]
	global_store_dwordx4 v[14:15], v[100:103], off
	global_load_dwordx4 v[100:103], v[88:89], off
	v_mul_f64 v[14:15], v[6:7], v[80:81]
	v_mul_f64 v[54:55], v[80:81], -v[4:5]
	v_mul_f64 v[72:73], v[82:83], -v[10:11]
	v_mul_f64 v[80:81], v[8:9], v[82:83]
	v_mul_f64 v[82:83], v[6:7], v[92:93]
	v_fma_f64 v[14:15], -v[4:5], v[70:71], v[14:15]
	v_fma_f64 v[54:55], -v[6:7], v[70:71], v[54:55]
	v_fmac_f64_e32 v[72:73], v[8:9], v[74:75]
	v_fmac_f64_e32 v[80:81], v[10:11], v[74:75]
	v_mul_f64 v[92:93], v[92:93], -v[4:5]
	v_fma_f64 v[70:71], -v[4:5], v[86:87], v[82:83]
	v_add_f64 v[14:15], v[14:15], -v[72:73]
	v_add_f64 v[54:55], v[54:55], -v[80:81]
	v_fma_f64 v[74:75], -v[6:7], v[86:87], v[92:93]
	v_add_f64 v[80:81], v[70:71], -v[104:105]
	v_add_f64 v[74:75], v[74:75], -v[94:95]
	v_lshl_add_u64 v[86:87], v[46:47], 4, s[8:9]
	v_add_u32_e32 v46, s31, v12
	s_waitcnt vmcnt(2)
	v_add_f64 v[70:71], v[14:15], v[96:97]
	v_add_f64 v[72:73], v[54:55], v[98:99]
	global_store_dwordx4 v[84:85], v[70:73], off
	global_load_dwordx4 v[70:73], v[86:87], off
	v_lshl_add_u64 v[90:91], v[46:47], 4, s[8:9]
	v_mul_f64 v[14:15], v[6:7], v[58:59]
	v_mul_f64 v[54:55], v[58:59], -v[4:5]
	v_mul_f64 v[58:59], v[62:63], -v[10:11]
	v_mul_f64 v[62:63], v[8:9], v[62:63]
	v_mul_f64 v[84:85], v[78:79], -v[10:11]
	v_mul_f64 v[78:79], v[8:9], v[78:79]
	v_fma_f64 v[14:15], -v[4:5], v[48:49], v[14:15]
	v_fma_f64 v[48:49], -v[6:7], v[48:49], v[54:55]
	v_fmac_f64_e32 v[58:59], v[8:9], v[50:51]
	v_fmac_f64_e32 v[62:63], v[10:11], v[50:51]
	;; [unrolled: 1-line block ×4, first 2 shown]
	v_add_f64 v[14:15], v[14:15], -v[58:59]
	v_add_f64 v[58:59], v[48:49], -v[62:63]
	v_add_u32_e32 v46, s33, v12
	s_waitcnt vmcnt(2)
	v_add_f64 v[80:81], v[80:81], v[100:101]
	v_add_f64 v[82:83], v[74:75], v[102:103]
	global_store_dwordx4 v[88:89], v[80:83], off
	global_load_dwordx4 v[80:83], v[90:91], off
	v_mul_f64 v[74:75], v[6:7], v[76:77]
	v_mul_f64 v[76:77], v[76:77], -v[4:5]
	v_fma_f64 v[50:51], -v[4:5], v[66:67], v[74:75]
	v_fma_f64 v[54:55], -v[6:7], v[66:67], v[76:77]
	v_add_f64 v[62:63], v[50:51], -v[84:85]
	v_add_f64 v[54:55], v[54:55], -v[78:79]
	v_lshl_add_u64 v[66:67], v[46:47], 4, s[8:9]
	v_add_u32_e32 v46, s34, v12
	s_waitcnt vmcnt(2)
	v_add_f64 v[48:49], v[14:15], v[70:71]
	v_add_f64 v[50:51], v[58:59], v[72:73]
	global_store_dwordx4 v[86:87], v[48:51], off
	v_mul_f64 v[14:15], v[6:7], v[60:61]
	v_mul_f64 v[58:59], v[64:65], -v[10:11]
	v_fma_f64 v[14:15], -v[4:5], v[52:53], v[14:15]
	v_fmac_f64_e32 v[58:59], v[8:9], v[56:57]
	v_add_f64 v[14:15], v[14:15], -v[58:59]
	s_waitcnt vmcnt(1)
	v_add_f64 v[48:49], v[62:63], v[80:81]
	v_add_f64 v[50:51], v[54:55], v[82:83]
	global_store_dwordx4 v[90:91], v[48:51], off
	global_load_dwordx4 v[48:51], v[66:67], off
	v_mul_f64 v[54:55], v[60:61], -v[4:5]
	v_mul_f64 v[60:61], v[8:9], v[64:65]
	v_fma_f64 v[52:53], -v[6:7], v[52:53], v[54:55]
	v_fmac_f64_e32 v[60:61], v[10:11], v[56:57]
	v_add_f64 v[52:53], v[52:53], -v[60:61]
	v_lshl_add_u64 v[54:55], v[46:47], 4, s[8:9]
	v_lshl_add_u64 v[56:57], v[12:13], 4, s[14:15]
	v_add_u32_e32 v46, s35, v12
	s_waitcnt vmcnt(0)
	v_add_f64 v[48:49], v[14:15], v[48:49]
	v_add_f64 v[50:51], v[52:53], v[50:51]
	global_store_dwordx4 v[66:67], v[48:51], off
	global_load_dwordx4 v[48:51], v[54:55], off
	v_mul_f64 v[14:15], v[6:7], v[40:41]
	v_mul_f64 v[40:41], v[40:41], -v[4:5]
	v_mul_f64 v[52:53], v[42:43], -v[10:11]
	v_mul_f64 v[42:43], v[8:9], v[42:43]
	v_fma_f64 v[14:15], -v[4:5], v[32:33], v[14:15]
	v_fma_f64 v[40:41], -v[6:7], v[32:33], v[40:41]
	v_fmac_f64_e32 v[52:53], v[8:9], v[34:35]
	v_fmac_f64_e32 v[42:43], v[10:11], v[34:35]
	v_add_f64 v[14:15], v[14:15], -v[52:53]
	v_add_f64 v[40:41], v[40:41], -v[42:43]
	v_lshl_add_u64 v[42:43], v[46:47], 4, s[8:9]
	global_load_dwordx4 v[32:35], v[56:57], off
	s_waitcnt vmcnt(1)
	v_add_f64 v[12:13], v[14:15], v[48:49]
	v_add_f64 v[14:15], v[40:41], v[50:51]
	global_store_dwordx4 v[54:55], v[12:15], off
	global_load_dwordx4 v[12:15], v[42:43], off
	v_mul_f64 v[40:41], v[2:3], -v[22:23]
	v_mul_f64 v[2:3], v[2:3], v[20:21]
	v_fmac_f64_e32 v[40:41], v[20:21], v[0:1]
	v_fmac_f64_e32 v[2:3], v[22:23], v[0:1]
	v_mul_f64 v[0:1], v[6:7], v[36:37]
	v_mul_f64 v[20:21], v[36:37], -v[4:5]
	v_mul_f64 v[22:23], v[38:39], -v[10:11]
	v_mul_f64 v[36:37], v[8:9], v[38:39]
	v_mul_f64 v[38:39], v[18:19], -v[2:3]
	v_mul_f64 v[18:19], v[18:19], v[40:41]
	v_fma_f64 v[0:1], -v[4:5], v[24:25], v[0:1]
	v_fma_f64 v[4:5], -v[6:7], v[24:25], v[20:21]
	v_fmac_f64_e32 v[36:37], v[10:11], v[26:27]
	v_fmac_f64_e32 v[38:39], v[40:41], v[16:17]
	;; [unrolled: 1-line block ×4, first 2 shown]
	v_add_f64 v[2:3], v[4:5], -v[36:37]
	v_mul_f64 v[4:5], v[30:31], -v[18:19]
	v_mul_f64 v[6:7], v[30:31], v[38:39]
	v_add_f64 v[0:1], v[0:1], -v[22:23]
	v_fmac_f64_e32 v[4:5], v[38:39], v[28:29]
	v_fmac_f64_e32 v[6:7], v[18:19], v[28:29]
	s_waitcnt vmcnt(2)
	v_add_f64 v[8:9], v[32:33], -v[4:5]
	v_add_f64 v[10:11], v[34:35], -v[6:7]
	s_waitcnt vmcnt(0)
	v_add_f64 v[0:1], v[0:1], v[12:13]
	v_add_f64 v[2:3], v[2:3], v[14:15]
	global_store_dwordx4 v[42:43], v[0:3], off
.LBB288_16:                             ;   in Loop: Header=BB288_5 Depth=1
	s_or_b64 exec, exec, s[20:21]
	s_nop 0
	v_mov_b64_e32 v[2:3], v[10:11]
	v_mov_b64_e32 v[0:1], v[8:9]
                                        ; implicit-def: $vgpr4_vgpr5
                                        ; implicit-def: $vgpr12_vgpr13
                                        ; implicit-def: $vgpr8_vgpr9
                                        ; implicit-def: $vgpr50_vgpr51
                                        ; implicit-def: $vgpr48_vgpr49
                                        ; implicit-def: $vgpr42
                                        ; implicit-def: $vgpr40
                                        ; implicit-def: $vgpr38
                                        ; implicit-def: $vgpr36
                                        ; implicit-def: $vgpr32
                                        ; implicit-def: $vgpr30
                                        ; implicit-def: $vgpr28
.LBB288_17:                             ;   in Loop: Header=BB288_5 Depth=1
	s_or_saveexec_b64 s[2:3], s[4:5]
	v_mov_b32_e32 v10, s26
	s_xor_b64 exec, exec, s[2:3]
	s_cbranch_execz .LBB288_4
; %bb.18:                               ;   in Loop: Header=BB288_5 Depth=1
	v_mov_b32_e32 v41, v47
	v_mov_b32_e32 v37, v47
	;; [unrolled: 1-line block ×4, first 2 shown]
	v_lshl_add_u64 v[82:83], v[46:47], 4, s[8:9]
	v_mov_b32_e32 v43, v47
	v_lshl_add_u64 v[86:87], v[40:41], 4, s[8:9]
	v_mov_b32_e32 v39, v47
	;; [unrolled: 2-line block ×3, first 2 shown]
	v_lshl_add_u64 v[94:95], v[30:31], 4, s[8:9]
	v_lshl_add_u64 v[96:97], v[28:29], 4, s[8:9]
	;; [unrolled: 1-line block ×3, first 2 shown]
	global_load_dwordx4 v[16:19], v[82:83], off
	global_load_dwordx4 v[54:57], v[84:85], off
	v_lshl_add_u64 v[88:89], v[38:39], 4, s[8:9]
	global_load_dwordx4 v[58:61], v[86:87], off
	global_load_dwordx4 v[62:65], v[88:89], off
	v_lshl_add_u64 v[92:93], v[32:33], 4, s[8:9]
	global_load_dwordx4 v[66:69], v[90:91], off
	global_load_dwordx4 v[70:73], v[92:93], off
	;; [unrolled: 1-line block ×4, first 2 shown]
	v_mul_f64 v[10:11], v[2:3], v[2:3]
	v_fmac_f64_e32 v[10:11], v[0:1], v[0:1]
	v_div_scale_f64 v[22:23], s[4:5], v[10:11], v[10:11], 1.0
	v_rcp_f64_e32 v[24:25], v[22:23]
	v_fma_f64 v[20:21], 0, v[2:3], v[0:1]
	v_fma_f64 v[0:1], v[0:1], 0, -v[2:3]
	v_div_scale_f64 v[2:3], vcc, 1.0, v[10:11], 1.0
	v_fma_f64 v[26:27], -v[22:23], v[24:25], 1.0
	v_fmac_f64_e32 v[24:25], v[24:25], v[26:27]
	v_fma_f64 v[26:27], -v[22:23], v[24:25], 1.0
	v_fmac_f64_e32 v[24:25], v[24:25], v[26:27]
	v_mul_f64 v[26:27], v[2:3], v[24:25]
	v_fma_f64 v[2:3], -v[22:23], v[26:27], v[2:3]
	v_div_fmas_f64 v[2:3], v[2:3], v[24:25], v[26:27]
	v_div_fixup_f64 v[2:3], v[2:3], v[10:11], 1.0
	v_mul_f64 v[52:53], v[0:1], v[2:3]
	v_mul_f64 v[10:11], v[20:21], v[2:3]
	s_waitcnt vmcnt(7)
	v_mul_f64 v[40:41], v[52:53], -v[18:19]
	v_mul_f64 v[42:43], v[52:53], v[16:17]
	v_fmac_f64_e32 v[40:41], v[16:17], v[10:11]
	v_fmac_f64_e32 v[42:43], v[18:19], v[10:11]
	s_waitcnt vmcnt(6)
	v_mul_f64 v[36:37], v[52:53], -v[56:57]
	v_mul_f64 v[38:39], v[52:53], v[54:55]
	s_waitcnt vmcnt(5)
	v_mul_f64 v[32:33], v[52:53], -v[60:61]
	v_mul_f64 v[34:35], v[52:53], v[58:59]
	;; [unrolled: 3-line block ×7, first 2 shown]
	v_fmac_f64_e32 v[36:37], v[54:55], v[10:11]
	v_fmac_f64_e32 v[38:39], v[56:57], v[10:11]
	;; [unrolled: 1-line block ×14, first 2 shown]
	global_store_dwordx4 v[82:83], v[40:43], off
	global_store_dwordx4 v[84:85], v[36:39], off
	global_store_dwordx4 v[86:87], v[32:35], off
	global_store_dwordx4 v[88:89], v[28:31], off
	global_store_dwordx4 v[90:91], v[24:27], off
	global_store_dwordx4 v[92:93], v[20:23], off
	global_store_dwordx4 v[94:95], v[16:19], off
	global_store_dwordx4 v[96:97], v[0:3], off
	s_and_saveexec_b64 s[4:5], s[0:1]
	s_cbranch_execz .LBB288_3
; %bb.19:                               ;   in Loop: Header=BB288_5 Depth=1
	v_add_u32_e32 v70, v114, v115
	v_add_u32_e32 v46, s27, v70
	v_lshl_add_u64 v[62:63], v[46:47], 4, s[8:9]
	global_load_dwordx4 v[54:57], v[62:63], off
	v_add_u32_e32 v46, s28, v70
	v_lshl_add_u64 v[64:65], v[46:47], 4, s[8:9]
	global_load_dwordx4 v[58:61], v[64:65], off
	v_add_u32_e32 v46, s29, v70
	v_lshl_add_u64 v[66:67], v[46:47], 4, s[8:9]
	v_add_u32_e32 v46, s30, v70
	s_waitcnt vmcnt(1)
	v_fma_f64 v[54:55], -v[4:5], v[40:41], v[54:55]
	v_fma_f64 v[40:41], -v[6:7], v[40:41], v[56:57]
	v_fmac_f64_e32 v[54:55], v[6:7], v[42:43]
	v_fma_f64 v[56:57], -v[4:5], v[42:43], v[40:41]
	global_store_dwordx4 v[62:63], v[54:57], off
	global_load_dwordx4 v[40:43], v[66:67], off
	v_lshl_add_u64 v[62:63], v[46:47], 4, s[8:9]
	s_waitcnt vmcnt(2)
	v_fma_f64 v[54:55], -v[4:5], v[36:37], v[58:59]
	v_fma_f64 v[36:37], -v[6:7], v[36:37], v[60:61]
	v_fmac_f64_e32 v[54:55], v[6:7], v[38:39]
	v_fma_f64 v[56:57], -v[4:5], v[38:39], v[36:37]
	global_store_dwordx4 v[64:65], v[54:57], off
	global_load_dwordx4 v[36:39], v[62:63], off
	v_add_u32_e32 v46, s31, v70
	v_lshl_add_u64 v[68:69], v[46:47], 4, s[8:9]
	v_add_u32_e32 v46, s33, v70
	s_waitcnt vmcnt(2)
	v_fma_f64 v[40:41], -v[4:5], v[32:33], v[40:41]
	v_fma_f64 v[32:33], -v[6:7], v[32:33], v[42:43]
	v_fmac_f64_e32 v[40:41], v[6:7], v[34:35]
	v_fma_f64 v[42:43], -v[4:5], v[34:35], v[32:33]
	global_store_dwordx4 v[66:67], v[40:43], off
	global_load_dwordx4 v[32:35], v[68:69], off
	s_waitcnt vmcnt(2)
	v_fma_f64 v[36:37], -v[4:5], v[28:29], v[36:37]
	v_fma_f64 v[28:29], -v[6:7], v[28:29], v[38:39]
	;; [unrolled: 1-line block ×3, first 2 shown]
	v_fmac_f64_e32 v[36:37], v[6:7], v[30:31]
	v_lshl_add_u64 v[40:41], v[46:47], 4, s[8:9]
	global_store_dwordx4 v[62:63], v[36:39], off
	v_add_u32_e32 v46, s34, v70
	s_waitcnt vmcnt(1)
	v_fma_f64 v[28:29], -v[4:5], v[24:25], v[32:33]
	v_fma_f64 v[24:25], -v[6:7], v[24:25], v[34:35]
	v_fmac_f64_e32 v[28:29], v[6:7], v[26:27]
	v_fma_f64 v[30:31], -v[4:5], v[26:27], v[24:25]
	global_store_dwordx4 v[68:69], v[28:31], off
	global_load_dwordx4 v[24:27], v[40:41], off
	s_waitcnt vmcnt(0)
	v_fma_f64 v[24:25], -v[4:5], v[20:21], v[24:25]
	v_fma_f64 v[20:21], -v[6:7], v[20:21], v[26:27]
	v_fmac_f64_e32 v[24:25], v[6:7], v[22:23]
	v_fma_f64 v[26:27], -v[4:5], v[22:23], v[20:21]
	v_lshl_add_u64 v[28:29], v[46:47], 4, s[8:9]
	global_store_dwordx4 v[40:41], v[24:27], off
	global_load_dwordx4 v[20:23], v[28:29], off
	v_add_u32_e32 v46, s35, v70
	v_lshl_add_u64 v[24:25], v[46:47], 4, s[8:9]
	s_waitcnt vmcnt(0)
	v_fma_f64 v[20:21], -v[4:5], v[16:17], v[20:21]
	v_fma_f64 v[16:17], -v[6:7], v[16:17], v[22:23]
	v_fmac_f64_e32 v[20:21], v[6:7], v[18:19]
	v_fma_f64 v[22:23], -v[4:5], v[18:19], v[16:17]
	global_store_dwordx4 v[28:29], v[20:23], off
	global_load_dwordx4 v[16:19], v[24:25], off
	s_waitcnt vmcnt(0)
	v_fma_f64 v[16:17], -v[4:5], v[0:1], v[16:17]
	v_fma_f64 v[0:1], -v[6:7], v[0:1], v[18:19]
	v_fmac_f64_e32 v[16:17], v[6:7], v[2:3]
	v_fma_f64 v[18:19], -v[4:5], v[2:3], v[0:1]
	global_store_dwordx4 v[24:25], v[16:19], off
	s_branch .LBB288_3
.LBB288_20:
	s_or_b64 exec, exec, s[18:19]
	s_branch .LBB288_22
.LBB288_21:
	v_mov_b32_e32 v115, 0
.LBB288_22:
	v_subrev_u32_e32 v2, s22, v115
	v_add_u32_e32 v0, v2, v44
	v_ashrrev_i32_e32 v1, 31, v0
	s_waitcnt lgkmcnt(0)
	v_lshl_add_u64 v[0:1], v[0:1], 2, s[6:7]
	buffer_wbl2 sc1
	s_waitcnt vmcnt(0)
	buffer_inv sc1
	global_load_dword v0, v[0:1], off
	s_waitcnt vmcnt(0)
	v_mul_lo_u32 v0, v0, s22
	v_sub_u32_e32 v36, v2, v0
	v_cmp_lt_i32_e32 vcc, -1, v36
	s_and_b64 exec, exec, vcc
	s_cbranch_execz .LBB288_29
; %bb.23:
	s_lshl_b32 s4, s24, 3
	s_add_i32 s5, s4, s23
	s_add_i32 s12, s5, s23
	s_add_i32 s13, s12, s23
	s_add_i32 s14, s13, s23
	s_add_i32 s15, s14, s23
	s_add_i32 s16, s15, s23
	s_add_i32 s17, s16, s23
	s_lshl_b32 s18, s22, 1
	s_mov_b64 s[0:1], 0
	v_mov_b32_e32 v33, 0
	s_branch .LBB288_25
.LBB288_24:                             ;   in Loop: Header=BB288_25 Depth=1
	s_or_b64 exec, exec, s[2:3]
	v_sub_u32_e32 v36, v36, v4
	v_cmp_gt_i32_e32 vcc, 0, v36
	s_or_b64 s[0:1], vcc, s[0:1]
	s_andn2_b64 exec, exec, s[0:1]
	s_cbranch_execz .LBB288_29
.LBB288_25:                             ; =>This Inner Loop Header: Depth=1
	v_add_u32_e32 v34, v36, v44
	v_ashrrev_i32_e32 v35, 31, v34
	s_waitcnt vmcnt(0)
	v_lshl_add_u64 v[0:1], v[34:35], 2, s[6:7]
	global_load_dword v4, v[0:1], off
	v_lshl_add_u64 v[0:1], v[34:35], 4, s[10:11]
	global_load_dwordx4 v[0:3], v[0:1], off
	s_waitcnt vmcnt(1)
	v_cmp_ne_u32_e32 vcc, 1, v4
	s_and_saveexec_b64 s[2:3], vcc
	s_xor_b64 s[2:3], exec, s[2:3]
	s_cbranch_execz .LBB288_27
; %bb.26:                               ;   in Loop: Header=BB288_25 Depth=1
	v_add_u32_e32 v4, v114, v36
	v_add_u32_e32 v32, s4, v4
	v_lshl_add_u64 v[42:43], v[32:33], 4, s[8:9]
	v_add_u32_e32 v32, s5, v4
	v_lshl_add_u64 v[50:51], v[32:33], 4, s[8:9]
	;; [unrolled: 2-line block ×9, first 2 shown]
	global_load_dwordx4 v[38:41], v[64:65], off
	global_load_dwordx4 v[46:49], v[42:43], off
	;; [unrolled: 1-line block ×9, first 2 shown]
	v_add_u32_e32 v32, s5, v34
	v_lshl_add_u64 v[42:43], v[32:33], 4, s[8:9]
	v_add_u32_e32 v32, s12, v34
	v_lshl_add_u64 v[50:51], v[32:33], 4, s[8:9]
	v_add_u32_e32 v32, s13, v34
	s_waitcnt vmcnt(7)
	v_fma_f64 v[38:39], -v[0:1], v[46:47], v[38:39]
	v_fma_f64 v[40:41], -v[2:3], v[46:47], v[40:41]
	v_fmac_f64_e32 v[38:39], v[2:3], v[48:49]
	v_fma_f64 v[40:41], -v[0:1], v[48:49], v[40:41]
	global_store_dwordx4 v[64:65], v[38:41], off
	global_load_dwordx4 v[38:41], v[42:43], off
	s_waitcnt vmcnt(0)
	v_fma_f64 v[38:39], -v[0:1], v[28:29], v[38:39]
	v_fma_f64 v[40:41], -v[2:3], v[28:29], v[40:41]
	v_fmac_f64_e32 v[38:39], v[2:3], v[30:31]
	v_fma_f64 v[40:41], -v[0:1], v[30:31], v[40:41]
	global_store_dwordx4 v[42:43], v[38:41], off
	global_load_dwordx4 v[38:41], v[50:51], off
	v_lshl_add_u64 v[42:43], v[32:33], 4, s[8:9]
	v_add_u32_e32 v32, s14, v34
	s_waitcnt vmcnt(0)
	v_fma_f64 v[38:39], -v[0:1], v[24:25], v[38:39]
	v_fma_f64 v[40:41], -v[2:3], v[24:25], v[40:41]
	v_fmac_f64_e32 v[38:39], v[2:3], v[26:27]
	v_fma_f64 v[40:41], -v[0:1], v[26:27], v[40:41]
	global_store_dwordx4 v[50:51], v[38:41], off
	global_load_dwordx4 v[38:41], v[42:43], off
	v_lshl_add_u64 v[50:51], v[32:33], 4, s[8:9]
	v_add_u32_e32 v32, s15, v34
	;; [unrolled: 9-line block ×4, first 2 shown]
	v_lshl_add_u64 v[34:35], v[32:33], 4, s[8:9]
	v_subrev_u32_e32 v32, s22, v36
	s_waitcnt vmcnt(0)
	v_fma_f64 v[38:39], -v[0:1], v[12:13], v[38:39]
	v_fma_f64 v[40:41], -v[2:3], v[12:13], v[40:41]
	v_fmac_f64_e32 v[38:39], v[2:3], v[14:15]
	v_fma_f64 v[40:41], -v[0:1], v[14:15], v[40:41]
	global_store_dwordx4 v[42:43], v[38:41], off
	global_load_dwordx4 v[38:41], v[50:51], off
	v_add_u32_e32 v42, v32, v44
	v_ashrrev_i32_e32 v43, 31, v42
	v_add_u32_e32 v32, s4, v42
	v_lshl_add_u64 v[54:55], v[32:33], 4, s[8:9]
	v_add_u32_e32 v32, s5, v42
	s_waitcnt vmcnt(0)
	v_fma_f64 v[38:39], -v[0:1], v[8:9], v[38:39]
	v_fma_f64 v[40:41], -v[2:3], v[8:9], v[40:41]
	v_fmac_f64_e32 v[38:39], v[2:3], v[10:11]
	v_fma_f64 v[40:41], -v[0:1], v[10:11], v[40:41]
	global_store_dwordx4 v[50:51], v[38:41], off
	global_load_dwordx4 v[38:41], v[34:35], off
	v_lshl_add_u64 v[50:51], v[42:43], 4, s[10:11]
	global_load_dwordx4 v[50:53], v[50:51], off
	s_waitcnt vmcnt(1)
	v_fma_f64 v[38:39], -v[0:1], v[4:5], v[38:39]
	v_fma_f64 v[40:41], -v[2:3], v[4:5], v[40:41]
	v_fmac_f64_e32 v[38:39], v[2:3], v[6:7]
	v_fma_f64 v[40:41], -v[0:1], v[6:7], v[40:41]
	global_store_dwordx4 v[34:35], v[38:41], off
	global_load_dwordx4 v[0:3], v[54:55], off
	v_lshl_add_u64 v[34:35], v[32:33], 4, s[8:9]
	v_add_u32_e32 v32, s12, v42
	v_lshl_add_u64 v[38:39], v[32:33], 4, s[8:9]
	v_add_u32_e32 v32, s13, v42
	s_waitcnt vmcnt(0)
	v_fma_f64 v[0:1], -v[50:51], v[46:47], v[0:1]
	v_fma_f64 v[2:3], -v[52:53], v[46:47], v[2:3]
	v_fmac_f64_e32 v[0:1], v[52:53], v[48:49]
	v_fma_f64 v[2:3], -v[50:51], v[48:49], v[2:3]
	global_store_dwordx4 v[54:55], v[0:3], off
	global_load_dwordx4 v[0:3], v[34:35], off
	s_waitcnt vmcnt(0)
	v_fma_f64 v[0:1], -v[50:51], v[28:29], v[0:1]
	v_fma_f64 v[2:3], -v[52:53], v[28:29], v[2:3]
	v_fmac_f64_e32 v[0:1], v[52:53], v[30:31]
	v_fma_f64 v[2:3], -v[50:51], v[30:31], v[2:3]
	global_store_dwordx4 v[34:35], v[0:3], off
	global_load_dwordx4 v[0:3], v[38:39], off
	v_lshl_add_u64 v[28:29], v[32:33], 4, s[8:9]
	v_add_u32_e32 v32, s14, v42
                                        ; implicit-def: $vgpr34
	s_waitcnt vmcnt(0)
	v_fma_f64 v[0:1], -v[50:51], v[24:25], v[0:1]
	v_fma_f64 v[2:3], -v[52:53], v[24:25], v[2:3]
	v_fmac_f64_e32 v[0:1], v[52:53], v[26:27]
	v_fma_f64 v[2:3], -v[50:51], v[26:27], v[2:3]
	global_store_dwordx4 v[38:39], v[0:3], off
	global_load_dwordx4 v[0:3], v[28:29], off
	v_lshl_add_u64 v[24:25], v[32:33], 4, s[8:9]
	v_add_u32_e32 v32, s15, v42
	s_waitcnt vmcnt(0)
	v_fma_f64 v[0:1], -v[50:51], v[20:21], v[0:1]
	v_fma_f64 v[2:3], -v[52:53], v[20:21], v[2:3]
	v_fmac_f64_e32 v[0:1], v[52:53], v[22:23]
	v_fma_f64 v[2:3], -v[50:51], v[22:23], v[2:3]
	global_store_dwordx4 v[28:29], v[0:3], off
	global_load_dwordx4 v[0:3], v[24:25], off
	v_lshl_add_u64 v[20:21], v[32:33], 4, s[8:9]
	v_add_u32_e32 v32, s16, v42
	;; [unrolled: 9-line block ×3, first 2 shown]
	s_waitcnt vmcnt(0)
	v_fma_f64 v[0:1], -v[50:51], v[12:13], v[0:1]
	v_fma_f64 v[2:3], -v[52:53], v[12:13], v[2:3]
	v_fmac_f64_e32 v[0:1], v[52:53], v[14:15]
	v_fma_f64 v[2:3], -v[50:51], v[14:15], v[2:3]
	global_store_dwordx4 v[20:21], v[0:3], off
	global_load_dwordx4 v[0:3], v[16:17], off
	v_lshl_add_u64 v[12:13], v[32:33], 4, s[8:9]
	s_waitcnt vmcnt(0)
	v_fma_f64 v[0:1], -v[50:51], v[8:9], v[0:1]
	v_fma_f64 v[2:3], -v[52:53], v[8:9], v[2:3]
	v_fmac_f64_e32 v[0:1], v[52:53], v[10:11]
	v_fma_f64 v[2:3], -v[50:51], v[10:11], v[2:3]
	global_store_dwordx4 v[16:17], v[0:3], off
	global_load_dwordx4 v[0:3], v[12:13], off
	s_waitcnt vmcnt(0)
	v_fma_f64 v[0:1], -v[50:51], v[4:5], v[0:1]
	v_fma_f64 v[2:3], -v[52:53], v[4:5], v[2:3]
	v_fmac_f64_e32 v[0:1], v[52:53], v[6:7]
	v_fma_f64 v[2:3], -v[50:51], v[6:7], v[2:3]
	global_store_dwordx4 v[12:13], v[0:3], off
                                        ; implicit-def: $vgpr0_vgpr1
.LBB288_27:                             ;   in Loop: Header=BB288_25 Depth=1
	s_or_saveexec_b64 s[2:3], s[2:3]
	v_mov_b32_e32 v4, s18
	s_xor_b64 exec, exec, s[2:3]
	s_cbranch_execz .LBB288_24
; %bb.28:                               ;   in Loop: Header=BB288_25 Depth=1
	v_add_u32_e32 v18, v114, v36
	v_add_u32_e32 v32, s4, v18
	v_lshl_add_u64 v[12:13], v[32:33], 4, s[8:9]
	v_add_u32_e32 v32, s4, v34
	v_lshl_add_u64 v[14:15], v[32:33], 4, s[8:9]
	global_load_dwordx4 v[4:7], v[12:13], off
	global_load_dwordx4 v[8:11], v[14:15], off
	v_add_u32_e32 v32, s5, v18
	v_lshl_add_u64 v[12:13], v[32:33], 4, s[8:9]
	v_add_u32_e32 v32, s5, v34
	v_lshl_add_u64 v[16:17], v[32:33], 4, s[8:9]
	v_add_u32_e32 v32, s12, v18
	s_waitcnt vmcnt(0)
	v_fma_f64 v[8:9], -v[0:1], v[4:5], v[8:9]
	v_fma_f64 v[4:5], -v[2:3], v[4:5], v[10:11]
	v_fmac_f64_e32 v[8:9], v[2:3], v[6:7]
	v_fma_f64 v[10:11], -v[0:1], v[6:7], v[4:5]
	global_store_dwordx4 v[14:15], v[8:11], off
	global_load_dwordx4 v[4:7], v[12:13], off
	s_nop 0
	global_load_dwordx4 v[8:11], v[16:17], off
	v_lshl_add_u64 v[12:13], v[32:33], 4, s[8:9]
	v_add_u32_e32 v32, s12, v34
	v_lshl_add_u64 v[14:15], v[32:33], 4, s[8:9]
	v_add_u32_e32 v32, s13, v18
	s_waitcnt vmcnt(0)
	v_fma_f64 v[8:9], -v[0:1], v[4:5], v[8:9]
	v_fma_f64 v[4:5], -v[2:3], v[4:5], v[10:11]
	v_fmac_f64_e32 v[8:9], v[2:3], v[6:7]
	v_fma_f64 v[10:11], -v[0:1], v[6:7], v[4:5]
	global_store_dwordx4 v[16:17], v[8:11], off
	global_load_dwordx4 v[4:7], v[12:13], off
	s_nop 0
	global_load_dwordx4 v[8:11], v[14:15], off
	;; [unrolled: 13-line block ×6, first 2 shown]
	v_lshl_add_u64 v[12:13], v[32:33], 4, s[8:9]
	v_add_u32_e32 v32, s17, v34
	v_lshl_add_u64 v[16:17], v[32:33], 4, s[8:9]
	s_waitcnt vmcnt(0)
	v_fma_f64 v[8:9], -v[0:1], v[4:5], v[8:9]
	v_fma_f64 v[4:5], -v[2:3], v[4:5], v[10:11]
	v_fmac_f64_e32 v[8:9], v[2:3], v[6:7]
	v_fma_f64 v[10:11], -v[0:1], v[6:7], v[4:5]
	global_store_dwordx4 v[14:15], v[8:11], off
	global_load_dwordx4 v[4:7], v[12:13], off
	s_nop 0
	global_load_dwordx4 v[8:11], v[16:17], off
	s_waitcnt vmcnt(0)
	v_fma_f64 v[8:9], -v[0:1], v[4:5], v[8:9]
	v_fma_f64 v[4:5], -v[2:3], v[4:5], v[10:11]
	v_fmac_f64_e32 v[8:9], v[2:3], v[6:7]
	v_fma_f64 v[10:11], -v[0:1], v[6:7], v[4:5]
	v_mov_b32_e32 v4, s22
	global_store_dwordx4 v[16:17], v[8:11], off
	s_branch .LBB288_24
.LBB288_29:
	s_endpgm
	.section	.rodata,"a",@progbits
	.p2align	6, 0x0
	.amdhsa_kernel _ZN9rocsparseL19gtsv_LBM_rhs_kernelILj256ELj4ELj8E21rocsparse_complex_numIdEEEviiiPKT2_S5_S5_PS3_S5_PKi
		.amdhsa_group_segment_fixed_size 0
		.amdhsa_private_segment_fixed_size 0
		.amdhsa_kernarg_size 64
		.amdhsa_user_sgpr_count 2
		.amdhsa_user_sgpr_dispatch_ptr 0
		.amdhsa_user_sgpr_queue_ptr 0
		.amdhsa_user_sgpr_kernarg_segment_ptr 1
		.amdhsa_user_sgpr_dispatch_id 0
		.amdhsa_user_sgpr_kernarg_preload_length 0
		.amdhsa_user_sgpr_kernarg_preload_offset 0
		.amdhsa_user_sgpr_private_segment_size 0
		.amdhsa_uses_dynamic_stack 0
		.amdhsa_enable_private_segment 0
		.amdhsa_system_sgpr_workgroup_id_x 1
		.amdhsa_system_sgpr_workgroup_id_y 1
		.amdhsa_system_sgpr_workgroup_id_z 0
		.amdhsa_system_sgpr_workgroup_info 0
		.amdhsa_system_vgpr_workitem_id 0
		.amdhsa_next_free_vgpr 156
		.amdhsa_next_free_sgpr 36
		.amdhsa_accum_offset 156
		.amdhsa_reserve_vcc 1
		.amdhsa_float_round_mode_32 0
		.amdhsa_float_round_mode_16_64 0
		.amdhsa_float_denorm_mode_32 3
		.amdhsa_float_denorm_mode_16_64 3
		.amdhsa_dx10_clamp 1
		.amdhsa_ieee_mode 1
		.amdhsa_fp16_overflow 0
		.amdhsa_tg_split 0
		.amdhsa_exception_fp_ieee_invalid_op 0
		.amdhsa_exception_fp_denorm_src 0
		.amdhsa_exception_fp_ieee_div_zero 0
		.amdhsa_exception_fp_ieee_overflow 0
		.amdhsa_exception_fp_ieee_underflow 0
		.amdhsa_exception_fp_ieee_inexact 0
		.amdhsa_exception_int_div_zero 0
	.end_amdhsa_kernel
	.section	.text._ZN9rocsparseL19gtsv_LBM_rhs_kernelILj256ELj4ELj8E21rocsparse_complex_numIdEEEviiiPKT2_S5_S5_PS3_S5_PKi,"axG",@progbits,_ZN9rocsparseL19gtsv_LBM_rhs_kernelILj256ELj4ELj8E21rocsparse_complex_numIdEEEviiiPKT2_S5_S5_PS3_S5_PKi,comdat
.Lfunc_end288:
	.size	_ZN9rocsparseL19gtsv_LBM_rhs_kernelILj256ELj4ELj8E21rocsparse_complex_numIdEEEviiiPKT2_S5_S5_PS3_S5_PKi, .Lfunc_end288-_ZN9rocsparseL19gtsv_LBM_rhs_kernelILj256ELj4ELj8E21rocsparse_complex_numIdEEEviiiPKT2_S5_S5_PS3_S5_PKi
                                        ; -- End function
	.set _ZN9rocsparseL19gtsv_LBM_rhs_kernelILj256ELj4ELj8E21rocsparse_complex_numIdEEEviiiPKT2_S5_S5_PS3_S5_PKi.num_vgpr, 156
	.set _ZN9rocsparseL19gtsv_LBM_rhs_kernelILj256ELj4ELj8E21rocsparse_complex_numIdEEEviiiPKT2_S5_S5_PS3_S5_PKi.num_agpr, 0
	.set _ZN9rocsparseL19gtsv_LBM_rhs_kernelILj256ELj4ELj8E21rocsparse_complex_numIdEEEviiiPKT2_S5_S5_PS3_S5_PKi.numbered_sgpr, 36
	.set _ZN9rocsparseL19gtsv_LBM_rhs_kernelILj256ELj4ELj8E21rocsparse_complex_numIdEEEviiiPKT2_S5_S5_PS3_S5_PKi.num_named_barrier, 0
	.set _ZN9rocsparseL19gtsv_LBM_rhs_kernelILj256ELj4ELj8E21rocsparse_complex_numIdEEEviiiPKT2_S5_S5_PS3_S5_PKi.private_seg_size, 0
	.set _ZN9rocsparseL19gtsv_LBM_rhs_kernelILj256ELj4ELj8E21rocsparse_complex_numIdEEEviiiPKT2_S5_S5_PS3_S5_PKi.uses_vcc, 1
	.set _ZN9rocsparseL19gtsv_LBM_rhs_kernelILj256ELj4ELj8E21rocsparse_complex_numIdEEEviiiPKT2_S5_S5_PS3_S5_PKi.uses_flat_scratch, 0
	.set _ZN9rocsparseL19gtsv_LBM_rhs_kernelILj256ELj4ELj8E21rocsparse_complex_numIdEEEviiiPKT2_S5_S5_PS3_S5_PKi.has_dyn_sized_stack, 0
	.set _ZN9rocsparseL19gtsv_LBM_rhs_kernelILj256ELj4ELj8E21rocsparse_complex_numIdEEEviiiPKT2_S5_S5_PS3_S5_PKi.has_recursion, 0
	.set _ZN9rocsparseL19gtsv_LBM_rhs_kernelILj256ELj4ELj8E21rocsparse_complex_numIdEEEviiiPKT2_S5_S5_PS3_S5_PKi.has_indirect_call, 0
	.section	.AMDGPU.csdata,"",@progbits
; Kernel info:
; codeLenInByte = 7024
; TotalNumSgprs: 42
; NumVgprs: 156
; NumAgprs: 0
; TotalNumVgprs: 156
; ScratchSize: 0
; MemoryBound: 1
; FloatMode: 240
; IeeeMode: 1
; LDSByteSize: 0 bytes/workgroup (compile time only)
; SGPRBlocks: 5
; VGPRBlocks: 19
; NumSGPRsForWavesPerEU: 42
; NumVGPRsForWavesPerEU: 156
; AccumOffset: 156
; Occupancy: 3
; WaveLimiterHint : 0
; COMPUTE_PGM_RSRC2:SCRATCH_EN: 0
; COMPUTE_PGM_RSRC2:USER_SGPR: 2
; COMPUTE_PGM_RSRC2:TRAP_HANDLER: 0
; COMPUTE_PGM_RSRC2:TGID_X_EN: 1
; COMPUTE_PGM_RSRC2:TGID_Y_EN: 1
; COMPUTE_PGM_RSRC2:TGID_Z_EN: 0
; COMPUTE_PGM_RSRC2:TIDIG_COMP_CNT: 0
; COMPUTE_PGM_RSRC3_GFX90A:ACCUM_OFFSET: 38
; COMPUTE_PGM_RSRC3_GFX90A:TG_SPLIT: 0
	.section	.text._ZN9rocsparseL19gtsv_LBM_rhs_kernelILj256ELj4ELj4E21rocsparse_complex_numIdEEEviiiPKT2_S5_S5_PS3_S5_PKi,"axG",@progbits,_ZN9rocsparseL19gtsv_LBM_rhs_kernelILj256ELj4ELj4E21rocsparse_complex_numIdEEEviiiPKT2_S5_S5_PS3_S5_PKi,comdat
	.globl	_ZN9rocsparseL19gtsv_LBM_rhs_kernelILj256ELj4ELj4E21rocsparse_complex_numIdEEEviiiPKT2_S5_S5_PS3_S5_PKi ; -- Begin function _ZN9rocsparseL19gtsv_LBM_rhs_kernelILj256ELj4ELj4E21rocsparse_complex_numIdEEEviiiPKT2_S5_S5_PS3_S5_PKi
	.p2align	8
	.type	_ZN9rocsparseL19gtsv_LBM_rhs_kernelILj256ELj4ELj4E21rocsparse_complex_numIdEEEviiiPKT2_S5_S5_PS3_S5_PKi,@function
_ZN9rocsparseL19gtsv_LBM_rhs_kernelILj256ELj4ELj4E21rocsparse_complex_numIdEEEviiiPKT2_S5_S5_PS3_S5_PKi: ; @_ZN9rocsparseL19gtsv_LBM_rhs_kernelILj256ELj4ELj4E21rocsparse_complex_numIdEEEviiiPKT2_S5_S5_PS3_S5_PKi
; %bb.0:
	s_load_dword s23, s[0:1], 0x0
	v_lshl_or_b32 v28, s2, 8, v0
	s_waitcnt lgkmcnt(0)
	s_lshr_b32 s22, s23, 2
	v_cmp_gt_i32_e32 vcc, s22, v28
	s_and_saveexec_b64 s[4:5], vcc
	s_cbranch_execz .LBB289_29
; %bb.1:
	s_load_dwordx4 s[8:11], s[0:1], 0x28
	s_load_dwordx2 s[6:7], s[0:1], 0x38
	s_cmp_lt_i32 s23, 1
	v_add_u32_e32 v64, s22, v28
	s_mul_i32 s24, s3, s23
	s_cbranch_scc1 .LBB289_21
; %bb.2:
	s_load_dwordx4 s[12:15], s[0:1], 0x10
	s_load_dwordx2 s[16:17], s[0:1], 0x20
	v_ashrrev_i32_e32 v29, 31, v28
	s_lshl_b32 s27, s24, 2
	s_add_i32 s28, s27, s23
	s_waitcnt lgkmcnt(0)
	v_lshl_add_u64 v[0:1], v[28:29], 4, s[14:15]
	global_load_dwordx4 v[0:3], v[0:1], off
	s_add_i32 s29, s28, s23
	s_mul_i32 s25, s22, 3
	s_lshl_b32 s26, s22, 1
	v_add_u32_e32 v65, s22, v64
	s_add_i32 s30, s29, s23
	v_mov_b32_e32 v31, 0
	s_mov_b64 s[18:19], 0
	v_mov_b32_e32 v29, 0
	s_branch .LBB289_5
.LBB289_3:                              ;   in Loop: Header=BB289_5 Depth=1
	s_or_b64 exec, exec, s[4:5]
	v_fmac_f64_e32 v[34:35], v[4:5], v[8:9]
	v_fmac_f64_e32 v[32:33], v[6:7], v[8:9]
	v_mul_f64 v[0:1], v[36:37], -v[32:33]
	v_mul_f64 v[2:3], v[36:37], v[34:35]
	v_fmac_f64_e32 v[0:1], v[34:35], v[10:11]
	v_fmac_f64_e32 v[2:3], v[32:33], v[10:11]
	v_add_f64 v[0:1], v[12:13], -v[0:1]
	v_add_f64 v[2:3], v[14:15], -v[2:3]
	v_mov_b32_e32 v10, s22
.LBB289_4:                              ;   in Loop: Header=BB289_5 Depth=1
	s_or_b64 exec, exec, s[2:3]
	v_add_u32_e32 v29, v10, v29
	v_cmp_le_i32_e32 vcc, s23, v29
	s_or_b64 s[18:19], vcc, s[18:19]
	s_andn2_b64 exec, exec, s[18:19]
	s_cbranch_execz .LBB289_20
.LBB289_5:                              ; =>This Inner Loop Header: Depth=1
	v_add_u32_e32 v24, v29, v28
	v_ashrrev_i32_e32 v25, 31, v24
	v_lshl_add_u64 v[4:5], v[24:25], 4, s[16:17]
	global_load_dwordx4 v[8:11], v[4:5], off
	v_cmp_gt_u32_e64 s[0:1], s25, v29
	v_mov_b64_e32 v[12:13], 0
	v_mov_b64_e32 v[4:5], 0
	;; [unrolled: 1-line block ×3, first 2 shown]
	s_and_saveexec_b64 s[2:3], s[0:1]
	s_cbranch_execz .LBB289_7
; %bb.6:                                ;   in Loop: Header=BB289_5 Depth=1
	v_add_u32_e32 v4, v64, v29
	v_ashrrev_i32_e32 v5, 31, v4
	v_lshl_add_u64 v[4:5], v[4:5], 4, s[12:13]
	global_load_dwordx4 v[4:7], v[4:5], off
.LBB289_7:                              ;   in Loop: Header=BB289_5 Depth=1
	s_or_b64 exec, exec, s[2:3]
	v_mov_b64_e32 v[14:15], 0
	s_and_saveexec_b64 s[2:3], s[0:1]
	s_cbranch_execz .LBB289_9
; %bb.8:                                ;   in Loop: Header=BB289_5 Depth=1
	v_add_u32_e32 v12, v64, v29
	v_ashrrev_i32_e32 v13, 31, v12
	v_lshl_add_u64 v[12:13], v[12:13], 4, s[14:15]
	global_load_dwordx4 v[12:15], v[12:13], off
.LBB289_9:                              ;   in Loop: Header=BB289_5 Depth=1
	s_or_b64 exec, exec, s[2:3]
	v_mov_b64_e32 v[20:21], 0
	v_mov_b64_e32 v[16:17], 0
	v_mov_b64_e32 v[18:19], 0
	s_and_saveexec_b64 s[2:3], s[0:1]
	s_cbranch_execz .LBB289_11
; %bb.10:                               ;   in Loop: Header=BB289_5 Depth=1
	v_add_u32_e32 v16, v64, v29
	v_ashrrev_i32_e32 v17, 31, v16
	v_lshl_add_u64 v[16:17], v[16:17], 4, s[16:17]
	global_load_dwordx4 v[16:19], v[16:17], off
.LBB289_11:                             ;   in Loop: Header=BB289_5 Depth=1
	s_or_b64 exec, exec, s[2:3]
	v_cmp_gt_u32_e64 s[2:3], s26, v29
	v_mov_b64_e32 v[22:23], 0
	s_and_saveexec_b64 s[4:5], s[2:3]
	s_cbranch_execz .LBB289_13
; %bb.12:                               ;   in Loop: Header=BB289_5 Depth=1
	v_add_u32_e32 v20, v65, v29
	v_ashrrev_i32_e32 v21, 31, v20
	v_lshl_add_u64 v[20:21], v[20:21], 4, s[12:13]
	global_load_dwordx4 v[20:23], v[20:21], off
.LBB289_13:                             ;   in Loop: Header=BB289_5 Depth=1
	s_or_b64 exec, exec, s[4:5]
	v_lshl_add_u64 v[26:27], v[24:25], 2, s[6:7]
	global_load_dword v25, v[26:27], off
	v_cmp_ne_u32_e32 vcc, s25, v29
	s_waitcnt vmcnt(1)
	v_mul_f64 v[34:35], v[10:11], -v[6:7]
	v_mul_f64 v[32:33], v[10:11], v[4:5]
	v_add_u32_e32 v30, s27, v24
	v_add_u32_e32 v42, s28, v24
	;; [unrolled: 1-line block ×4, first 2 shown]
	s_waitcnt vmcnt(0)
	v_cmp_ne_u32_e64 s[4:5], 1, v25
	s_and_b64 s[4:5], vcc, s[4:5]
	s_and_saveexec_b64 s[20:21], s[4:5]
	s_xor_b64 s[4:5], exec, s[20:21]
	s_cbranch_execz .LBB289_17
; %bb.14:                               ;   in Loop: Header=BB289_5 Depth=1
	v_add_u32_e32 v44, v64, v29
	v_lshl_add_u64 v[40:41], v[30:31], 4, s[8:9]
	v_add_u32_e32 v30, s27, v44
	v_mov_b32_e32 v43, v31
	v_lshl_add_u64 v[48:49], v[42:43], 4, s[8:9]
	v_lshl_add_u64 v[82:83], v[30:31], 4, s[8:9]
	v_add_u32_e32 v30, s28, v44
	global_load_dwordx4 v[24:27], v[40:41], off
	global_load_dwordx4 v[52:55], v[48:49], off
	;; [unrolled: 1-line block ×3, first 2 shown]
	v_lshl_add_u64 v[84:85], v[30:31], 4, s[8:9]
	global_load_dwordx4 v[60:63], v[84:85], off
	v_mov_b32_e32 v39, v31
	v_add_u32_e32 v30, s29, v44
	v_lshl_add_u64 v[86:87], v[38:39], 4, s[8:9]
	v_lshl_add_u64 v[88:89], v[30:31], 4, s[8:9]
	global_load_dwordx4 v[66:69], v[86:87], off
	global_load_dwordx4 v[70:73], v[88:89], off
	v_mov_b32_e32 v37, v31
	v_lshl_add_u64 v[90:91], v[36:37], 4, s[8:9]
	global_load_dwordx4 v[74:77], v[90:91], off
	v_add_u32_e32 v30, s30, v44
	v_lshl_add_u64 v[92:93], v[30:31], 4, s[8:9]
	global_load_dwordx4 v[78:81], v[92:93], off
	v_mul_f64 v[42:43], v[0:1], v[14:15]
	v_mul_f64 v[38:39], v[14:15], -v[2:3]
	v_fmac_f64_e32 v[32:33], v[6:7], v[8:9]
	v_fmac_f64_e32 v[42:43], v[2:3], v[12:13]
	;; [unrolled: 1-line block ×4, first 2 shown]
	v_add_f64 v[32:33], v[42:43], -v[32:33]
	v_add_f64 v[34:35], v[38:39], -v[34:35]
	v_mul_f64 v[36:37], v[32:33], v[32:33]
	v_fmac_f64_e32 v[36:37], v[34:35], v[34:35]
	v_div_scale_f64 v[42:43], s[20:21], v[36:37], v[36:37], 1.0
	v_rcp_f64_e32 v[44:45], v[42:43]
	v_fma_f64 v[38:39], 0, v[32:33], v[34:35]
	v_fma_f64 v[34:35], v[34:35], 0, -v[32:33]
	v_div_scale_f64 v[32:33], vcc, 1.0, v[36:37], 1.0
	v_fma_f64 v[46:47], -v[42:43], v[44:45], 1.0
	v_fmac_f64_e32 v[44:45], v[44:45], v[46:47]
	v_fma_f64 v[46:47], -v[42:43], v[44:45], 1.0
	v_fmac_f64_e32 v[44:45], v[44:45], v[46:47]
	v_mul_f64 v[46:47], v[32:33], v[44:45]
	v_fma_f64 v[32:33], -v[42:43], v[46:47], v[32:33]
	v_div_fmas_f64 v[32:33], v[32:33], v[44:45], v[46:47]
	v_div_fixup_f64 v[36:37], v[32:33], v[36:37], 1.0
	v_mul_f64 v[34:35], v[34:35], v[36:37]
	v_mul_f64 v[32:33], v[38:39], v[36:37]
	s_waitcnt vmcnt(7)
	v_mul_f64 v[36:37], v[34:35], -v[26:27]
	v_mul_f64 v[42:43], v[34:35], v[24:25]
	s_waitcnt vmcnt(6)
	v_mul_f64 v[46:47], v[34:35], v[52:53]
	s_waitcnt vmcnt(5)
	v_mul_f64 v[50:51], v[34:35], v[56:57]
	v_fmac_f64_e32 v[36:37], v[24:25], v[32:33]
	v_fmac_f64_e32 v[42:43], v[26:27], v[32:33]
	v_mul_f64 v[24:25], v[34:35], -v[54:55]
	v_mul_f64 v[38:39], v[34:35], -v[58:59]
	v_fmac_f64_e32 v[46:47], v[54:55], v[32:33]
	v_fmac_f64_e32 v[50:51], v[58:59], v[32:33]
	s_waitcnt vmcnt(4)
	v_mul_f64 v[54:55], v[34:35], v[60:61]
	v_mul_f64 v[26:27], v[42:43], -v[14:15]
	v_mul_f64 v[94:95], v[12:13], v[42:43]
	v_fmac_f64_e32 v[38:39], v[56:57], v[32:33]
	v_mul_f64 v[44:45], v[34:35], -v[62:63]
	v_mul_f64 v[56:57], v[50:51], -v[10:11]
	v_mul_f64 v[58:59], v[8:9], v[50:51]
	v_fmac_f64_e32 v[54:55], v[62:63], v[32:33]
	v_fmac_f64_e32 v[24:25], v[52:53], v[32:33]
	;; [unrolled: 1-line block ×4, first 2 shown]
	v_mul_f64 v[52:53], v[46:47], -v[14:15]
	v_mul_f64 v[96:97], v[12:13], v[46:47]
	v_fmac_f64_e32 v[44:45], v[60:61], v[32:33]
	v_fmac_f64_e32 v[56:57], v[8:9], v[38:39]
	;; [unrolled: 1-line block ×3, first 2 shown]
	v_mul_f64 v[60:61], v[54:55], -v[10:11]
	v_mul_f64 v[62:63], v[8:9], v[54:55]
	v_fmac_f64_e32 v[52:53], v[12:13], v[24:25]
	v_fmac_f64_e32 v[96:97], v[14:15], v[24:25]
	v_add_f64 v[56:57], v[26:27], -v[56:57]
	v_add_f64 v[58:59], v[94:95], -v[58:59]
	v_fmac_f64_e32 v[60:61], v[8:9], v[44:45]
	v_fmac_f64_e32 v[62:63], v[10:11], v[44:45]
	global_store_dwordx4 v[40:41], v[56:59], off
	s_waitcnt vmcnt(4)
	v_mul_f64 v[26:27], v[34:35], -v[68:69]
	s_waitcnt vmcnt(3)
	v_mul_f64 v[40:41], v[34:35], -v[72:73]
	v_add_f64 v[56:57], v[52:53], -v[60:61]
	v_add_f64 v[58:59], v[96:97], -v[62:63]
	global_store_dwordx4 v[48:49], v[56:59], off
	v_mul_f64 v[48:49], v[34:35], v[66:67]
	v_mul_f64 v[52:53], v[34:35], v[70:71]
	v_fmac_f64_e32 v[48:49], v[68:69], v[32:33]
	v_fmac_f64_e32 v[52:53], v[72:73], v[32:33]
	;; [unrolled: 1-line block ×4, first 2 shown]
	v_mul_f64 v[56:57], v[48:49], -v[14:15]
	v_mul_f64 v[58:59], v[12:13], v[48:49]
	v_mul_f64 v[60:61], v[52:53], -v[10:11]
	v_mul_f64 v[62:63], v[8:9], v[52:53]
	v_fmac_f64_e32 v[56:57], v[12:13], v[26:27]
	v_fmac_f64_e32 v[58:59], v[14:15], v[26:27]
	;; [unrolled: 1-line block ×4, first 2 shown]
	v_add_f64 v[56:57], v[56:57], -v[60:61]
	v_add_f64 v[58:59], v[58:59], -v[62:63]
	s_waitcnt vmcnt(3)
	v_mul_f64 v[60:61], v[34:35], v[74:75]
	global_store_dwordx4 v[86:87], v[56:59], off
	v_fmac_f64_e32 v[60:61], v[76:77], v[32:33]
	s_waitcnt vmcnt(3)
	v_mul_f64 v[62:63], v[34:35], v[78:79]
	v_mul_f64 v[56:57], v[34:35], -v[76:77]
	v_fmac_f64_e32 v[56:57], v[74:75], v[32:33]
	v_mul_f64 v[66:67], v[60:61], -v[14:15]
	v_mul_f64 v[58:59], v[34:35], -v[80:81]
	v_fmac_f64_e32 v[62:63], v[80:81], v[32:33]
	v_fmac_f64_e32 v[66:67], v[12:13], v[56:57]
	v_mul_f64 v[12:13], v[12:13], v[60:61]
	v_fmac_f64_e32 v[58:59], v[78:79], v[32:33]
	v_fmac_f64_e32 v[12:13], v[14:15], v[56:57]
	v_mul_f64 v[14:15], v[62:63], -v[10:11]
	v_mul_f64 v[68:69], v[8:9], v[62:63]
	v_fmac_f64_e32 v[14:15], v[8:9], v[58:59]
	v_fmac_f64_e32 v[68:69], v[10:11], v[58:59]
	v_add_f64 v[8:9], v[66:67], -v[14:15]
	v_add_f64 v[10:11], v[12:13], -v[68:69]
	global_store_dwordx4 v[90:91], v[8:11], off
	v_mul_f64 v[12:13], v[50:51], -v[2:3]
	v_mul_f64 v[14:15], v[0:1], v[50:51]
	v_mul_f64 v[8:9], v[6:7], v[42:43]
	v_mul_f64 v[10:11], v[42:43], -v[4:5]
	v_fma_f64 v[8:9], -v[4:5], v[36:37], v[8:9]
	v_fma_f64 v[10:11], -v[6:7], v[36:37], v[10:11]
	v_fmac_f64_e32 v[12:13], v[0:1], v[38:39]
	v_fmac_f64_e32 v[14:15], v[2:3], v[38:39]
	v_add_f64 v[8:9], v[8:9], v[12:13]
	v_add_f64 v[10:11], v[10:11], v[14:15]
	global_store_dwordx4 v[82:83], v[8:11], off
	v_mul_f64 v[12:13], v[54:55], -v[2:3]
	v_mul_f64 v[14:15], v[0:1], v[54:55]
	v_mul_f64 v[8:9], v[6:7], v[46:47]
	v_mul_f64 v[10:11], v[46:47], -v[4:5]
	v_fma_f64 v[8:9], -v[4:5], v[24:25], v[8:9]
	v_fma_f64 v[10:11], -v[6:7], v[24:25], v[10:11]
	v_fmac_f64_e32 v[12:13], v[0:1], v[44:45]
	v_fmac_f64_e32 v[14:15], v[2:3], v[44:45]
	v_add_f64 v[8:9], v[8:9], v[12:13]
	v_add_f64 v[10:11], v[10:11], v[14:15]
	global_store_dwordx4 v[84:85], v[8:11], off
	v_mul_f64 v[14:15], v[0:1], v[52:53]
	v_fmac_f64_e32 v[14:15], v[2:3], v[40:41]
	v_mul_f64 v[10:11], v[48:49], -v[4:5]
	v_mul_f64 v[8:9], v[6:7], v[48:49]
	v_fma_f64 v[12:13], -v[6:7], v[26:27], v[10:11]
	v_mul_f64 v[10:11], v[52:53], -v[2:3]
	v_fma_f64 v[8:9], -v[4:5], v[26:27], v[8:9]
	v_fmac_f64_e32 v[10:11], v[0:1], v[40:41]
	v_add_f64 v[10:11], v[8:9], v[10:11]
	v_add_f64 v[12:13], v[12:13], v[14:15]
	global_store_dwordx4 v[88:89], v[10:13], off
	v_mul_f64 v[14:15], v[62:63], -v[2:3]
	v_mul_f64 v[66:67], v[0:1], v[62:63]
	v_mul_f64 v[10:11], v[6:7], v[60:61]
	v_mul_f64 v[12:13], v[60:61], -v[4:5]
	v_fma_f64 v[10:11], -v[4:5], v[56:57], v[10:11]
	v_fma_f64 v[12:13], -v[6:7], v[56:57], v[12:13]
	v_fmac_f64_e32 v[14:15], v[0:1], v[58:59]
	v_fmac_f64_e32 v[66:67], v[2:3], v[58:59]
	v_add_f64 v[10:11], v[10:11], v[14:15]
	v_add_f64 v[12:13], v[12:13], v[66:67]
	v_mov_b64_e32 v[8:9], 0
	global_store_dwordx4 v[92:93], v[10:13], off
	s_nop 1
	v_mov_b64_e32 v[10:11], 0
	s_and_saveexec_b64 s[20:21], s[2:3]
	s_cbranch_execz .LBB289_16
; %bb.15:                               ;   in Loop: Header=BB289_5 Depth=1
	v_add_u32_e32 v66, v65, v29
	v_add_u32_e32 v30, s27, v66
	v_lshl_add_u64 v[68:69], v[30:31], 4, s[8:9]
	v_add_u32_e32 v30, s28, v66
	global_load_dwordx4 v[8:11], v[68:69], off
	v_lshl_add_u64 v[70:71], v[30:31], 4, s[8:9]
	global_load_dwordx4 v[12:15], v[70:71], off
	v_mul_f64 v[72:73], v[6:7], v[22:23]
	v_mul_f64 v[74:75], v[22:23], -v[4:5]
	v_mul_f64 v[76:77], v[22:23], -v[2:3]
	v_mul_f64 v[78:79], v[0:1], v[22:23]
	v_fma_f64 v[72:73], -v[4:5], v[20:21], v[72:73]
	v_fma_f64 v[74:75], -v[6:7], v[20:21], v[74:75]
	v_fmac_f64_e32 v[76:77], v[0:1], v[20:21]
	v_fmac_f64_e32 v[78:79], v[2:3], v[20:21]
	v_mul_f64 v[4:5], v[74:75], v[42:43]
	v_mul_f64 v[6:7], v[42:43], -v[72:73]
	v_mul_f64 v[42:43], v[50:51], -v[78:79]
	v_mul_f64 v[50:51], v[76:77], v[50:51]
	v_mul_f64 v[80:81], v[74:75], v[46:47]
	v_mul_f64 v[46:47], v[46:47], -v[72:73]
	v_mul_f64 v[82:83], v[54:55], -v[78:79]
	v_mul_f64 v[54:55], v[76:77], v[54:55]
	v_fma_f64 v[86:87], -v[72:73], v[36:37], v[4:5]
	v_fma_f64 v[36:37], -v[74:75], v[36:37], v[6:7]
	v_fmac_f64_e32 v[42:43], v[76:77], v[38:39]
	v_fmac_f64_e32 v[50:51], v[78:79], v[38:39]
	v_fma_f64 v[38:39], -v[72:73], v[24:25], v[80:81]
	v_fma_f64 v[24:25], -v[74:75], v[24:25], v[46:47]
	v_fmac_f64_e32 v[82:83], v[76:77], v[44:45]
	v_fmac_f64_e32 v[54:55], v[78:79], v[44:45]
	v_add_f64 v[42:43], v[86:87], -v[42:43]
	v_add_f64 v[36:37], v[36:37], -v[50:51]
	v_add_u32_e32 v30, s29, v66
	v_add_f64 v[38:39], v[38:39], -v[82:83]
	v_add_f64 v[24:25], v[24:25], -v[54:55]
	v_ashrrev_i32_e32 v67, 31, v66
	v_lshl_add_u64 v[44:45], v[30:31], 4, s[8:9]
	v_add_u32_e32 v30, s30, v66
	v_lshl_add_u64 v[84:85], v[66:67], 4, s[14:15]
	v_lshl_add_u64 v[46:47], v[30:31], 4, s[8:9]
	global_load_dwordx4 v[4:7], v[84:85], off
	v_mul_f64 v[50:51], v[76:77], v[62:63]
	v_fmac_f64_e32 v[50:51], v[78:79], v[58:59]
	s_waitcnt vmcnt(2)
	v_add_f64 v[8:9], v[42:43], v[8:9]
	v_add_f64 v[10:11], v[36:37], v[10:11]
	global_store_dwordx4 v[68:69], v[8:11], off
	v_mul_f64 v[42:43], v[60:61], -v[72:73]
	s_waitcnt vmcnt(2)
	v_add_f64 v[8:9], v[38:39], v[12:13]
	v_add_f64 v[10:11], v[24:25], v[14:15]
	global_load_dwordx4 v[36:39], v[44:45], off
	v_mul_f64 v[24:25], v[74:75], v[60:61]
	global_store_dwordx4 v[70:71], v[8:11], off
	global_load_dwordx4 v[12:15], v[46:47], off
	v_fma_f64 v[24:25], -v[72:73], v[56:57], v[24:25]
	v_mul_f64 v[8:9], v[2:3], -v[22:23]
	v_mul_f64 v[2:3], v[2:3], v[20:21]
	v_fmac_f64_e32 v[8:9], v[20:21], v[0:1]
	v_fmac_f64_e32 v[2:3], v[22:23], v[0:1]
	v_mul_f64 v[0:1], v[74:75], v[48:49]
	v_mul_f64 v[10:11], v[48:49], -v[72:73]
	v_mul_f64 v[20:21], v[52:53], -v[78:79]
	v_mul_f64 v[22:23], v[76:77], v[52:53]
	v_mul_f64 v[52:53], v[18:19], -v[2:3]
	v_mul_f64 v[18:19], v[18:19], v[8:9]
	v_mul_f64 v[48:49], v[62:63], -v[78:79]
	v_fma_f64 v[0:1], -v[72:73], v[26:27], v[0:1]
	v_fma_f64 v[10:11], -v[74:75], v[26:27], v[10:11]
	v_fmac_f64_e32 v[20:21], v[76:77], v[40:41]
	v_fmac_f64_e32 v[22:23], v[78:79], v[40:41]
	;; [unrolled: 1-line block ×4, first 2 shown]
	v_fma_f64 v[26:27], -v[74:75], v[56:57], v[42:43]
	v_fmac_f64_e32 v[48:49], v[76:77], v[58:59]
	v_add_f64 v[0:1], v[0:1], -v[20:21]
	v_add_f64 v[2:3], v[10:11], -v[22:23]
	v_mul_f64 v[10:11], v[34:35], -v[18:19]
	v_mul_f64 v[20:21], v[34:35], v[52:53]
	v_add_f64 v[8:9], v[24:25], -v[48:49]
	v_add_f64 v[16:17], v[26:27], -v[50:51]
	v_fmac_f64_e32 v[10:11], v[52:53], v[32:33]
	v_fmac_f64_e32 v[20:21], v[18:19], v[32:33]
	s_waitcnt vmcnt(4)
	v_add_f64 v[10:11], v[4:5], -v[10:11]
	s_waitcnt vmcnt(2)
	v_add_f64 v[0:1], v[0:1], v[36:37]
	v_add_f64 v[2:3], v[2:3], v[38:39]
	global_store_dwordx4 v[44:45], v[0:3], off
	s_waitcnt vmcnt(1)
	s_nop 0
	v_add_f64 v[0:1], v[8:9], v[12:13]
	v_add_f64 v[2:3], v[16:17], v[14:15]
	v_add_f64 v[8:9], v[6:7], -v[20:21]
	global_store_dwordx4 v[46:47], v[0:3], off
.LBB289_16:                             ;   in Loop: Header=BB289_5 Depth=1
	s_or_b64 exec, exec, s[20:21]
	s_nop 0
	v_mov_b64_e32 v[2:3], v[8:9]
	v_mov_b64_e32 v[0:1], v[10:11]
                                        ; implicit-def: $vgpr4_vgpr5
                                        ; implicit-def: $vgpr12_vgpr13
                                        ; implicit-def: $vgpr8_vgpr9
                                        ; implicit-def: $vgpr34_vgpr35
                                        ; implicit-def: $vgpr32_vgpr33
                                        ; implicit-def: $vgpr42
                                        ; implicit-def: $vgpr38
                                        ; implicit-def: $vgpr36
.LBB289_17:                             ;   in Loop: Header=BB289_5 Depth=1
	s_or_saveexec_b64 s[2:3], s[4:5]
	v_mov_b32_e32 v10, s26
	s_xor_b64 exec, exec, s[2:3]
	s_cbranch_execz .LBB289_4
; %bb.18:                               ;   in Loop: Header=BB289_5 Depth=1
	v_lshl_add_u64 v[52:53], v[30:31], 4, s[8:9]
	v_mov_b32_e32 v43, v31
	v_mov_b32_e32 v39, v31
	;; [unrolled: 1-line block ×3, first 2 shown]
	global_load_dwordx4 v[16:19], v[52:53], off
	v_lshl_add_u64 v[54:55], v[42:43], 4, s[8:9]
	v_lshl_add_u64 v[38:39], v[38:39], 4, s[8:9]
	;; [unrolled: 1-line block ×3, first 2 shown]
	global_load_dwordx4 v[40:43], v[54:55], off
	global_load_dwordx4 v[48:51], v[56:57], off
	;; [unrolled: 1-line block ×3, first 2 shown]
	v_mul_f64 v[10:11], v[2:3], v[2:3]
	v_fmac_f64_e32 v[10:11], v[0:1], v[0:1]
	v_div_scale_f64 v[22:23], s[4:5], v[10:11], v[10:11], 1.0
	v_rcp_f64_e32 v[24:25], v[22:23]
	v_fma_f64 v[20:21], 0, v[2:3], v[0:1]
	v_fma_f64 v[0:1], v[0:1], 0, -v[2:3]
	v_div_scale_f64 v[2:3], vcc, 1.0, v[10:11], 1.0
	v_fma_f64 v[26:27], -v[22:23], v[24:25], 1.0
	v_fmac_f64_e32 v[24:25], v[24:25], v[26:27]
	v_fma_f64 v[26:27], -v[22:23], v[24:25], 1.0
	v_fmac_f64_e32 v[24:25], v[24:25], v[26:27]
	v_mul_f64 v[26:27], v[2:3], v[24:25]
	v_fma_f64 v[2:3], -v[22:23], v[26:27], v[2:3]
	v_div_fmas_f64 v[2:3], v[2:3], v[24:25], v[26:27]
	v_div_fixup_f64 v[2:3], v[2:3], v[10:11], 1.0
	v_mul_f64 v[36:37], v[0:1], v[2:3]
	v_mul_f64 v[10:11], v[20:21], v[2:3]
	s_waitcnt vmcnt(3)
	v_mul_f64 v[24:25], v[36:37], -v[18:19]
	v_mul_f64 v[26:27], v[36:37], v[16:17]
	v_fmac_f64_e32 v[24:25], v[16:17], v[10:11]
	v_fmac_f64_e32 v[26:27], v[18:19], v[10:11]
	s_waitcnt vmcnt(2)
	v_mul_f64 v[20:21], v[36:37], -v[42:43]
	v_mul_f64 v[22:23], v[36:37], v[40:41]
	s_waitcnt vmcnt(0)
	v_mul_f64 v[16:17], v[36:37], -v[46:47]
	v_mul_f64 v[18:19], v[36:37], v[44:45]
	v_mul_f64 v[0:1], v[36:37], -v[50:51]
	v_mul_f64 v[2:3], v[36:37], v[48:49]
	v_fmac_f64_e32 v[20:21], v[40:41], v[10:11]
	v_fmac_f64_e32 v[22:23], v[42:43], v[10:11]
	;; [unrolled: 1-line block ×6, first 2 shown]
	global_store_dwordx4 v[52:53], v[24:27], off
	global_store_dwordx4 v[54:55], v[20:23], off
	;; [unrolled: 1-line block ×4, first 2 shown]
	s_and_saveexec_b64 s[4:5], s[0:1]
	s_cbranch_execz .LBB289_3
; %bb.19:                               ;   in Loop: Header=BB289_5 Depth=1
	v_add_u32_e32 v52, v64, v29
	v_add_u32_e32 v30, s27, v52
	v_lshl_add_u64 v[46:47], v[30:31], 4, s[8:9]
	v_add_u32_e32 v30, s28, v52
	global_load_dwordx4 v[38:41], v[46:47], off
	v_lshl_add_u64 v[48:49], v[30:31], 4, s[8:9]
	global_load_dwordx4 v[42:45], v[48:49], off
	v_add_u32_e32 v30, s29, v52
	v_lshl_add_u64 v[50:51], v[30:31], 4, s[8:9]
	v_add_u32_e32 v30, s30, v52
	v_lshl_add_u64 v[52:53], v[30:31], 4, s[8:9]
	s_waitcnt vmcnt(1)
	v_fma_f64 v[38:39], -v[4:5], v[24:25], v[38:39]
	v_fma_f64 v[24:25], -v[6:7], v[24:25], v[40:41]
	v_fmac_f64_e32 v[38:39], v[6:7], v[26:27]
	v_fma_f64 v[40:41], -v[4:5], v[26:27], v[24:25]
	s_waitcnt vmcnt(0)
	v_fma_f64 v[24:25], -v[4:5], v[20:21], v[42:43]
	v_fma_f64 v[20:21], -v[6:7], v[20:21], v[44:45]
	global_store_dwordx4 v[46:47], v[38:41], off
	v_fmac_f64_e32 v[24:25], v[6:7], v[22:23]
	v_fma_f64 v[26:27], -v[4:5], v[22:23], v[20:21]
	global_load_dwordx4 v[38:41], v[50:51], off
	s_nop 0
	global_store_dwordx4 v[48:49], v[24:27], off
	global_load_dwordx4 v[20:23], v[52:53], off
	s_waitcnt vmcnt(2)
	v_fma_f64 v[24:25], -v[4:5], v[16:17], v[38:39]
	v_fma_f64 v[16:17], -v[6:7], v[16:17], v[40:41]
	;; [unrolled: 1-line block ×3, first 2 shown]
	s_waitcnt vmcnt(0)
	v_fma_f64 v[16:17], -v[4:5], v[0:1], v[20:21]
	v_fma_f64 v[0:1], -v[6:7], v[0:1], v[22:23]
	v_fmac_f64_e32 v[24:25], v[6:7], v[18:19]
	v_fmac_f64_e32 v[16:17], v[6:7], v[2:3]
	v_fma_f64 v[18:19], -v[4:5], v[2:3], v[0:1]
	global_store_dwordx4 v[50:51], v[24:27], off
	global_store_dwordx4 v[52:53], v[16:19], off
	s_branch .LBB289_3
.LBB289_20:
	s_or_b64 exec, exec, s[18:19]
	s_branch .LBB289_22
.LBB289_21:
	v_mov_b32_e32 v29, 0
.LBB289_22:
	v_subrev_u32_e32 v2, s22, v29
	v_add_u32_e32 v0, v2, v28
	v_ashrrev_i32_e32 v1, 31, v0
	s_waitcnt lgkmcnt(0)
	v_lshl_add_u64 v[0:1], v[0:1], 2, s[6:7]
	buffer_wbl2 sc1
	s_waitcnt vmcnt(0)
	buffer_inv sc1
	global_load_dword v0, v[0:1], off
	s_waitcnt vmcnt(0)
	v_mul_lo_u32 v0, v0, s22
	v_sub_u32_e32 v8, v2, v0
	v_cmp_lt_i32_e32 vcc, -1, v8
	s_and_b64 exec, exec, vcc
	s_cbranch_execz .LBB289_29
; %bb.23:
	s_lshl_b32 s4, s24, 2
	s_add_i32 s5, s4, s23
	s_add_i32 s12, s5, s23
	;; [unrolled: 1-line block ×3, first 2 shown]
	s_lshl_b32 s14, s22, 1
	s_mov_b64 s[0:1], 0
	v_mov_b32_e32 v5, 0
	s_branch .LBB289_25
.LBB289_24:                             ;   in Loop: Header=BB289_25 Depth=1
	s_or_b64 exec, exec, s[2:3]
	v_sub_u32_e32 v8, v8, v4
	v_cmp_gt_i32_e32 vcc, 0, v8
	s_or_b64 s[0:1], vcc, s[0:1]
	s_andn2_b64 exec, exec, s[0:1]
	s_cbranch_execz .LBB289_29
.LBB289_25:                             ; =>This Inner Loop Header: Depth=1
	v_add_u32_e32 v6, v8, v28
	v_ashrrev_i32_e32 v7, 31, v6
	s_waitcnt vmcnt(0)
	v_lshl_add_u64 v[0:1], v[6:7], 2, s[6:7]
	global_load_dword v4, v[0:1], off
	v_lshl_add_u64 v[0:1], v[6:7], 4, s[10:11]
	global_load_dwordx4 v[0:3], v[0:1], off
	s_waitcnt vmcnt(1)
	v_cmp_ne_u32_e32 vcc, 1, v4
	s_and_saveexec_b64 s[2:3], vcc
	s_xor_b64 s[2:3], exec, s[2:3]
	s_cbranch_execz .LBB289_27
; %bb.26:                               ;   in Loop: Header=BB289_25 Depth=1
	v_add_u32_e32 v7, v64, v8
	v_add_u32_e32 v4, s4, v7
	v_lshl_add_u64 v[26:27], v[4:5], 4, s[8:9]
	v_add_u32_e32 v4, s5, v7
	v_lshl_add_u64 v[34:35], v[4:5], 4, s[8:9]
	v_add_u32_e32 v4, s12, v7
	v_lshl_add_u64 v[36:37], v[4:5], 4, s[8:9]
	v_add_u32_e32 v4, s13, v7
	v_lshl_add_u64 v[38:39], v[4:5], 4, s[8:9]
	v_add_u32_e32 v4, s4, v6
	v_lshl_add_u64 v[40:41], v[4:5], 4, s[8:9]
	global_load_dwordx4 v[10:13], v[40:41], off
	global_load_dwordx4 v[14:17], v[26:27], off
	;; [unrolled: 1-line block ×5, first 2 shown]
	v_add_u32_e32 v4, s5, v6
	v_lshl_add_u64 v[26:27], v[4:5], 4, s[8:9]
	v_add_u32_e32 v4, s12, v6
	v_lshl_add_u64 v[34:35], v[4:5], 4, s[8:9]
	;; [unrolled: 2-line block ×3, first 2 shown]
	v_subrev_u32_e32 v4, s22, v8
	s_waitcnt vmcnt(3)
	v_fma_f64 v[10:11], -v[0:1], v[14:15], v[10:11]
	v_fma_f64 v[12:13], -v[2:3], v[14:15], v[12:13]
	v_fmac_f64_e32 v[10:11], v[2:3], v[16:17]
	v_fma_f64 v[12:13], -v[0:1], v[16:17], v[12:13]
	global_store_dwordx4 v[40:41], v[10:13], off
	global_load_dwordx4 v[10:13], v[26:27], off
	s_waitcnt vmcnt(0)
	v_fma_f64 v[10:11], -v[0:1], v[18:19], v[10:11]
	v_fma_f64 v[12:13], -v[2:3], v[18:19], v[12:13]
	v_fmac_f64_e32 v[10:11], v[2:3], v[20:21]
	v_fma_f64 v[12:13], -v[0:1], v[20:21], v[12:13]
	global_store_dwordx4 v[26:27], v[10:13], off
	global_load_dwordx4 v[10:13], v[34:35], off
	v_add_u32_e32 v26, v4, v28
	v_ashrrev_i32_e32 v27, 31, v26
	v_add_u32_e32 v4, s4, v26
	v_lshl_add_u64 v[38:39], v[4:5], 4, s[8:9]
	v_add_u32_e32 v4, s5, v26
	s_waitcnt vmcnt(0)
	v_fma_f64 v[10:11], -v[0:1], v[22:23], v[10:11]
	v_fma_f64 v[12:13], -v[2:3], v[22:23], v[12:13]
	v_fmac_f64_e32 v[10:11], v[2:3], v[24:25]
	v_fma_f64 v[12:13], -v[0:1], v[24:25], v[12:13]
	global_store_dwordx4 v[34:35], v[10:13], off
	global_load_dwordx4 v[10:13], v[6:7], off
	v_lshl_add_u64 v[34:35], v[26:27], 4, s[10:11]
	global_load_dwordx4 v[34:37], v[34:35], off
	s_waitcnt vmcnt(1)
	v_fma_f64 v[10:11], -v[0:1], v[30:31], v[10:11]
	v_fma_f64 v[12:13], -v[2:3], v[30:31], v[12:13]
	v_fmac_f64_e32 v[10:11], v[2:3], v[32:33]
	v_fma_f64 v[12:13], -v[0:1], v[32:33], v[12:13]
	global_store_dwordx4 v[6:7], v[10:13], off
	global_load_dwordx4 v[0:3], v[38:39], off
	v_lshl_add_u64 v[6:7], v[4:5], 4, s[8:9]
	v_add_u32_e32 v4, s12, v26
	v_lshl_add_u64 v[10:11], v[4:5], 4, s[8:9]
	v_add_u32_e32 v4, s13, v26
	s_waitcnt vmcnt(0)
	v_fma_f64 v[0:1], -v[34:35], v[14:15], v[0:1]
	v_fma_f64 v[2:3], -v[36:37], v[14:15], v[2:3]
	v_fmac_f64_e32 v[0:1], v[36:37], v[16:17]
	v_fma_f64 v[2:3], -v[34:35], v[16:17], v[2:3]
	global_store_dwordx4 v[38:39], v[0:3], off
	global_load_dwordx4 v[0:3], v[6:7], off
	s_waitcnt vmcnt(0)
	v_fma_f64 v[0:1], -v[34:35], v[18:19], v[0:1]
	v_fma_f64 v[2:3], -v[36:37], v[18:19], v[2:3]
	v_fmac_f64_e32 v[0:1], v[36:37], v[20:21]
	v_fma_f64 v[2:3], -v[34:35], v[20:21], v[2:3]
	global_store_dwordx4 v[6:7], v[0:3], off
	global_load_dwordx4 v[0:3], v[10:11], off
	v_lshl_add_u64 v[6:7], v[4:5], 4, s[8:9]
	s_waitcnt vmcnt(0)
	v_fma_f64 v[0:1], -v[34:35], v[22:23], v[0:1]
	v_fma_f64 v[2:3], -v[36:37], v[22:23], v[2:3]
	v_fmac_f64_e32 v[0:1], v[36:37], v[24:25]
	v_fma_f64 v[2:3], -v[34:35], v[24:25], v[2:3]
	global_store_dwordx4 v[10:11], v[0:3], off
	global_load_dwordx4 v[0:3], v[6:7], off
	s_waitcnt vmcnt(0)
	v_fma_f64 v[0:1], -v[34:35], v[30:31], v[0:1]
	v_fma_f64 v[2:3], -v[36:37], v[30:31], v[2:3]
	v_fmac_f64_e32 v[0:1], v[36:37], v[32:33]
	v_fma_f64 v[2:3], -v[34:35], v[32:33], v[2:3]
	global_store_dwordx4 v[6:7], v[0:3], off
                                        ; implicit-def: $vgpr6
                                        ; implicit-def: $vgpr0_vgpr1
.LBB289_27:                             ;   in Loop: Header=BB289_25 Depth=1
	s_or_saveexec_b64 s[2:3], s[2:3]
	v_mov_b32_e32 v4, s14
	s_xor_b64 exec, exec, s[2:3]
	s_cbranch_execz .LBB289_24
; %bb.28:                               ;   in Loop: Header=BB289_25 Depth=1
	v_add_u32_e32 v7, v64, v8
	v_add_u32_e32 v4, s4, v7
	v_lshl_add_u64 v[18:19], v[4:5], 4, s[8:9]
	v_add_u32_e32 v4, s4, v6
	v_lshl_add_u64 v[20:21], v[4:5], 4, s[8:9]
	global_load_dwordx4 v[10:13], v[18:19], off
	global_load_dwordx4 v[14:17], v[20:21], off
	v_add_u32_e32 v4, s5, v7
	v_lshl_add_u64 v[18:19], v[4:5], 4, s[8:9]
	v_add_u32_e32 v4, s5, v6
	v_lshl_add_u64 v[22:23], v[4:5], 4, s[8:9]
	v_add_u32_e32 v4, s12, v7
	s_waitcnt vmcnt(0)
	v_fma_f64 v[14:15], -v[0:1], v[10:11], v[14:15]
	v_fma_f64 v[10:11], -v[2:3], v[10:11], v[16:17]
	v_fmac_f64_e32 v[14:15], v[2:3], v[12:13]
	v_fma_f64 v[16:17], -v[0:1], v[12:13], v[10:11]
	global_store_dwordx4 v[20:21], v[14:17], off
	global_load_dwordx4 v[10:13], v[18:19], off
	s_nop 0
	global_load_dwordx4 v[14:17], v[22:23], off
	v_lshl_add_u64 v[18:19], v[4:5], 4, s[8:9]
	v_add_u32_e32 v4, s12, v6
	v_lshl_add_u64 v[20:21], v[4:5], 4, s[8:9]
	v_add_u32_e32 v4, s13, v7
	s_waitcnt vmcnt(0)
	v_fma_f64 v[14:15], -v[0:1], v[10:11], v[14:15]
	v_fma_f64 v[10:11], -v[2:3], v[10:11], v[16:17]
	v_fmac_f64_e32 v[14:15], v[2:3], v[12:13]
	v_fma_f64 v[16:17], -v[0:1], v[12:13], v[10:11]
	global_store_dwordx4 v[22:23], v[14:17], off
	global_load_dwordx4 v[10:13], v[18:19], off
	s_nop 0
	global_load_dwordx4 v[14:17], v[20:21], off
	v_lshl_add_u64 v[18:19], v[4:5], 4, s[8:9]
	v_add_u32_e32 v4, s13, v6
	v_lshl_add_u64 v[6:7], v[4:5], 4, s[8:9]
	v_mov_b32_e32 v4, s22
	s_waitcnt vmcnt(0)
	v_fma_f64 v[14:15], -v[0:1], v[10:11], v[14:15]
	v_fma_f64 v[10:11], -v[2:3], v[10:11], v[16:17]
	v_fmac_f64_e32 v[14:15], v[2:3], v[12:13]
	v_fma_f64 v[16:17], -v[0:1], v[12:13], v[10:11]
	global_store_dwordx4 v[20:21], v[14:17], off
	global_load_dwordx4 v[10:13], v[18:19], off
	s_nop 0
	global_load_dwordx4 v[14:17], v[6:7], off
	s_waitcnt vmcnt(0)
	v_fma_f64 v[14:15], -v[0:1], v[10:11], v[14:15]
	v_fma_f64 v[10:11], -v[2:3], v[10:11], v[16:17]
	v_fmac_f64_e32 v[14:15], v[2:3], v[12:13]
	v_fma_f64 v[16:17], -v[0:1], v[12:13], v[10:11]
	global_store_dwordx4 v[6:7], v[14:17], off
	s_branch .LBB289_24
.LBB289_29:
	s_endpgm
	.section	.rodata,"a",@progbits
	.p2align	6, 0x0
	.amdhsa_kernel _ZN9rocsparseL19gtsv_LBM_rhs_kernelILj256ELj4ELj4E21rocsparse_complex_numIdEEEviiiPKT2_S5_S5_PS3_S5_PKi
		.amdhsa_group_segment_fixed_size 0
		.amdhsa_private_segment_fixed_size 0
		.amdhsa_kernarg_size 64
		.amdhsa_user_sgpr_count 2
		.amdhsa_user_sgpr_dispatch_ptr 0
		.amdhsa_user_sgpr_queue_ptr 0
		.amdhsa_user_sgpr_kernarg_segment_ptr 1
		.amdhsa_user_sgpr_dispatch_id 0
		.amdhsa_user_sgpr_kernarg_preload_length 0
		.amdhsa_user_sgpr_kernarg_preload_offset 0
		.amdhsa_user_sgpr_private_segment_size 0
		.amdhsa_uses_dynamic_stack 0
		.amdhsa_enable_private_segment 0
		.amdhsa_system_sgpr_workgroup_id_x 1
		.amdhsa_system_sgpr_workgroup_id_y 1
		.amdhsa_system_sgpr_workgroup_id_z 0
		.amdhsa_system_sgpr_workgroup_info 0
		.amdhsa_system_vgpr_workitem_id 0
		.amdhsa_next_free_vgpr 98
		.amdhsa_next_free_sgpr 31
		.amdhsa_accum_offset 100
		.amdhsa_reserve_vcc 1
		.amdhsa_float_round_mode_32 0
		.amdhsa_float_round_mode_16_64 0
		.amdhsa_float_denorm_mode_32 3
		.amdhsa_float_denorm_mode_16_64 3
		.amdhsa_dx10_clamp 1
		.amdhsa_ieee_mode 1
		.amdhsa_fp16_overflow 0
		.amdhsa_tg_split 0
		.amdhsa_exception_fp_ieee_invalid_op 0
		.amdhsa_exception_fp_denorm_src 0
		.amdhsa_exception_fp_ieee_div_zero 0
		.amdhsa_exception_fp_ieee_overflow 0
		.amdhsa_exception_fp_ieee_underflow 0
		.amdhsa_exception_fp_ieee_inexact 0
		.amdhsa_exception_int_div_zero 0
	.end_amdhsa_kernel
	.section	.text._ZN9rocsparseL19gtsv_LBM_rhs_kernelILj256ELj4ELj4E21rocsparse_complex_numIdEEEviiiPKT2_S5_S5_PS3_S5_PKi,"axG",@progbits,_ZN9rocsparseL19gtsv_LBM_rhs_kernelILj256ELj4ELj4E21rocsparse_complex_numIdEEEviiiPKT2_S5_S5_PS3_S5_PKi,comdat
.Lfunc_end289:
	.size	_ZN9rocsparseL19gtsv_LBM_rhs_kernelILj256ELj4ELj4E21rocsparse_complex_numIdEEEviiiPKT2_S5_S5_PS3_S5_PKi, .Lfunc_end289-_ZN9rocsparseL19gtsv_LBM_rhs_kernelILj256ELj4ELj4E21rocsparse_complex_numIdEEEviiiPKT2_S5_S5_PS3_S5_PKi
                                        ; -- End function
	.set _ZN9rocsparseL19gtsv_LBM_rhs_kernelILj256ELj4ELj4E21rocsparse_complex_numIdEEEviiiPKT2_S5_S5_PS3_S5_PKi.num_vgpr, 98
	.set _ZN9rocsparseL19gtsv_LBM_rhs_kernelILj256ELj4ELj4E21rocsparse_complex_numIdEEEviiiPKT2_S5_S5_PS3_S5_PKi.num_agpr, 0
	.set _ZN9rocsparseL19gtsv_LBM_rhs_kernelILj256ELj4ELj4E21rocsparse_complex_numIdEEEviiiPKT2_S5_S5_PS3_S5_PKi.numbered_sgpr, 31
	.set _ZN9rocsparseL19gtsv_LBM_rhs_kernelILj256ELj4ELj4E21rocsparse_complex_numIdEEEviiiPKT2_S5_S5_PS3_S5_PKi.num_named_barrier, 0
	.set _ZN9rocsparseL19gtsv_LBM_rhs_kernelILj256ELj4ELj4E21rocsparse_complex_numIdEEEviiiPKT2_S5_S5_PS3_S5_PKi.private_seg_size, 0
	.set _ZN9rocsparseL19gtsv_LBM_rhs_kernelILj256ELj4ELj4E21rocsparse_complex_numIdEEEviiiPKT2_S5_S5_PS3_S5_PKi.uses_vcc, 1
	.set _ZN9rocsparseL19gtsv_LBM_rhs_kernelILj256ELj4ELj4E21rocsparse_complex_numIdEEEviiiPKT2_S5_S5_PS3_S5_PKi.uses_flat_scratch, 0
	.set _ZN9rocsparseL19gtsv_LBM_rhs_kernelILj256ELj4ELj4E21rocsparse_complex_numIdEEEviiiPKT2_S5_S5_PS3_S5_PKi.has_dyn_sized_stack, 0
	.set _ZN9rocsparseL19gtsv_LBM_rhs_kernelILj256ELj4ELj4E21rocsparse_complex_numIdEEEviiiPKT2_S5_S5_PS3_S5_PKi.has_recursion, 0
	.set _ZN9rocsparseL19gtsv_LBM_rhs_kernelILj256ELj4ELj4E21rocsparse_complex_numIdEEEviiiPKT2_S5_S5_PS3_S5_PKi.has_indirect_call, 0
	.section	.AMDGPU.csdata,"",@progbits
; Kernel info:
; codeLenInByte = 4164
; TotalNumSgprs: 37
; NumVgprs: 98
; NumAgprs: 0
; TotalNumVgprs: 98
; ScratchSize: 0
; MemoryBound: 1
; FloatMode: 240
; IeeeMode: 1
; LDSByteSize: 0 bytes/workgroup (compile time only)
; SGPRBlocks: 4
; VGPRBlocks: 12
; NumSGPRsForWavesPerEU: 37
; NumVGPRsForWavesPerEU: 98
; AccumOffset: 100
; Occupancy: 4
; WaveLimiterHint : 0
; COMPUTE_PGM_RSRC2:SCRATCH_EN: 0
; COMPUTE_PGM_RSRC2:USER_SGPR: 2
; COMPUTE_PGM_RSRC2:TRAP_HANDLER: 0
; COMPUTE_PGM_RSRC2:TGID_X_EN: 1
; COMPUTE_PGM_RSRC2:TGID_Y_EN: 1
; COMPUTE_PGM_RSRC2:TGID_Z_EN: 0
; COMPUTE_PGM_RSRC2:TIDIG_COMP_CNT: 0
; COMPUTE_PGM_RSRC3_GFX90A:ACCUM_OFFSET: 24
; COMPUTE_PGM_RSRC3_GFX90A:TG_SPLIT: 0
	.section	.text._ZN9rocsparseL19gtsv_LBM_rhs_kernelILj256ELj4ELj2E21rocsparse_complex_numIdEEEviiiPKT2_S5_S5_PS3_S5_PKi,"axG",@progbits,_ZN9rocsparseL19gtsv_LBM_rhs_kernelILj256ELj4ELj2E21rocsparse_complex_numIdEEEviiiPKT2_S5_S5_PS3_S5_PKi,comdat
	.globl	_ZN9rocsparseL19gtsv_LBM_rhs_kernelILj256ELj4ELj2E21rocsparse_complex_numIdEEEviiiPKT2_S5_S5_PS3_S5_PKi ; -- Begin function _ZN9rocsparseL19gtsv_LBM_rhs_kernelILj256ELj4ELj2E21rocsparse_complex_numIdEEEviiiPKT2_S5_S5_PS3_S5_PKi
	.p2align	8
	.type	_ZN9rocsparseL19gtsv_LBM_rhs_kernelILj256ELj4ELj2E21rocsparse_complex_numIdEEEviiiPKT2_S5_S5_PS3_S5_PKi,@function
_ZN9rocsparseL19gtsv_LBM_rhs_kernelILj256ELj4ELj2E21rocsparse_complex_numIdEEEviiiPKT2_S5_S5_PS3_S5_PKi: ; @_ZN9rocsparseL19gtsv_LBM_rhs_kernelILj256ELj4ELj2E21rocsparse_complex_numIdEEEviiiPKT2_S5_S5_PS3_S5_PKi
; %bb.0:
	s_load_dword s23, s[0:1], 0x0
	v_lshl_or_b32 v24, s2, 8, v0
	s_waitcnt lgkmcnt(0)
	s_lshr_b32 s22, s23, 2
	v_cmp_gt_i32_e32 vcc, s22, v24
	s_and_saveexec_b64 s[4:5], vcc
	s_cbranch_execz .LBB290_29
; %bb.1:
	s_load_dwordx4 s[8:11], s[0:1], 0x28
	s_load_dwordx2 s[6:7], s[0:1], 0x38
	s_cmp_lt_i32 s23, 1
	v_add_u32_e32 v58, s22, v24
	s_mul_i32 s24, s3, s23
	s_cbranch_scc1 .LBB290_21
; %bb.2:
	s_load_dwordx4 s[12:15], s[0:1], 0x10
	s_load_dwordx2 s[16:17], s[0:1], 0x20
	v_ashrrev_i32_e32 v25, 31, v24
	s_lshl_b32 s27, s24, 1
	s_mul_i32 s25, s22, 3
	s_waitcnt lgkmcnt(0)
	v_lshl_add_u64 v[0:1], v[24:25], 4, s[14:15]
	global_load_dwordx4 v[4:7], v[0:1], off
	s_lshl_b32 s26, s22, 1
	v_add_u32_e32 v59, s22, v58
	s_add_i32 s28, s27, s23
	v_mov_b32_e32 v27, 0
	s_mov_b64 s[18:19], 0
	v_mov_b32_e32 v25, 0
	s_branch .LBB290_5
.LBB290_3:                              ;   in Loop: Header=BB290_5 Depth=1
	s_or_b64 exec, exec, s[4:5]
	v_fmac_f64_e32 v[30:31], v[0:1], v[8:9]
	v_fmac_f64_e32 v[28:29], v[2:3], v[8:9]
	v_mul_f64 v[0:1], v[20:21], -v[28:29]
	v_mul_f64 v[2:3], v[20:21], v[30:31]
	v_fmac_f64_e32 v[0:1], v[30:31], v[10:11]
	v_fmac_f64_e32 v[2:3], v[28:29], v[10:11]
	v_add_f64 v[4:5], v[12:13], -v[0:1]
	v_add_f64 v[6:7], v[14:15], -v[2:3]
	v_mov_b32_e32 v10, s22
.LBB290_4:                              ;   in Loop: Header=BB290_5 Depth=1
	s_or_b64 exec, exec, s[2:3]
	v_add_u32_e32 v25, v10, v25
	v_cmp_le_i32_e32 vcc, s23, v25
	s_or_b64 s[18:19], vcc, s[18:19]
	s_andn2_b64 exec, exec, s[18:19]
	s_cbranch_execz .LBB290_20
.LBB290_5:                              ; =>This Inner Loop Header: Depth=1
	v_add_u32_e32 v32, v25, v24
	v_ashrrev_i32_e32 v33, 31, v32
	v_lshl_add_u64 v[0:1], v[32:33], 4, s[16:17]
	global_load_dwordx4 v[8:11], v[0:1], off
	v_cmp_gt_u32_e64 s[0:1], s25, v25
	v_mov_b64_e32 v[12:13], 0
	v_mov_b64_e32 v[0:1], 0
	;; [unrolled: 1-line block ×3, first 2 shown]
	s_and_saveexec_b64 s[2:3], s[0:1]
	s_cbranch_execz .LBB290_7
; %bb.6:                                ;   in Loop: Header=BB290_5 Depth=1
	v_add_u32_e32 v0, v58, v25
	v_ashrrev_i32_e32 v1, 31, v0
	v_lshl_add_u64 v[0:1], v[0:1], 4, s[12:13]
	global_load_dwordx4 v[0:3], v[0:1], off
.LBB290_7:                              ;   in Loop: Header=BB290_5 Depth=1
	s_or_b64 exec, exec, s[2:3]
	v_mov_b64_e32 v[14:15], 0
	s_and_saveexec_b64 s[2:3], s[0:1]
	s_cbranch_execz .LBB290_9
; %bb.8:                                ;   in Loop: Header=BB290_5 Depth=1
	v_add_u32_e32 v12, v58, v25
	v_ashrrev_i32_e32 v13, 31, v12
	v_lshl_add_u64 v[12:13], v[12:13], 4, s[14:15]
	global_load_dwordx4 v[12:15], v[12:13], off
.LBB290_9:                              ;   in Loop: Header=BB290_5 Depth=1
	s_or_b64 exec, exec, s[2:3]
	v_mov_b64_e32 v[20:21], 0
	v_mov_b64_e32 v[16:17], 0
	;; [unrolled: 1-line block ×3, first 2 shown]
	s_and_saveexec_b64 s[2:3], s[0:1]
	s_cbranch_execz .LBB290_11
; %bb.10:                               ;   in Loop: Header=BB290_5 Depth=1
	v_add_u32_e32 v16, v58, v25
	v_ashrrev_i32_e32 v17, 31, v16
	v_lshl_add_u64 v[16:17], v[16:17], 4, s[16:17]
	global_load_dwordx4 v[16:19], v[16:17], off
.LBB290_11:                             ;   in Loop: Header=BB290_5 Depth=1
	s_or_b64 exec, exec, s[2:3]
	v_cmp_gt_u32_e64 s[2:3], s26, v25
	v_mov_b64_e32 v[22:23], 0
	s_and_saveexec_b64 s[4:5], s[2:3]
	s_cbranch_execz .LBB290_13
; %bb.12:                               ;   in Loop: Header=BB290_5 Depth=1
	v_add_u32_e32 v20, v59, v25
	v_ashrrev_i32_e32 v21, 31, v20
	v_lshl_add_u64 v[20:21], v[20:21], 4, s[12:13]
	global_load_dwordx4 v[20:23], v[20:21], off
.LBB290_13:                             ;   in Loop: Header=BB290_5 Depth=1
	s_or_b64 exec, exec, s[4:5]
	v_lshl_add_u64 v[28:29], v[32:33], 2, s[6:7]
	global_load_dword v33, v[28:29], off
	v_cmp_ne_u32_e32 vcc, s25, v25
	s_waitcnt vmcnt(1)
	v_mul_f64 v[30:31], v[10:11], -v[2:3]
	v_mul_f64 v[28:29], v[10:11], v[0:1]
	v_add_u32_e32 v26, s27, v32
	v_add_u32_e32 v32, s28, v32
	s_waitcnt vmcnt(0)
	v_cmp_ne_u32_e64 s[4:5], 1, v33
	s_and_b64 s[4:5], vcc, s[4:5]
	s_and_saveexec_b64 s[20:21], s[4:5]
	s_xor_b64 s[4:5], exec, s[20:21]
	s_cbranch_execz .LBB290_17
; %bb.14:                               ;   in Loop: Header=BB290_5 Depth=1
	v_mov_b32_e32 v33, v27
	v_lshl_add_u64 v[38:39], v[26:27], 4, s[8:9]
	v_lshl_add_u64 v[34:35], v[32:33], 4, s[8:9]
	v_add_u32_e32 v32, v58, v25
	global_load_dwordx4 v[42:45], v[38:39], off
	v_add_u32_e32 v26, s27, v32
	global_load_dwordx4 v[52:55], v[34:35], off
	v_lshl_add_u64 v[36:37], v[26:27], 4, s[8:9]
	global_load_dwordx4 v[60:63], v[36:37], off
	v_add_u32_e32 v26, s28, v32
	v_lshl_add_u64 v[32:33], v[26:27], 4, s[8:9]
	global_load_dwordx4 v[64:67], v[32:33], off
	v_mul_f64 v[46:47], v[4:5], v[14:15]
	v_mul_f64 v[40:41], v[14:15], -v[6:7]
	v_fmac_f64_e32 v[28:29], v[2:3], v[8:9]
	v_fmac_f64_e32 v[46:47], v[6:7], v[12:13]
	;; [unrolled: 1-line block ×4, first 2 shown]
	v_add_f64 v[28:29], v[46:47], -v[28:29]
	v_add_f64 v[30:31], v[40:41], -v[30:31]
	v_mul_f64 v[40:41], v[28:29], v[28:29]
	v_fmac_f64_e32 v[40:41], v[30:31], v[30:31]
	v_div_scale_f64 v[48:49], s[20:21], v[40:41], v[40:41], 1.0
	v_rcp_f64_e32 v[50:51], v[48:49]
	v_fma_f64 v[46:47], 0, v[28:29], v[30:31]
	v_fma_f64 v[30:31], v[30:31], 0, -v[28:29]
	v_div_scale_f64 v[28:29], vcc, 1.0, v[40:41], 1.0
	v_fma_f64 v[68:69], -v[48:49], v[50:51], 1.0
	v_fmac_f64_e32 v[50:51], v[50:51], v[68:69]
	v_fma_f64 v[68:69], -v[48:49], v[50:51], 1.0
	v_fmac_f64_e32 v[50:51], v[50:51], v[68:69]
	v_mul_f64 v[68:69], v[28:29], v[50:51]
	v_fma_f64 v[28:29], -v[48:49], v[68:69], v[28:29]
	v_div_fmas_f64 v[28:29], v[28:29], v[50:51], v[68:69]
	v_div_fixup_f64 v[40:41], v[28:29], v[40:41], 1.0
	v_mul_f64 v[30:31], v[30:31], v[40:41]
	v_mul_f64 v[28:29], v[46:47], v[40:41]
	v_mov_b64_e32 v[56:57], 0
	s_waitcnt vmcnt(3)
	v_mul_f64 v[40:41], v[30:31], -v[44:45]
	v_mul_f64 v[48:49], v[30:31], v[42:43]
	v_fmac_f64_e32 v[40:41], v[42:43], v[28:29]
	s_waitcnt vmcnt(2)
	v_mul_f64 v[42:43], v[30:31], -v[54:55]
	v_mul_f64 v[50:51], v[30:31], v[52:53]
	v_fmac_f64_e32 v[48:49], v[44:45], v[28:29]
	v_fmac_f64_e32 v[42:43], v[52:53], v[28:29]
	;; [unrolled: 1-line block ×3, first 2 shown]
	s_waitcnt vmcnt(1)
	v_mul_f64 v[44:45], v[30:31], -v[62:63]
	v_mul_f64 v[52:53], v[30:31], v[60:61]
	v_mul_f64 v[68:69], v[48:49], -v[14:15]
	v_fmac_f64_e32 v[44:45], v[60:61], v[28:29]
	v_fmac_f64_e32 v[52:53], v[62:63], v[28:29]
	v_mul_f64 v[60:61], v[50:51], -v[14:15]
	v_mul_f64 v[70:71], v[12:13], v[48:49]
	s_waitcnt vmcnt(0)
	v_mul_f64 v[54:55], v[30:31], v[64:65]
	v_fmac_f64_e32 v[68:69], v[12:13], v[40:41]
	v_mul_f64 v[62:63], v[12:13], v[50:51]
	v_fmac_f64_e32 v[60:61], v[12:13], v[42:43]
	v_mul_f64 v[12:13], v[52:53], -v[10:11]
	v_mul_f64 v[46:47], v[30:31], -v[66:67]
	v_fmac_f64_e32 v[70:71], v[14:15], v[40:41]
	v_fmac_f64_e32 v[54:55], v[66:67], v[28:29]
	v_fmac_f64_e32 v[62:63], v[14:15], v[42:43]
	v_mul_f64 v[14:15], v[8:9], v[52:53]
	v_fmac_f64_e32 v[12:13], v[8:9], v[44:45]
	v_mul_f64 v[72:73], v[2:3], v[48:49]
	v_mul_f64 v[74:75], v[48:49], -v[0:1]
	v_fmac_f64_e32 v[46:47], v[64:65], v[28:29]
	v_mul_f64 v[64:65], v[52:53], -v[6:7]
	v_mul_f64 v[66:67], v[4:5], v[52:53]
	v_fmac_f64_e32 v[14:15], v[10:11], v[44:45]
	v_mul_f64 v[76:77], v[54:55], -v[10:11]
	v_add_f64 v[12:13], v[68:69], -v[12:13]
	v_mul_f64 v[68:69], v[8:9], v[54:55]
	v_fma_f64 v[72:73], -v[0:1], v[40:41], v[72:73]
	v_fma_f64 v[74:75], -v[2:3], v[40:41], v[74:75]
	v_add_f64 v[14:15], v[70:71], -v[14:15]
	v_fmac_f64_e32 v[64:65], v[4:5], v[44:45]
	v_fmac_f64_e32 v[66:67], v[6:7], v[44:45]
	;; [unrolled: 1-line block ×4, first 2 shown]
	v_add_f64 v[8:9], v[72:73], v[64:65]
	v_add_f64 v[10:11], v[74:75], v[66:67]
	global_store_dwordx4 v[38:39], v[12:15], off
	s_nop 1
	v_add_f64 v[12:13], v[60:61], -v[76:77]
	v_add_f64 v[14:15], v[62:63], -v[68:69]
	global_store_dwordx4 v[34:35], v[12:15], off
	global_store_dwordx4 v[36:37], v[8:11], off
	s_nop 0
	v_mul_f64 v[12:13], v[54:55], -v[6:7]
	v_mul_f64 v[8:9], v[2:3], v[50:51]
	v_mul_f64 v[10:11], v[50:51], -v[0:1]
	v_mul_f64 v[14:15], v[4:5], v[54:55]
	v_fma_f64 v[8:9], -v[0:1], v[42:43], v[8:9]
	v_fma_f64 v[10:11], -v[2:3], v[42:43], v[10:11]
	v_fmac_f64_e32 v[12:13], v[4:5], v[46:47]
	v_fmac_f64_e32 v[14:15], v[6:7], v[46:47]
	v_add_f64 v[8:9], v[8:9], v[12:13]
	v_add_f64 v[10:11], v[10:11], v[14:15]
	global_store_dwordx4 v[32:33], v[8:11], off
	s_nop 1
	v_mov_b64_e32 v[8:9], 0
	s_and_saveexec_b64 s[20:21], s[2:3]
	s_cbranch_execz .LBB290_16
; %bb.15:                               ;   in Loop: Header=BB290_5 Depth=1
	v_add_u32_e32 v12, v59, v25
	v_add_u32_e32 v26, s27, v12
	v_lshl_add_u64 v[36:37], v[26:27], 4, s[8:9]
	v_add_u32_e32 v26, s28, v12
	v_ashrrev_i32_e32 v13, 31, v12
	global_load_dwordx4 v[8:11], v[36:37], off
	v_lshl_add_u64 v[12:13], v[12:13], 4, s[14:15]
	v_lshl_add_u64 v[38:39], v[26:27], 4, s[8:9]
	global_load_dwordx4 v[12:15], v[12:13], off
	v_mul_f64 v[56:57], v[2:3], v[22:23]
	global_load_dwordx4 v[32:35], v[38:39], off
	v_mul_f64 v[60:61], v[22:23], -v[0:1]
	v_mul_f64 v[62:63], v[22:23], -v[6:7]
	v_mul_f64 v[64:65], v[4:5], v[22:23]
	v_mul_f64 v[66:67], v[6:7], -v[22:23]
	v_mul_f64 v[68:69], v[6:7], v[20:21]
	v_fma_f64 v[0:1], -v[0:1], v[20:21], v[56:57]
	v_fma_f64 v[2:3], -v[2:3], v[20:21], v[60:61]
	v_fmac_f64_e32 v[62:63], v[4:5], v[20:21]
	v_fmac_f64_e32 v[64:65], v[6:7], v[20:21]
	v_fmac_f64_e32 v[66:67], v[20:21], v[4:5]
	v_fmac_f64_e32 v[68:69], v[22:23], v[4:5]
	v_mul_f64 v[4:5], v[2:3], v[48:49]
	v_mul_f64 v[6:7], v[48:49], -v[0:1]
	v_mul_f64 v[20:21], v[52:53], -v[64:65]
	v_mul_f64 v[22:23], v[62:63], v[52:53]
	v_mul_f64 v[56:57], v[18:19], -v[68:69]
	v_mul_f64 v[18:19], v[18:19], v[66:67]
	v_mul_f64 v[48:49], v[2:3], v[50:51]
	v_mul_f64 v[50:51], v[50:51], -v[0:1]
	v_mul_f64 v[52:53], v[54:55], -v[64:65]
	v_mul_f64 v[54:55], v[62:63], v[54:55]
	v_fma_f64 v[4:5], -v[0:1], v[40:41], v[4:5]
	v_fma_f64 v[6:7], -v[2:3], v[40:41], v[6:7]
	v_fmac_f64_e32 v[20:21], v[62:63], v[44:45]
	v_fmac_f64_e32 v[22:23], v[64:65], v[44:45]
	;; [unrolled: 1-line block ×4, first 2 shown]
	v_fma_f64 v[0:1], -v[0:1], v[42:43], v[48:49]
	v_fma_f64 v[2:3], -v[2:3], v[42:43], v[50:51]
	v_fmac_f64_e32 v[52:53], v[62:63], v[46:47]
	v_fmac_f64_e32 v[54:55], v[64:65], v[46:47]
	v_add_f64 v[4:5], v[4:5], -v[20:21]
	v_add_f64 v[6:7], v[6:7], -v[22:23]
	v_mul_f64 v[22:23], v[30:31], -v[18:19]
	v_mul_f64 v[30:31], v[30:31], v[56:57]
	v_add_f64 v[16:17], v[0:1], -v[52:53]
	v_add_f64 v[20:21], v[2:3], -v[54:55]
	v_fmac_f64_e32 v[22:23], v[56:57], v[28:29]
	v_fmac_f64_e32 v[30:31], v[18:19], v[28:29]
	s_waitcnt vmcnt(2)
	v_add_f64 v[0:1], v[4:5], v[8:9]
	v_add_f64 v[2:3], v[6:7], v[10:11]
	global_store_dwordx4 v[36:37], v[0:3], off
	s_waitcnt vmcnt(2)
	v_add_f64 v[8:9], v[12:13], -v[22:23]
	v_add_f64 v[56:57], v[14:15], -v[30:31]
	s_waitcnt vmcnt(1)
	v_add_f64 v[0:1], v[16:17], v[32:33]
	v_add_f64 v[2:3], v[20:21], v[34:35]
	global_store_dwordx4 v[38:39], v[0:3], off
.LBB290_16:                             ;   in Loop: Header=BB290_5 Depth=1
	s_or_b64 exec, exec, s[20:21]
	v_mov_b64_e32 v[6:7], v[56:57]
	v_mov_b64_e32 v[4:5], v[8:9]
                                        ; implicit-def: $vgpr0_vgpr1
                                        ; implicit-def: $vgpr12_vgpr13
                                        ; implicit-def: $vgpr8_vgpr9
                                        ; implicit-def: $vgpr30_vgpr31
                                        ; implicit-def: $vgpr28_vgpr29
                                        ; implicit-def: $vgpr32
.LBB290_17:                             ;   in Loop: Header=BB290_5 Depth=1
	s_or_saveexec_b64 s[2:3], s[4:5]
	v_mov_b32_e32 v10, s26
	s_xor_b64 exec, exec, s[2:3]
	s_cbranch_execz .LBB290_4
; %bb.18:                               ;   in Loop: Header=BB290_5 Depth=1
	v_mov_b32_e32 v33, v27
	v_lshl_add_u64 v[22:23], v[26:27], 4, s[8:9]
	v_lshl_add_u64 v[32:33], v[32:33], 4, s[8:9]
	global_load_dwordx4 v[34:37], v[22:23], off
	global_load_dwordx4 v[38:41], v[32:33], off
	v_mul_f64 v[10:11], v[6:7], v[6:7]
	v_fmac_f64_e32 v[10:11], v[4:5], v[4:5]
	v_div_scale_f64 v[18:19], s[4:5], v[10:11], v[10:11], 1.0
	v_rcp_f64_e32 v[20:21], v[18:19]
	v_fma_f64 v[16:17], 0, v[6:7], v[4:5]
	v_fma_f64 v[4:5], v[4:5], 0, -v[6:7]
	v_div_scale_f64 v[6:7], vcc, 1.0, v[10:11], 1.0
	v_fma_f64 v[42:43], -v[18:19], v[20:21], 1.0
	v_fmac_f64_e32 v[20:21], v[20:21], v[42:43]
	v_fma_f64 v[42:43], -v[18:19], v[20:21], 1.0
	v_fmac_f64_e32 v[20:21], v[20:21], v[42:43]
	v_mul_f64 v[42:43], v[6:7], v[20:21]
	v_fma_f64 v[6:7], -v[18:19], v[42:43], v[6:7]
	v_div_fmas_f64 v[6:7], v[6:7], v[20:21], v[42:43]
	v_div_fixup_f64 v[6:7], v[6:7], v[10:11], 1.0
	v_mul_f64 v[20:21], v[4:5], v[6:7]
	v_mul_f64 v[10:11], v[16:17], v[6:7]
	s_waitcnt vmcnt(1)
	v_mul_f64 v[16:17], v[20:21], -v[36:37]
	v_mul_f64 v[18:19], v[20:21], v[34:35]
	s_waitcnt vmcnt(0)
	v_mul_f64 v[4:5], v[20:21], -v[40:41]
	v_mul_f64 v[6:7], v[20:21], v[38:39]
	v_fmac_f64_e32 v[16:17], v[34:35], v[10:11]
	v_fmac_f64_e32 v[18:19], v[36:37], v[10:11]
	;; [unrolled: 1-line block ×4, first 2 shown]
	global_store_dwordx4 v[22:23], v[16:19], off
	global_store_dwordx4 v[32:33], v[4:7], off
	s_and_saveexec_b64 s[4:5], s[0:1]
	s_cbranch_execz .LBB290_3
; %bb.19:                               ;   in Loop: Header=BB290_5 Depth=1
	v_add_u32_e32 v36, v58, v25
	v_add_u32_e32 v26, s27, v36
	v_lshl_add_u64 v[22:23], v[26:27], 4, s[8:9]
	v_add_u32_e32 v26, s28, v36
	global_load_dwordx4 v[32:35], v[22:23], off
	v_lshl_add_u64 v[40:41], v[26:27], 4, s[8:9]
	global_load_dwordx4 v[36:39], v[40:41], off
	s_waitcnt vmcnt(1)
	v_fma_f64 v[32:33], -v[0:1], v[16:17], v[32:33]
	v_fma_f64 v[16:17], -v[2:3], v[16:17], v[34:35]
	;; [unrolled: 1-line block ×3, first 2 shown]
	s_waitcnt vmcnt(0)
	v_fma_f64 v[16:17], -v[0:1], v[4:5], v[36:37]
	v_fma_f64 v[4:5], -v[2:3], v[4:5], v[38:39]
	v_fmac_f64_e32 v[32:33], v[2:3], v[18:19]
	v_fmac_f64_e32 v[16:17], v[2:3], v[6:7]
	v_fma_f64 v[18:19], -v[0:1], v[6:7], v[4:5]
	global_store_dwordx4 v[22:23], v[32:35], off
	global_store_dwordx4 v[40:41], v[16:19], off
	s_branch .LBB290_3
.LBB290_20:
	s_or_b64 exec, exec, s[18:19]
	s_branch .LBB290_22
.LBB290_21:
	v_mov_b32_e32 v25, 0
.LBB290_22:
	v_subrev_u32_e32 v2, s22, v25
	v_add_u32_e32 v0, v2, v24
	v_ashrrev_i32_e32 v1, 31, v0
	s_waitcnt lgkmcnt(0)
	v_lshl_add_u64 v[0:1], v[0:1], 2, s[6:7]
	buffer_wbl2 sc1
	s_waitcnt vmcnt(0)
	buffer_inv sc1
	global_load_dword v0, v[0:1], off
	s_waitcnt vmcnt(0)
	v_mul_lo_u32 v0, v0, s22
	v_sub_u32_e32 v8, v2, v0
	v_cmp_lt_i32_e32 vcc, -1, v8
	s_and_b64 exec, exec, vcc
	s_cbranch_execz .LBB290_29
; %bb.23:
	s_lshl_b32 s4, s24, 1
	s_add_i32 s5, s4, s23
	s_lshl_b32 s12, s22, 1
	s_mov_b64 s[0:1], 0
	v_mov_b32_e32 v5, 0
	s_branch .LBB290_25
.LBB290_24:                             ;   in Loop: Header=BB290_25 Depth=1
	s_or_b64 exec, exec, s[2:3]
	v_sub_u32_e32 v8, v8, v4
	v_cmp_gt_i32_e32 vcc, 0, v8
	s_or_b64 s[0:1], vcc, s[0:1]
	s_andn2_b64 exec, exec, s[0:1]
	s_cbranch_execz .LBB290_29
.LBB290_25:                             ; =>This Inner Loop Header: Depth=1
	v_add_u32_e32 v6, v8, v24
	v_ashrrev_i32_e32 v7, 31, v6
	s_waitcnt vmcnt(0)
	v_lshl_add_u64 v[0:1], v[6:7], 2, s[6:7]
	global_load_dword v4, v[0:1], off
	v_lshl_add_u64 v[0:1], v[6:7], 4, s[10:11]
	global_load_dwordx4 v[0:3], v[0:1], off
	s_waitcnt vmcnt(1)
	v_cmp_ne_u32_e32 vcc, 1, v4
	s_and_saveexec_b64 s[2:3], vcc
	s_xor_b64 s[2:3], exec, s[2:3]
	s_cbranch_execz .LBB290_27
; %bb.26:                               ;   in Loop: Header=BB290_25 Depth=1
	v_add_u32_e32 v7, v58, v8
	v_add_u32_e32 v4, s4, v7
	v_lshl_add_u64 v[22:23], v[4:5], 4, s[8:9]
	v_add_u32_e32 v4, s5, v7
	v_lshl_add_u64 v[26:27], v[4:5], 4, s[8:9]
	;; [unrolled: 2-line block ×3, first 2 shown]
	global_load_dwordx4 v[10:13], v[28:29], off
	global_load_dwordx4 v[14:17], v[22:23], off
	;; [unrolled: 1-line block ×3, first 2 shown]
	v_add_u32_e32 v4, s5, v6
	v_lshl_add_u64 v[6:7], v[4:5], 4, s[8:9]
	v_subrev_u32_e32 v4, s22, v8
	v_add_u32_e32 v22, v4, v24
	v_ashrrev_i32_e32 v23, 31, v22
	v_add_u32_e32 v4, s4, v22
	v_lshl_add_u64 v[26:27], v[22:23], 4, s[10:11]
	v_lshl_add_u64 v[30:31], v[4:5], 4, s[8:9]
	v_add_u32_e32 v4, s5, v22
	s_waitcnt vmcnt(1)
	v_fma_f64 v[10:11], -v[0:1], v[14:15], v[10:11]
	v_fma_f64 v[12:13], -v[2:3], v[14:15], v[12:13]
	v_fmac_f64_e32 v[10:11], v[2:3], v[16:17]
	v_fma_f64 v[12:13], -v[0:1], v[16:17], v[12:13]
	global_store_dwordx4 v[28:29], v[10:13], off
	global_load_dwordx4 v[10:13], v[6:7], off
	s_nop 0
	global_load_dwordx4 v[26:29], v[26:27], off
	s_waitcnt vmcnt(1)
	v_fma_f64 v[10:11], -v[0:1], v[18:19], v[10:11]
	v_fma_f64 v[12:13], -v[2:3], v[18:19], v[12:13]
	v_fmac_f64_e32 v[10:11], v[2:3], v[20:21]
	v_fma_f64 v[12:13], -v[0:1], v[20:21], v[12:13]
	global_store_dwordx4 v[6:7], v[10:13], off
	global_load_dwordx4 v[0:3], v[30:31], off
	v_lshl_add_u64 v[6:7], v[4:5], 4, s[8:9]
	s_waitcnt vmcnt(0)
	v_fma_f64 v[0:1], -v[26:27], v[14:15], v[0:1]
	v_fma_f64 v[2:3], -v[28:29], v[14:15], v[2:3]
	v_fmac_f64_e32 v[0:1], v[28:29], v[16:17]
	v_fma_f64 v[2:3], -v[26:27], v[16:17], v[2:3]
	global_store_dwordx4 v[30:31], v[0:3], off
	global_load_dwordx4 v[0:3], v[6:7], off
	s_waitcnt vmcnt(0)
	v_fma_f64 v[0:1], -v[26:27], v[18:19], v[0:1]
	v_fma_f64 v[2:3], -v[28:29], v[18:19], v[2:3]
	v_fmac_f64_e32 v[0:1], v[28:29], v[20:21]
	v_fma_f64 v[2:3], -v[26:27], v[20:21], v[2:3]
	global_store_dwordx4 v[6:7], v[0:3], off
                                        ; implicit-def: $vgpr6
                                        ; implicit-def: $vgpr0_vgpr1
.LBB290_27:                             ;   in Loop: Header=BB290_25 Depth=1
	s_or_saveexec_b64 s[2:3], s[2:3]
	v_mov_b32_e32 v4, s12
	s_xor_b64 exec, exec, s[2:3]
	s_cbranch_execz .LBB290_24
; %bb.28:                               ;   in Loop: Header=BB290_25 Depth=1
	v_add_u32_e32 v7, v58, v8
	v_add_u32_e32 v4, s4, v7
	v_lshl_add_u64 v[18:19], v[4:5], 4, s[8:9]
	v_add_u32_e32 v4, s4, v6
	v_lshl_add_u64 v[20:21], v[4:5], 4, s[8:9]
	global_load_dwordx4 v[10:13], v[18:19], off
	global_load_dwordx4 v[14:17], v[20:21], off
	v_add_u32_e32 v4, s5, v7
	v_lshl_add_u64 v[18:19], v[4:5], 4, s[8:9]
	v_add_u32_e32 v4, s5, v6
	v_lshl_add_u64 v[6:7], v[4:5], 4, s[8:9]
	v_mov_b32_e32 v4, s22
	s_waitcnt vmcnt(0)
	v_fma_f64 v[14:15], -v[0:1], v[10:11], v[14:15]
	v_fma_f64 v[10:11], -v[2:3], v[10:11], v[16:17]
	v_fmac_f64_e32 v[14:15], v[2:3], v[12:13]
	v_fma_f64 v[16:17], -v[0:1], v[12:13], v[10:11]
	global_store_dwordx4 v[20:21], v[14:17], off
	global_load_dwordx4 v[10:13], v[18:19], off
	s_nop 0
	global_load_dwordx4 v[14:17], v[6:7], off
	s_waitcnt vmcnt(0)
	v_fma_f64 v[14:15], -v[0:1], v[10:11], v[14:15]
	v_fma_f64 v[10:11], -v[2:3], v[10:11], v[16:17]
	v_fmac_f64_e32 v[14:15], v[2:3], v[12:13]
	v_fma_f64 v[16:17], -v[0:1], v[12:13], v[10:11]
	global_store_dwordx4 v[6:7], v[14:17], off
	s_branch .LBB290_24
.LBB290_29:
	s_endpgm
	.section	.rodata,"a",@progbits
	.p2align	6, 0x0
	.amdhsa_kernel _ZN9rocsparseL19gtsv_LBM_rhs_kernelILj256ELj4ELj2E21rocsparse_complex_numIdEEEviiiPKT2_S5_S5_PS3_S5_PKi
		.amdhsa_group_segment_fixed_size 0
		.amdhsa_private_segment_fixed_size 0
		.amdhsa_kernarg_size 64
		.amdhsa_user_sgpr_count 2
		.amdhsa_user_sgpr_dispatch_ptr 0
		.amdhsa_user_sgpr_queue_ptr 0
		.amdhsa_user_sgpr_kernarg_segment_ptr 1
		.amdhsa_user_sgpr_dispatch_id 0
		.amdhsa_user_sgpr_kernarg_preload_length 0
		.amdhsa_user_sgpr_kernarg_preload_offset 0
		.amdhsa_user_sgpr_private_segment_size 0
		.amdhsa_uses_dynamic_stack 0
		.amdhsa_enable_private_segment 0
		.amdhsa_system_sgpr_workgroup_id_x 1
		.amdhsa_system_sgpr_workgroup_id_y 1
		.amdhsa_system_sgpr_workgroup_id_z 0
		.amdhsa_system_sgpr_workgroup_info 0
		.amdhsa_system_vgpr_workitem_id 0
		.amdhsa_next_free_vgpr 78
		.amdhsa_next_free_sgpr 29
		.amdhsa_accum_offset 80
		.amdhsa_reserve_vcc 1
		.amdhsa_float_round_mode_32 0
		.amdhsa_float_round_mode_16_64 0
		.amdhsa_float_denorm_mode_32 3
		.amdhsa_float_denorm_mode_16_64 3
		.amdhsa_dx10_clamp 1
		.amdhsa_ieee_mode 1
		.amdhsa_fp16_overflow 0
		.amdhsa_tg_split 0
		.amdhsa_exception_fp_ieee_invalid_op 0
		.amdhsa_exception_fp_denorm_src 0
		.amdhsa_exception_fp_ieee_div_zero 0
		.amdhsa_exception_fp_ieee_overflow 0
		.amdhsa_exception_fp_ieee_underflow 0
		.amdhsa_exception_fp_ieee_inexact 0
		.amdhsa_exception_int_div_zero 0
	.end_amdhsa_kernel
	.section	.text._ZN9rocsparseL19gtsv_LBM_rhs_kernelILj256ELj4ELj2E21rocsparse_complex_numIdEEEviiiPKT2_S5_S5_PS3_S5_PKi,"axG",@progbits,_ZN9rocsparseL19gtsv_LBM_rhs_kernelILj256ELj4ELj2E21rocsparse_complex_numIdEEEviiiPKT2_S5_S5_PS3_S5_PKi,comdat
.Lfunc_end290:
	.size	_ZN9rocsparseL19gtsv_LBM_rhs_kernelILj256ELj4ELj2E21rocsparse_complex_numIdEEEviiiPKT2_S5_S5_PS3_S5_PKi, .Lfunc_end290-_ZN9rocsparseL19gtsv_LBM_rhs_kernelILj256ELj4ELj2E21rocsparse_complex_numIdEEEviiiPKT2_S5_S5_PS3_S5_PKi
                                        ; -- End function
	.set _ZN9rocsparseL19gtsv_LBM_rhs_kernelILj256ELj4ELj2E21rocsparse_complex_numIdEEEviiiPKT2_S5_S5_PS3_S5_PKi.num_vgpr, 78
	.set _ZN9rocsparseL19gtsv_LBM_rhs_kernelILj256ELj4ELj2E21rocsparse_complex_numIdEEEviiiPKT2_S5_S5_PS3_S5_PKi.num_agpr, 0
	.set _ZN9rocsparseL19gtsv_LBM_rhs_kernelILj256ELj4ELj2E21rocsparse_complex_numIdEEEviiiPKT2_S5_S5_PS3_S5_PKi.numbered_sgpr, 29
	.set _ZN9rocsparseL19gtsv_LBM_rhs_kernelILj256ELj4ELj2E21rocsparse_complex_numIdEEEviiiPKT2_S5_S5_PS3_S5_PKi.num_named_barrier, 0
	.set _ZN9rocsparseL19gtsv_LBM_rhs_kernelILj256ELj4ELj2E21rocsparse_complex_numIdEEEviiiPKT2_S5_S5_PS3_S5_PKi.private_seg_size, 0
	.set _ZN9rocsparseL19gtsv_LBM_rhs_kernelILj256ELj4ELj2E21rocsparse_complex_numIdEEEviiiPKT2_S5_S5_PS3_S5_PKi.uses_vcc, 1
	.set _ZN9rocsparseL19gtsv_LBM_rhs_kernelILj256ELj4ELj2E21rocsparse_complex_numIdEEEviiiPKT2_S5_S5_PS3_S5_PKi.uses_flat_scratch, 0
	.set _ZN9rocsparseL19gtsv_LBM_rhs_kernelILj256ELj4ELj2E21rocsparse_complex_numIdEEEviiiPKT2_S5_S5_PS3_S5_PKi.has_dyn_sized_stack, 0
	.set _ZN9rocsparseL19gtsv_LBM_rhs_kernelILj256ELj4ELj2E21rocsparse_complex_numIdEEEviiiPKT2_S5_S5_PS3_S5_PKi.has_recursion, 0
	.set _ZN9rocsparseL19gtsv_LBM_rhs_kernelILj256ELj4ELj2E21rocsparse_complex_numIdEEEviiiPKT2_S5_S5_PS3_S5_PKi.has_indirect_call, 0
	.section	.AMDGPU.csdata,"",@progbits
; Kernel info:
; codeLenInByte = 2728
; TotalNumSgprs: 35
; NumVgprs: 78
; NumAgprs: 0
; TotalNumVgprs: 78
; ScratchSize: 0
; MemoryBound: 1
; FloatMode: 240
; IeeeMode: 1
; LDSByteSize: 0 bytes/workgroup (compile time only)
; SGPRBlocks: 4
; VGPRBlocks: 9
; NumSGPRsForWavesPerEU: 35
; NumVGPRsForWavesPerEU: 78
; AccumOffset: 80
; Occupancy: 6
; WaveLimiterHint : 0
; COMPUTE_PGM_RSRC2:SCRATCH_EN: 0
; COMPUTE_PGM_RSRC2:USER_SGPR: 2
; COMPUTE_PGM_RSRC2:TRAP_HANDLER: 0
; COMPUTE_PGM_RSRC2:TGID_X_EN: 1
; COMPUTE_PGM_RSRC2:TGID_Y_EN: 1
; COMPUTE_PGM_RSRC2:TGID_Z_EN: 0
; COMPUTE_PGM_RSRC2:TIDIG_COMP_CNT: 0
; COMPUTE_PGM_RSRC3_GFX90A:ACCUM_OFFSET: 19
; COMPUTE_PGM_RSRC3_GFX90A:TG_SPLIT: 0
	.section	.text._ZN9rocsparseL19gtsv_LBM_rhs_kernelILj256ELj4ELj1E21rocsparse_complex_numIdEEEviiiPKT2_S5_S5_PS3_S5_PKi,"axG",@progbits,_ZN9rocsparseL19gtsv_LBM_rhs_kernelILj256ELj4ELj1E21rocsparse_complex_numIdEEEviiiPKT2_S5_S5_PS3_S5_PKi,comdat
	.globl	_ZN9rocsparseL19gtsv_LBM_rhs_kernelILj256ELj4ELj1E21rocsparse_complex_numIdEEEviiiPKT2_S5_S5_PS3_S5_PKi ; -- Begin function _ZN9rocsparseL19gtsv_LBM_rhs_kernelILj256ELj4ELj1E21rocsparse_complex_numIdEEEviiiPKT2_S5_S5_PS3_S5_PKi
	.p2align	8
	.type	_ZN9rocsparseL19gtsv_LBM_rhs_kernelILj256ELj4ELj1E21rocsparse_complex_numIdEEEviiiPKT2_S5_S5_PS3_S5_PKi,@function
_ZN9rocsparseL19gtsv_LBM_rhs_kernelILj256ELj4ELj1E21rocsparse_complex_numIdEEEviiiPKT2_S5_S5_PS3_S5_PKi: ; @_ZN9rocsparseL19gtsv_LBM_rhs_kernelILj256ELj4ELj1E21rocsparse_complex_numIdEEEviiiPKT2_S5_S5_PS3_S5_PKi
; %bb.0:
	s_load_dword s24, s[0:1], 0x0
	v_lshl_or_b32 v24, s2, 8, v0
	s_waitcnt lgkmcnt(0)
	s_lshr_b32 s22, s24, 2
	v_cmp_gt_i32_e32 vcc, s22, v24
	s_and_saveexec_b64 s[4:5], vcc
	s_cbranch_execz .LBB291_29
; %bb.1:
	s_load_dwordx4 s[8:11], s[0:1], 0x28
	s_load_dwordx2 s[6:7], s[0:1], 0x38
	s_cmp_lt_i32 s24, 1
	s_mul_i32 s23, s24, s3
	s_cbranch_scc1 .LBB291_21
; %bb.2:
	s_load_dwordx4 s[12:15], s[0:1], 0x10
	s_load_dwordx2 s[16:17], s[0:1], 0x20
	v_ashrrev_i32_e32 v25, 31, v24
	v_add_u32_e32 v42, s22, v24
	s_mul_i32 s25, s22, 3
	s_waitcnt lgkmcnt(0)
	v_lshl_add_u64 v[0:1], v[24:25], 4, s[14:15]
	global_load_dwordx4 v[0:3], v[0:1], off
	s_lshl_b32 s26, s22, 1
	v_add_u32_e32 v43, s22, v42
	v_add_u32_e32 v44, s23, v42
	v_mov_b32_e32 v27, 0
	s_mov_b64 s[18:19], 0
	v_mov_b32_e32 v25, 0
	s_branch .LBB291_5
.LBB291_3:                              ;   in Loop: Header=BB291_5 Depth=1
	s_or_b64 exec, exec, s[4:5]
	v_fmac_f64_e32 v[30:31], v[4:5], v[8:9]
	v_fmac_f64_e32 v[28:29], v[6:7], v[8:9]
	v_mul_f64 v[0:1], v[16:17], -v[28:29]
	v_mul_f64 v[2:3], v[16:17], v[30:31]
	v_fmac_f64_e32 v[0:1], v[30:31], v[10:11]
	v_fmac_f64_e32 v[2:3], v[28:29], v[10:11]
	v_add_f64 v[0:1], v[12:13], -v[0:1]
	v_add_f64 v[2:3], v[14:15], -v[2:3]
	v_mov_b32_e32 v10, s22
.LBB291_4:                              ;   in Loop: Header=BB291_5 Depth=1
	s_or_b64 exec, exec, s[2:3]
	v_add_u32_e32 v25, v10, v25
	v_cmp_le_i32_e32 vcc, s24, v25
	s_or_b64 s[18:19], vcc, s[18:19]
	s_andn2_b64 exec, exec, s[18:19]
	s_cbranch_execz .LBB291_20
.LBB291_5:                              ; =>This Inner Loop Header: Depth=1
	v_add_u32_e32 v32, v25, v24
	v_ashrrev_i32_e32 v33, 31, v32
	v_lshl_add_u64 v[4:5], v[32:33], 4, s[16:17]
	global_load_dwordx4 v[8:11], v[4:5], off
	v_cmp_gt_u32_e64 s[0:1], s25, v25
	v_mov_b64_e32 v[12:13], 0
	v_add_u32_e32 v22, v42, v25
	v_mov_b64_e32 v[4:5], 0
	v_mov_b64_e32 v[6:7], 0
	s_and_saveexec_b64 s[2:3], s[0:1]
	s_cbranch_execz .LBB291_7
; %bb.6:                                ;   in Loop: Header=BB291_5 Depth=1
	v_ashrrev_i32_e32 v23, 31, v22
	v_lshl_add_u64 v[4:5], v[22:23], 4, s[12:13]
	global_load_dwordx4 v[4:7], v[4:5], off
.LBB291_7:                              ;   in Loop: Header=BB291_5 Depth=1
	s_or_b64 exec, exec, s[2:3]
	v_mov_b64_e32 v[14:15], 0
	s_and_saveexec_b64 s[2:3], s[0:1]
	s_cbranch_execz .LBB291_9
; %bb.8:                                ;   in Loop: Header=BB291_5 Depth=1
	v_ashrrev_i32_e32 v23, 31, v22
	v_lshl_add_u64 v[12:13], v[22:23], 4, s[14:15]
	global_load_dwordx4 v[12:15], v[12:13], off
.LBB291_9:                              ;   in Loop: Header=BB291_5 Depth=1
	s_or_b64 exec, exec, s[2:3]
	v_mov_b64_e32 v[20:21], 0
	v_mov_b64_e32 v[16:17], 0
	;; [unrolled: 1-line block ×3, first 2 shown]
	s_and_saveexec_b64 s[2:3], s[0:1]
	s_cbranch_execz .LBB291_11
; %bb.10:                               ;   in Loop: Header=BB291_5 Depth=1
	v_ashrrev_i32_e32 v23, 31, v22
	v_lshl_add_u64 v[16:17], v[22:23], 4, s[16:17]
	global_load_dwordx4 v[16:19], v[16:17], off
.LBB291_11:                             ;   in Loop: Header=BB291_5 Depth=1
	s_or_b64 exec, exec, s[2:3]
	v_cmp_gt_u32_e64 s[2:3], s26, v25
	v_mov_b64_e32 v[22:23], 0
	s_and_saveexec_b64 s[4:5], s[2:3]
	s_cbranch_execz .LBB291_13
; %bb.12:                               ;   in Loop: Header=BB291_5 Depth=1
	v_add_u32_e32 v20, v43, v25
	v_ashrrev_i32_e32 v21, 31, v20
	v_lshl_add_u64 v[20:21], v[20:21], 4, s[12:13]
	global_load_dwordx4 v[20:23], v[20:21], off
.LBB291_13:                             ;   in Loop: Header=BB291_5 Depth=1
	s_or_b64 exec, exec, s[4:5]
	v_lshl_add_u64 v[28:29], v[32:33], 2, s[6:7]
	global_load_dword v26, v[28:29], off
	v_cmp_ne_u32_e32 vcc, s25, v25
	s_waitcnt vmcnt(1)
	v_mul_f64 v[30:31], v[10:11], -v[6:7]
	v_mul_f64 v[28:29], v[10:11], v[4:5]
	s_waitcnt vmcnt(0)
	v_cmp_ne_u32_e64 s[4:5], 1, v26
	s_and_b64 s[4:5], vcc, s[4:5]
	v_add_u32_e32 v26, s23, v32
	s_and_saveexec_b64 s[20:21], s[4:5]
	s_xor_b64 s[4:5], exec, s[20:21]
	s_cbranch_execz .LBB291_17
; %bb.14:                               ;   in Loop: Header=BB291_5 Depth=1
	v_lshl_add_u64 v[54:55], v[26:27], 4, s[8:9]
	v_add_u32_e32 v26, v44, v25
	global_load_dwordx4 v[46:49], v[54:55], off
	v_lshl_add_u64 v[56:57], v[26:27], 4, s[8:9]
	global_load_dwordx4 v[50:53], v[56:57], off
	v_mul_f64 v[34:35], v[0:1], v[14:15]
	v_mul_f64 v[32:33], v[14:15], -v[2:3]
	v_fmac_f64_e32 v[28:29], v[6:7], v[8:9]
	v_fmac_f64_e32 v[34:35], v[2:3], v[12:13]
	;; [unrolled: 1-line block ×4, first 2 shown]
	v_add_f64 v[28:29], v[34:35], -v[28:29]
	v_add_f64 v[30:31], v[32:33], -v[30:31]
	v_mul_f64 v[32:33], v[28:29], v[28:29]
	v_fmac_f64_e32 v[32:33], v[30:31], v[30:31]
	v_div_scale_f64 v[36:37], s[20:21], v[32:33], v[32:33], 1.0
	v_rcp_f64_e32 v[38:39], v[36:37]
	v_fma_f64 v[34:35], 0, v[28:29], v[30:31]
	v_fma_f64 v[30:31], v[30:31], 0, -v[28:29]
	v_div_scale_f64 v[28:29], vcc, 1.0, v[32:33], 1.0
	v_fma_f64 v[58:59], -v[36:37], v[38:39], 1.0
	v_fmac_f64_e32 v[38:39], v[38:39], v[58:59]
	v_fma_f64 v[58:59], -v[36:37], v[38:39], 1.0
	v_fmac_f64_e32 v[38:39], v[38:39], v[58:59]
	v_mul_f64 v[58:59], v[28:29], v[38:39]
	v_fma_f64 v[28:29], -v[36:37], v[58:59], v[28:29]
	v_div_fmas_f64 v[28:29], v[28:29], v[38:39], v[58:59]
	v_div_fixup_f64 v[32:33], v[28:29], v[32:33], 1.0
	v_mul_f64 v[30:31], v[30:31], v[32:33]
	v_mul_f64 v[28:29], v[34:35], v[32:33]
	v_mov_b64_e32 v[40:41], 0
	s_waitcnt vmcnt(1)
	v_mul_f64 v[36:37], v[30:31], v[46:47]
	v_mul_f64 v[32:33], v[30:31], -v[48:49]
	v_fmac_f64_e32 v[36:37], v[48:49], v[28:29]
	s_waitcnt vmcnt(0)
	v_mul_f64 v[38:39], v[30:31], v[50:51]
	v_fmac_f64_e32 v[32:33], v[46:47], v[28:29]
	v_mul_f64 v[34:35], v[30:31], -v[52:53]
	v_fmac_f64_e32 v[38:39], v[52:53], v[28:29]
	v_mul_f64 v[46:47], v[36:37], -v[14:15]
	v_mul_f64 v[48:49], v[12:13], v[36:37]
	v_fmac_f64_e32 v[34:35], v[50:51], v[28:29]
	v_fmac_f64_e32 v[46:47], v[12:13], v[32:33]
	;; [unrolled: 1-line block ×3, first 2 shown]
	v_mul_f64 v[12:13], v[38:39], -v[10:11]
	v_mul_f64 v[14:15], v[8:9], v[38:39]
	v_mul_f64 v[50:51], v[6:7], v[36:37]
	v_mul_f64 v[52:53], v[36:37], -v[4:5]
	v_mul_f64 v[58:59], v[38:39], -v[2:3]
	v_mul_f64 v[60:61], v[0:1], v[38:39]
	v_fmac_f64_e32 v[12:13], v[8:9], v[34:35]
	v_fmac_f64_e32 v[14:15], v[10:11], v[34:35]
	v_fma_f64 v[50:51], -v[4:5], v[32:33], v[50:51]
	v_fma_f64 v[52:53], -v[6:7], v[32:33], v[52:53]
	v_fmac_f64_e32 v[58:59], v[0:1], v[34:35]
	v_fmac_f64_e32 v[60:61], v[2:3], v[34:35]
	v_add_f64 v[8:9], v[46:47], -v[12:13]
	v_add_f64 v[10:11], v[48:49], -v[14:15]
	v_add_f64 v[12:13], v[50:51], v[58:59]
	v_add_f64 v[14:15], v[52:53], v[60:61]
	global_store_dwordx4 v[54:55], v[8:11], off
	global_store_dwordx4 v[56:57], v[12:15], off
	s_nop 0
	v_mov_b64_e32 v[8:9], 0
	s_and_saveexec_b64 s[20:21], s[2:3]
	s_cbranch_execz .LBB291_16
; %bb.15:                               ;   in Loop: Header=BB291_5 Depth=1
	v_add_u32_e32 v12, v43, v25
	v_add_u32_e32 v26, s23, v12
	v_lshl_add_u64 v[40:41], v[26:27], 4, s[8:9]
	v_ashrrev_i32_e32 v13, 31, v12
	global_load_dwordx4 v[8:11], v[40:41], off
	v_lshl_add_u64 v[12:13], v[12:13], 4, s[14:15]
	global_load_dwordx4 v[12:15], v[12:13], off
	v_mul_f64 v[46:47], v[6:7], v[22:23]
	v_mul_f64 v[48:49], v[22:23], -v[4:5]
	v_mul_f64 v[50:51], v[22:23], -v[2:3]
	v_mul_f64 v[52:53], v[0:1], v[22:23]
	v_mul_f64 v[54:55], v[2:3], -v[22:23]
	v_mul_f64 v[56:57], v[2:3], v[20:21]
	v_fma_f64 v[4:5], -v[4:5], v[20:21], v[46:47]
	v_fma_f64 v[6:7], -v[6:7], v[20:21], v[48:49]
	v_fmac_f64_e32 v[50:51], v[0:1], v[20:21]
	v_fmac_f64_e32 v[52:53], v[2:3], v[20:21]
	;; [unrolled: 1-line block ×4, first 2 shown]
	v_mul_f64 v[0:1], v[6:7], v[36:37]
	v_mul_f64 v[2:3], v[36:37], -v[4:5]
	v_mul_f64 v[20:21], v[38:39], -v[52:53]
	v_mul_f64 v[22:23], v[50:51], v[38:39]
	v_mul_f64 v[36:37], v[18:19], -v[56:57]
	v_mul_f64 v[18:19], v[18:19], v[54:55]
	v_fma_f64 v[0:1], -v[4:5], v[32:33], v[0:1]
	v_fma_f64 v[2:3], -v[6:7], v[32:33], v[2:3]
	v_fmac_f64_e32 v[20:21], v[50:51], v[34:35]
	v_fmac_f64_e32 v[22:23], v[52:53], v[34:35]
	v_fmac_f64_e32 v[36:37], v[54:55], v[16:17]
	v_fmac_f64_e32 v[18:19], v[56:57], v[16:17]
	v_add_f64 v[0:1], v[0:1], -v[20:21]
	v_add_f64 v[2:3], v[2:3], -v[22:23]
	v_mul_f64 v[4:5], v[30:31], -v[18:19]
	v_mul_f64 v[6:7], v[30:31], v[36:37]
	v_fmac_f64_e32 v[4:5], v[36:37], v[28:29]
	v_fmac_f64_e32 v[6:7], v[18:19], v[28:29]
	s_waitcnt vmcnt(1)
	v_add_f64 v[0:1], v[0:1], v[8:9]
	v_add_f64 v[2:3], v[2:3], v[10:11]
	s_waitcnt vmcnt(0)
	v_add_f64 v[8:9], v[12:13], -v[4:5]
	global_store_dwordx4 v[40:41], v[0:3], off
	v_add_f64 v[40:41], v[14:15], -v[6:7]
.LBB291_16:                             ;   in Loop: Header=BB291_5 Depth=1
	s_or_b64 exec, exec, s[20:21]
	v_mov_b64_e32 v[2:3], v[40:41]
	v_mov_b64_e32 v[0:1], v[8:9]
                                        ; implicit-def: $vgpr4_vgpr5
                                        ; implicit-def: $vgpr12_vgpr13
                                        ; implicit-def: $vgpr8_vgpr9
                                        ; implicit-def: $vgpr30_vgpr31
                                        ; implicit-def: $vgpr28_vgpr29
.LBB291_17:                             ;   in Loop: Header=BB291_5 Depth=1
	s_or_saveexec_b64 s[2:3], s[4:5]
	v_mov_b32_e32 v10, s26
	s_xor_b64 exec, exec, s[2:3]
	s_cbranch_execz .LBB291_4
; %bb.18:                               ;   in Loop: Header=BB291_5 Depth=1
	v_lshl_add_u64 v[22:23], v[26:27], 4, s[8:9]
	global_load_dwordx4 v[18:21], v[22:23], off
	v_mul_f64 v[10:11], v[2:3], v[2:3]
	v_fmac_f64_e32 v[10:11], v[0:1], v[0:1]
	v_div_scale_f64 v[32:33], s[4:5], v[10:11], v[10:11], 1.0
	v_rcp_f64_e32 v[34:35], v[32:33]
	v_fma_f64 v[16:17], 0, v[2:3], v[0:1]
	v_fma_f64 v[0:1], v[0:1], 0, -v[2:3]
	v_div_scale_f64 v[2:3], vcc, 1.0, v[10:11], 1.0
	v_fma_f64 v[36:37], -v[32:33], v[34:35], 1.0
	v_fmac_f64_e32 v[34:35], v[34:35], v[36:37]
	v_fma_f64 v[36:37], -v[32:33], v[34:35], 1.0
	v_fmac_f64_e32 v[34:35], v[34:35], v[36:37]
	v_mul_f64 v[36:37], v[2:3], v[34:35]
	v_fma_f64 v[2:3], -v[32:33], v[36:37], v[2:3]
	v_div_fmas_f64 v[2:3], v[2:3], v[34:35], v[36:37]
	v_div_fixup_f64 v[2:3], v[2:3], v[10:11], 1.0
	v_mul_f64 v[10:11], v[16:17], v[2:3]
	v_mul_f64 v[16:17], v[0:1], v[2:3]
	s_waitcnt vmcnt(0)
	v_mul_f64 v[0:1], v[16:17], -v[20:21]
	v_mul_f64 v[2:3], v[16:17], v[18:19]
	v_fmac_f64_e32 v[0:1], v[18:19], v[10:11]
	v_fmac_f64_e32 v[2:3], v[20:21], v[10:11]
	global_store_dwordx4 v[22:23], v[0:3], off
	s_and_saveexec_b64 s[4:5], s[0:1]
	s_cbranch_execz .LBB291_3
; %bb.19:                               ;   in Loop: Header=BB291_5 Depth=1
	v_add_u32_e32 v26, v44, v25
	v_lshl_add_u64 v[22:23], v[26:27], 4, s[8:9]
	global_load_dwordx4 v[18:21], v[22:23], off
	s_waitcnt vmcnt(0)
	v_fma_f64 v[18:19], -v[4:5], v[0:1], v[18:19]
	v_fma_f64 v[0:1], -v[6:7], v[0:1], v[20:21]
	v_fmac_f64_e32 v[18:19], v[6:7], v[2:3]
	v_fma_f64 v[20:21], -v[4:5], v[2:3], v[0:1]
	global_store_dwordx4 v[22:23], v[18:21], off
	s_branch .LBB291_3
.LBB291_20:
	s_or_b64 exec, exec, s[18:19]
	s_branch .LBB291_22
.LBB291_21:
	v_mov_b32_e32 v25, 0
.LBB291_22:
	v_subrev_u32_e32 v2, s22, v25
	v_add_u32_e32 v0, v2, v24
	v_ashrrev_i32_e32 v1, 31, v0
	s_waitcnt lgkmcnt(0)
	v_lshl_add_u64 v[0:1], v[0:1], 2, s[6:7]
	buffer_wbl2 sc1
	s_waitcnt vmcnt(0)
	buffer_inv sc1
	global_load_dword v0, v[0:1], off
	s_waitcnt vmcnt(0)
	v_mul_lo_u32 v0, v0, s22
	v_sub_u32_e32 v8, v2, v0
	v_cmp_lt_i32_e32 vcc, -1, v8
	s_and_b64 exec, exec, vcc
	s_cbranch_execz .LBB291_29
; %bb.23:
	s_add_i32 s0, s23, s22
	v_add_u32_e32 v9, s0, v24
	s_lshl_b32 s4, s22, 1
	s_mov_b64 s[0:1], 0
	v_mov_b32_e32 v5, 0
	s_branch .LBB291_25
.LBB291_24:                             ;   in Loop: Header=BB291_25 Depth=1
	s_or_b64 exec, exec, s[2:3]
	v_sub_u32_e32 v8, v8, v4
	v_cmp_gt_i32_e32 vcc, 0, v8
	s_or_b64 s[0:1], vcc, s[0:1]
	s_andn2_b64 exec, exec, s[0:1]
	s_cbranch_execz .LBB291_29
.LBB291_25:                             ; =>This Inner Loop Header: Depth=1
	v_add_u32_e32 v6, v8, v24
	v_ashrrev_i32_e32 v7, 31, v6
	s_waitcnt vmcnt(0)
	v_lshl_add_u64 v[0:1], v[6:7], 2, s[6:7]
	global_load_dword v4, v[0:1], off
	v_lshl_add_u64 v[0:1], v[6:7], 4, s[10:11]
	global_load_dwordx4 v[0:3], v[0:1], off
	s_waitcnt vmcnt(1)
	v_cmp_ne_u32_e32 vcc, 1, v4
	s_and_saveexec_b64 s[2:3], vcc
	s_xor_b64 s[2:3], exec, s[2:3]
	s_cbranch_execz .LBB291_27
; %bb.26:                               ;   in Loop: Header=BB291_25 Depth=1
	v_add_u32_e32 v4, v9, v8
	v_lshl_add_u64 v[18:19], v[4:5], 4, s[8:9]
	v_add_u32_e32 v4, s23, v6
	v_lshl_add_u64 v[6:7], v[4:5], 4, s[8:9]
	global_load_dwordx4 v[10:13], v[18:19], off
	global_load_dwordx4 v[14:17], v[6:7], off
	v_subrev_u32_e32 v4, s22, v8
	v_add_u32_e32 v18, v4, v24
	v_ashrrev_i32_e32 v19, 31, v18
	v_add_u32_e32 v4, s23, v18
	v_lshl_add_u64 v[18:19], v[18:19], 4, s[10:11]
	v_lshl_add_u64 v[22:23], v[4:5], 4, s[8:9]
	global_load_dwordx4 v[18:21], v[18:19], off
	s_waitcnt vmcnt(1)
	v_fma_f64 v[14:15], -v[0:1], v[10:11], v[14:15]
	v_fma_f64 v[16:17], -v[2:3], v[10:11], v[16:17]
	v_fmac_f64_e32 v[14:15], v[2:3], v[12:13]
	v_fma_f64 v[16:17], -v[0:1], v[12:13], v[16:17]
	global_store_dwordx4 v[6:7], v[14:17], off
	global_load_dwordx4 v[0:3], v[22:23], off
                                        ; implicit-def: $vgpr6
	s_waitcnt vmcnt(0)
	v_fma_f64 v[0:1], -v[18:19], v[10:11], v[0:1]
	v_fma_f64 v[2:3], -v[20:21], v[10:11], v[2:3]
	v_fmac_f64_e32 v[0:1], v[20:21], v[12:13]
	v_fma_f64 v[2:3], -v[18:19], v[12:13], v[2:3]
	global_store_dwordx4 v[22:23], v[0:3], off
                                        ; implicit-def: $vgpr0_vgpr1
.LBB291_27:                             ;   in Loop: Header=BB291_25 Depth=1
	s_or_saveexec_b64 s[2:3], s[2:3]
	v_mov_b32_e32 v4, s4
	s_xor_b64 exec, exec, s[2:3]
	s_cbranch_execz .LBB291_24
; %bb.28:                               ;   in Loop: Header=BB291_25 Depth=1
	v_add_u32_e32 v4, v9, v8
	v_lshl_add_u64 v[18:19], v[4:5], 4, s[8:9]
	v_add_u32_e32 v4, s23, v6
	v_lshl_add_u64 v[6:7], v[4:5], 4, s[8:9]
	global_load_dwordx4 v[10:13], v[18:19], off
	global_load_dwordx4 v[14:17], v[6:7], off
	v_mov_b32_e32 v4, s22
	s_waitcnt vmcnt(0)
	v_fma_f64 v[14:15], -v[0:1], v[10:11], v[14:15]
	v_fma_f64 v[10:11], -v[2:3], v[10:11], v[16:17]
	v_fmac_f64_e32 v[14:15], v[2:3], v[12:13]
	v_fma_f64 v[16:17], -v[0:1], v[12:13], v[10:11]
	global_store_dwordx4 v[6:7], v[14:17], off
	s_branch .LBB291_24
.LBB291_29:
	s_endpgm
	.section	.rodata,"a",@progbits
	.p2align	6, 0x0
	.amdhsa_kernel _ZN9rocsparseL19gtsv_LBM_rhs_kernelILj256ELj4ELj1E21rocsparse_complex_numIdEEEviiiPKT2_S5_S5_PS3_S5_PKi
		.amdhsa_group_segment_fixed_size 0
		.amdhsa_private_segment_fixed_size 0
		.amdhsa_kernarg_size 64
		.amdhsa_user_sgpr_count 2
		.amdhsa_user_sgpr_dispatch_ptr 0
		.amdhsa_user_sgpr_queue_ptr 0
		.amdhsa_user_sgpr_kernarg_segment_ptr 1
		.amdhsa_user_sgpr_dispatch_id 0
		.amdhsa_user_sgpr_kernarg_preload_length 0
		.amdhsa_user_sgpr_kernarg_preload_offset 0
		.amdhsa_user_sgpr_private_segment_size 0
		.amdhsa_uses_dynamic_stack 0
		.amdhsa_enable_private_segment 0
		.amdhsa_system_sgpr_workgroup_id_x 1
		.amdhsa_system_sgpr_workgroup_id_y 1
		.amdhsa_system_sgpr_workgroup_id_z 0
		.amdhsa_system_sgpr_workgroup_info 0
		.amdhsa_system_vgpr_workitem_id 0
		.amdhsa_next_free_vgpr 62
		.amdhsa_next_free_sgpr 27
		.amdhsa_accum_offset 64
		.amdhsa_reserve_vcc 1
		.amdhsa_float_round_mode_32 0
		.amdhsa_float_round_mode_16_64 0
		.amdhsa_float_denorm_mode_32 3
		.amdhsa_float_denorm_mode_16_64 3
		.amdhsa_dx10_clamp 1
		.amdhsa_ieee_mode 1
		.amdhsa_fp16_overflow 0
		.amdhsa_tg_split 0
		.amdhsa_exception_fp_ieee_invalid_op 0
		.amdhsa_exception_fp_denorm_src 0
		.amdhsa_exception_fp_ieee_div_zero 0
		.amdhsa_exception_fp_ieee_overflow 0
		.amdhsa_exception_fp_ieee_underflow 0
		.amdhsa_exception_fp_ieee_inexact 0
		.amdhsa_exception_int_div_zero 0
	.end_amdhsa_kernel
	.section	.text._ZN9rocsparseL19gtsv_LBM_rhs_kernelILj256ELj4ELj1E21rocsparse_complex_numIdEEEviiiPKT2_S5_S5_PS3_S5_PKi,"axG",@progbits,_ZN9rocsparseL19gtsv_LBM_rhs_kernelILj256ELj4ELj1E21rocsparse_complex_numIdEEEviiiPKT2_S5_S5_PS3_S5_PKi,comdat
.Lfunc_end291:
	.size	_ZN9rocsparseL19gtsv_LBM_rhs_kernelILj256ELj4ELj1E21rocsparse_complex_numIdEEEviiiPKT2_S5_S5_PS3_S5_PKi, .Lfunc_end291-_ZN9rocsparseL19gtsv_LBM_rhs_kernelILj256ELj4ELj1E21rocsparse_complex_numIdEEEviiiPKT2_S5_S5_PS3_S5_PKi
                                        ; -- End function
	.set _ZN9rocsparseL19gtsv_LBM_rhs_kernelILj256ELj4ELj1E21rocsparse_complex_numIdEEEviiiPKT2_S5_S5_PS3_S5_PKi.num_vgpr, 62
	.set _ZN9rocsparseL19gtsv_LBM_rhs_kernelILj256ELj4ELj1E21rocsparse_complex_numIdEEEviiiPKT2_S5_S5_PS3_S5_PKi.num_agpr, 0
	.set _ZN9rocsparseL19gtsv_LBM_rhs_kernelILj256ELj4ELj1E21rocsparse_complex_numIdEEEviiiPKT2_S5_S5_PS3_S5_PKi.numbered_sgpr, 27
	.set _ZN9rocsparseL19gtsv_LBM_rhs_kernelILj256ELj4ELj1E21rocsparse_complex_numIdEEEviiiPKT2_S5_S5_PS3_S5_PKi.num_named_barrier, 0
	.set _ZN9rocsparseL19gtsv_LBM_rhs_kernelILj256ELj4ELj1E21rocsparse_complex_numIdEEEviiiPKT2_S5_S5_PS3_S5_PKi.private_seg_size, 0
	.set _ZN9rocsparseL19gtsv_LBM_rhs_kernelILj256ELj4ELj1E21rocsparse_complex_numIdEEEviiiPKT2_S5_S5_PS3_S5_PKi.uses_vcc, 1
	.set _ZN9rocsparseL19gtsv_LBM_rhs_kernelILj256ELj4ELj1E21rocsparse_complex_numIdEEEviiiPKT2_S5_S5_PS3_S5_PKi.uses_flat_scratch, 0
	.set _ZN9rocsparseL19gtsv_LBM_rhs_kernelILj256ELj4ELj1E21rocsparse_complex_numIdEEEviiiPKT2_S5_S5_PS3_S5_PKi.has_dyn_sized_stack, 0
	.set _ZN9rocsparseL19gtsv_LBM_rhs_kernelILj256ELj4ELj1E21rocsparse_complex_numIdEEEviiiPKT2_S5_S5_PS3_S5_PKi.has_recursion, 0
	.set _ZN9rocsparseL19gtsv_LBM_rhs_kernelILj256ELj4ELj1E21rocsparse_complex_numIdEEEviiiPKT2_S5_S5_PS3_S5_PKi.has_indirect_call, 0
	.section	.AMDGPU.csdata,"",@progbits
; Kernel info:
; codeLenInByte = 1976
; TotalNumSgprs: 33
; NumVgprs: 62
; NumAgprs: 0
; TotalNumVgprs: 62
; ScratchSize: 0
; MemoryBound: 1
; FloatMode: 240
; IeeeMode: 1
; LDSByteSize: 0 bytes/workgroup (compile time only)
; SGPRBlocks: 4
; VGPRBlocks: 7
; NumSGPRsForWavesPerEU: 33
; NumVGPRsForWavesPerEU: 62
; AccumOffset: 64
; Occupancy: 8
; WaveLimiterHint : 0
; COMPUTE_PGM_RSRC2:SCRATCH_EN: 0
; COMPUTE_PGM_RSRC2:USER_SGPR: 2
; COMPUTE_PGM_RSRC2:TRAP_HANDLER: 0
; COMPUTE_PGM_RSRC2:TGID_X_EN: 1
; COMPUTE_PGM_RSRC2:TGID_Y_EN: 1
; COMPUTE_PGM_RSRC2:TGID_Z_EN: 0
; COMPUTE_PGM_RSRC2:TIDIG_COMP_CNT: 0
; COMPUTE_PGM_RSRC3_GFX90A:ACCUM_OFFSET: 15
; COMPUTE_PGM_RSRC3_GFX90A:TG_SPLIT: 0
	.section	.text._ZN9rocsparseL29gtsv_spike_block_level_kernelILj256ELj4E21rocsparse_complex_numIdEEEviiiPT1_PKS3_S6_S4_S4_S4_S4_S4_,"axG",@progbits,_ZN9rocsparseL29gtsv_spike_block_level_kernelILj256ELj4E21rocsparse_complex_numIdEEEviiiPT1_PKS3_S6_S4_S4_S4_S4_S4_,comdat
	.globl	_ZN9rocsparseL29gtsv_spike_block_level_kernelILj256ELj4E21rocsparse_complex_numIdEEEviiiPT1_PKS3_S6_S4_S4_S4_S4_S4_ ; -- Begin function _ZN9rocsparseL29gtsv_spike_block_level_kernelILj256ELj4E21rocsparse_complex_numIdEEEviiiPT1_PKS3_S6_S4_S4_S4_S4_S4_
	.p2align	8
	.type	_ZN9rocsparseL29gtsv_spike_block_level_kernelILj256ELj4E21rocsparse_complex_numIdEEEviiiPT1_PKS3_S6_S4_S4_S4_S4_S4_,@function
_ZN9rocsparseL29gtsv_spike_block_level_kernelILj256ELj4E21rocsparse_complex_numIdEEEviiiPT1_PKS3_S6_S4_S4_S4_S4_S4_: ; @_ZN9rocsparseL29gtsv_spike_block_level_kernelILj256ELj4E21rocsparse_complex_numIdEEEviiiPT1_PKS3_S6_S4_S4_S4_S4_S4_
; %bb.0:
	s_load_dword s12, s[0:1], 0x0
	s_load_dwordx2 s[8:9], s[0:1], 0x18
	v_lshl_or_b32 v6, s2, 8, v0
	v_mov_b64_e32 v[2:3], 0
	v_mov_b64_e32 v[12:13], 0
	s_waitcnt lgkmcnt(0)
	s_lshr_b32 s20, s12, 2
	v_cmp_gt_i32_e64 s[4:5], s20, v6
	v_mov_b64_e32 v[14:15], 0
	s_and_saveexec_b64 s[6:7], s[4:5]
	s_cbranch_execz .LBB292_2
; %bb.1:
	v_ashrrev_i32_e32 v7, 31, v6
	v_lshl_add_u64 v[4:5], v[6:7], 4, s[8:9]
	global_load_dwordx4 v[12:15], v[4:5], off
.LBB292_2:
	s_or_b64 exec, exec, s[6:7]
	s_load_dwordx2 s[6:7], s[0:1], 0x20
	v_lshlrev_b32_e32 v1, 4, v0
	v_or_b32_e32 v10, 0x2000, v1
	v_mov_b64_e32 v[4:5], 0
	s_waitcnt vmcnt(0)
	ds_write_b128 v1, v[12:15] offset:8192
	s_and_saveexec_b64 s[10:11], s[4:5]
	s_cbranch_execz .LBB292_4
; %bb.3:
	v_mad_u64_u32 v[2:3], s[14:15], s20, 3, v[6:7]
	v_mov_b32_e32 v3, 0
	v_lshl_add_u64 v[2:3], v[2:3], 4, s[8:9]
	global_load_dwordx4 v[2:5], v[2:3], off
.LBB292_4:
	s_or_b64 exec, exec, s[10:11]
	s_waitcnt vmcnt(0)
	ds_write_b128 v10, v[2:5] offset:4096
	v_mov_b64_e32 v[2:3], 0
	v_mov_b64_e32 v[12:13], 0
	;; [unrolled: 1-line block ×3, first 2 shown]
	s_and_saveexec_b64 s[8:9], s[4:5]
	s_cbranch_execz .LBB292_6
; %bb.5:
	v_ashrrev_i32_e32 v7, 31, v6
	s_waitcnt lgkmcnt(0)
	v_lshl_add_u64 v[4:5], v[6:7], 4, s[6:7]
	global_load_dwordx4 v[12:15], v[4:5], off
.LBB292_6:
	s_or_b64 exec, exec, s[8:9]
	s_load_dwordx2 s[16:17], s[0:1], 0x10
	v_mov_b64_e32 v[4:5], 0
	s_waitcnt vmcnt(0)
	ds_write_b128 v1, v[12:15]
	s_and_saveexec_b64 s[8:9], s[4:5]
	s_cbranch_execz .LBB292_8
; %bb.7:
	v_mad_u64_u32 v[2:3], s[10:11], s20, 3, v[6:7]
	v_mov_b32_e32 v3, 0
	s_waitcnt lgkmcnt(0)
	v_lshl_add_u64 v[2:3], v[2:3], 4, s[6:7]
	global_load_dwordx4 v[2:5], v[2:3], off
.LBB292_8:
	s_or_b64 exec, exec, s[8:9]
	s_mul_i32 s14, s12, s3
	s_waitcnt vmcnt(0)
	ds_write_b128 v1, v[2:5] offset:4096
	v_mov_b64_e32 v[2:3], 0
	v_add_u32_e32 v8, s14, v6
	v_mov_b64_e32 v[12:13], 0
	v_mov_b64_e32 v[14:15], 0
	s_waitcnt lgkmcnt(0)
	s_and_saveexec_b64 s[6:7], s[4:5]
	s_cbranch_execz .LBB292_10
; %bb.9:
	v_ashrrev_i32_e32 v9, 31, v8
	v_lshl_add_u64 v[4:5], v[8:9], 4, s[16:17]
	global_load_dwordx4 v[12:15], v[4:5], off
.LBB292_10:
	s_or_b64 exec, exec, s[6:7]
	s_load_dwordx2 s[6:7], s[0:1], 0x48
	s_load_dwordx4 s[8:11], s[0:1], 0x38
	v_or_b32_e32 v9, 0x4000, v1
	s_mul_i32 s21, s20, 3
	v_mov_b64_e32 v[4:5], 0
	s_waitcnt vmcnt(0)
	ds_write_b128 v1, v[12:15] offset:16384
	s_and_saveexec_b64 s[12:13], s[4:5]
	s_cbranch_execz .LBB292_12
; %bb.11:
	s_mul_i32 s15, s20, 3
	s_add_i32 s15, s15, s14
	v_add_u32_e32 v2, s15, v6
	v_mov_b32_e32 v3, 0
	v_lshl_add_u64 v[2:3], v[2:3], 4, s[16:17]
	global_load_dwordx4 v[2:5], v[2:3], off
.LBB292_12:
	s_or_b64 exec, exec, s[12:13]
	s_load_dwordx4 s[12:15], s[0:1], 0x28
	v_add_u32_e32 v13, 0x1000, v10
	v_or_b32_e32 v12, 0x1000, v1
	v_add_u32_e32 v11, 0x1000, v9
	s_mov_b32 s22, 2
	s_waitcnt vmcnt(0)
	ds_write_b128 v9, v[2:5] offset:4096
	s_waitcnt lgkmcnt(0)
	s_barrier
	s_branch .LBB292_14
.LBB292_13:                             ;   in Loop: Header=BB292_14 Depth=1
	s_or_b64 exec, exec, s[18:19]
	s_lshl_b32 s18, s22, 1
	s_cmpk_lt_u32 s22, 0x81
	s_mov_b32 s22, s18
	s_waitcnt lgkmcnt(0)
	s_barrier
	s_cbranch_scc0 .LBB292_16
.LBB292_14:                             ; =>This Inner Loop Header: Depth=1
	s_ff1_i32_b32 s18, s22
	s_lshr_b32 s18, 0x100, s18
	v_cmp_gt_u32_e32 vcc, s18, v0
	s_and_saveexec_b64 s[18:19], vcc
	s_cbranch_execz .LBB292_13
; %bb.15:                               ;   in Loop: Header=BB292_14 Depth=1
	v_mul_lo_u32 v7, s22, v0
	s_lshr_b32 s23, s22, 1
	v_add_u32_e32 v46, s23, v7
	v_lshlrev_b32_e32 v47, 4, v46
	ds_read_b128 v[14:17], v47 offset:8192
	ds_read_b128 v[2:5], v47 offset:4080
	ds_read_b128 v[18:21], v47
	ds_read_b128 v[22:25], v47 offset:12272
	v_lshlrev_b32_e32 v7, 4, v7
	v_add_lshl_u32 v46, v46, s23, 4
	s_waitcnt lgkmcnt(2)
	v_mul_f64 v[28:29], v[4:5], v[14:15]
	v_mul_f64 v[26:27], v[4:5], -v[16:17]
	v_fmac_f64_e32 v[28:29], v[16:17], v[2:3]
	v_fmac_f64_e32 v[26:27], v[14:15], v[2:3]
	v_add_f64 v[36:37], -v[28:29], 0
	v_add_f64 v[34:35], -v[26:27], 1.0
	v_mul_f64 v[26:27], v[36:37], v[36:37]
	v_fmac_f64_e32 v[26:27], v[34:35], v[34:35]
	v_div_scale_f64 v[28:29], s[24:25], v[26:27], v[26:27], 1.0
	v_rcp_f64_e32 v[30:31], v[28:29]
	v_fma_f64 v[40:41], 0, v[36:37], v[34:35]
	v_fma_f64 v[34:35], v[34:35], 0, -v[36:37]
	v_fma_f64 v[32:33], -v[28:29], v[30:31], 1.0
	v_fmac_f64_e32 v[30:31], v[30:31], v[32:33]
	v_fma_f64 v[32:33], -v[28:29], v[30:31], 1.0
	v_fmac_f64_e32 v[30:31], v[30:31], v[32:33]
	v_div_scale_f64 v[32:33], vcc, 1.0, v[26:27], 1.0
	v_mul_f64 v[38:39], v[32:33], v[30:31]
	v_fma_f64 v[28:29], -v[28:29], v[38:39], v[32:33]
	s_nop 1
	v_div_fmas_f64 v[28:29], v[28:29], v[30:31], v[38:39]
	v_div_fixup_f64 v[38:39], v[28:29], v[26:27], 1.0
	ds_read_b128 v[26:29], v47 offset:20464
	ds_read_b128 v[30:33], v47 offset:16384
	v_mul_f64 v[44:45], v[34:35], v[38:39]
	v_mul_f64 v[42:43], v[40:41], v[38:39]
	s_waitcnt lgkmcnt(0)
	v_mul_f64 v[34:35], v[32:33], -v[4:5]
	v_mul_f64 v[36:37], v[2:3], v[32:33]
	v_fmac_f64_e32 v[34:35], v[2:3], v[30:31]
	v_fmac_f64_e32 v[36:37], v[4:5], v[30:31]
	v_add_f64 v[38:39], v[26:27], -v[34:35]
	v_add_f64 v[40:41], v[28:29], -v[36:37]
	v_mul_f64 v[34:35], v[44:45], -v[40:41]
	v_mul_f64 v[36:37], v[44:45], v[38:39]
	v_fmac_f64_e32 v[34:35], v[38:39], v[42:43]
	v_fmac_f64_e32 v[36:37], v[40:41], v[42:43]
	ds_write_b128 v47, v[34:37] offset:20464
	v_mul_f64 v[34:35], v[16:17], -v[28:29]
	v_fmac_f64_e32 v[34:35], v[26:27], v[14:15]
	v_mul_f64 v[26:27], v[16:17], v[26:27]
	v_fmac_f64_e32 v[26:27], v[28:29], v[14:15]
	v_add_f64 v[28:29], v[30:31], -v[34:35]
	v_add_f64 v[30:31], v[32:33], -v[26:27]
	v_mul_f64 v[26:27], v[44:45], -v[30:31]
	v_fmac_f64_e32 v[26:27], v[28:29], v[42:43]
	v_mul_f64 v[28:29], v[28:29], v[44:45]
	v_mul_f64 v[38:39], v[16:17], -v[24:25]
	v_mul_f64 v[16:17], v[16:17], v[22:23]
	v_fmac_f64_e32 v[28:29], v[30:31], v[42:43]
	ds_read_b128 v[30:33], v7
	v_fmac_f64_e32 v[16:17], v[24:25], v[14:15]
	v_fmac_f64_e32 v[38:39], v[22:23], v[14:15]
	v_mul_f64 v[14:15], v[44:45], v[16:17]
	v_mul_f64 v[16:17], v[16:17], -v[42:43]
	v_fma_f64 v[14:15], -v[42:43], v[38:39], v[14:15]
	v_fma_f64 v[16:17], -v[44:45], v[38:39], v[16:17]
	v_mul_f64 v[38:39], v[24:25], -v[44:45]
	v_mul_f64 v[40:41], v[42:43], v[24:25]
	v_fmac_f64_e32 v[38:39], v[42:43], v[22:23]
	v_fmac_f64_e32 v[40:41], v[44:45], v[22:23]
	ds_read_b128 v[34:37], v46 offset:12272
	ds_write_b128 v47, v[14:17] offset:8192
	ds_write_b128 v47, v[38:41] offset:12272
	ds_read_b128 v[22:25], v7 offset:8192
	s_waitcnt lgkmcnt(4)
	v_mul_f64 v[38:39], v[28:29], -v[32:33]
	v_fmac_f64_e32 v[38:39], v[30:31], v[26:27]
	v_mul_f64 v[30:31], v[28:29], v[30:31]
	v_mul_f64 v[40:41], v[2:3], v[20:21]
	ds_write_b128 v47, v[26:29] offset:16384
	v_fmac_f64_e32 v[30:31], v[32:33], v[26:27]
	v_mul_f64 v[32:33], v[20:21], -v[4:5]
	v_fmac_f64_e32 v[40:41], v[4:5], v[18:19]
	ds_read_b128 v[26:29], v7 offset:16384
	v_fmac_f64_e32 v[32:33], v[2:3], v[18:19]
	v_mul_f64 v[2:3], v[44:45], v[40:41]
	v_mul_f64 v[4:5], v[40:41], -v[42:43]
	v_fma_f64 v[2:3], -v[42:43], v[32:33], v[2:3]
	v_fma_f64 v[4:5], -v[44:45], v[32:33], v[4:5]
	ds_write_b128 v47, v[2:5] offset:4080
	v_mul_f64 v[2:3], v[20:21], -v[44:45]
	v_mul_f64 v[4:5], v[42:43], v[20:21]
	v_fmac_f64_e32 v[2:3], v[42:43], v[18:19]
	v_fmac_f64_e32 v[4:5], v[44:45], v[18:19]
	ds_write_b128 v47, v[2:5]
	ds_read_b128 v[18:21], v7
	s_waitcnt lgkmcnt(3)
	v_add_f64 v[26:27], v[26:27], -v[38:39]
	v_add_f64 v[28:29], v[28:29], -v[30:31]
	ds_write_b128 v7, v[26:29] offset:16384
	ds_read_b128 v[26:29], v47 offset:20464
	s_waitcnt lgkmcnt(2)
	v_mul_f64 v[30:31], v[4:5], v[20:21]
	v_mul_f64 v[4:5], v[4:5], -v[18:19]
	v_fma_f64 v[30:31], -v[18:19], v[2:3], v[30:31]
	v_fma_f64 v[32:33], -v[20:21], v[2:3], v[4:5]
	ds_write_b128 v7, v[30:33]
	s_waitcnt lgkmcnt(1)
	v_mul_f64 v[30:31], v[28:29], -v[36:37]
	v_fmac_f64_e32 v[30:31], v[34:35], v[26:27]
	v_mul_f64 v[32:33], v[28:29], v[34:35]
	v_mul_f64 v[34:35], v[16:17], -v[20:21]
	v_mul_f64 v[16:17], v[16:17], v[18:19]
	v_fmac_f64_e32 v[34:35], v[18:19], v[14:15]
	v_fmac_f64_e32 v[16:17], v[20:21], v[14:15]
	ds_read_b128 v[2:5], v46 offset:4080
	v_fmac_f64_e32 v[32:33], v[36:37], v[26:27]
	ds_read_b128 v[26:29], v46 offset:20464
	v_add_f64 v[14:15], v[22:23], -v[34:35]
	v_add_f64 v[16:17], v[24:25], -v[16:17]
	ds_write_b128 v7, v[14:17] offset:8192
	ds_read_b128 v[14:17], v46 offset:12272
	ds_read_b128 v[18:21], v47 offset:4080
	s_waitcnt lgkmcnt(3)
	v_add_f64 v[22:23], v[26:27], -v[30:31]
	v_add_f64 v[24:25], v[28:29], -v[32:33]
	ds_write_b128 v46, v[22:25] offset:20464
	ds_read_b128 v[22:25], v47 offset:12272
	s_waitcnt lgkmcnt(2)
	v_mul_f64 v[26:27], v[16:17], -v[20:21]
	v_fmac_f64_e32 v[26:27], v[18:19], v[14:15]
	v_mul_f64 v[18:19], v[16:17], v[18:19]
	v_fmac_f64_e32 v[18:19], v[20:21], v[14:15]
	v_add_f64 v[2:3], v[2:3], -v[26:27]
	v_add_f64 v[4:5], v[4:5], -v[18:19]
	ds_write_b128 v46, v[2:5] offset:4080
	s_waitcnt lgkmcnt(1)
	v_mul_f64 v[2:3], v[16:17], v[24:25]
	v_mul_f64 v[4:5], v[24:25], -v[14:15]
	v_fma_f64 v[2:3], -v[14:15], v[22:23], v[2:3]
	v_fma_f64 v[4:5], -v[16:17], v[22:23], v[4:5]
	ds_write_b128 v46, v[2:5] offset:12272
	s_branch .LBB292_13
.LBB292_16:
	s_and_saveexec_b64 s[18:19], s[4:5]
	s_cbranch_execnz .LBB292_19
; %bb.17:
	s_or_b64 exec, exec, s[18:19]
	v_cmp_eq_u32_e32 vcc, 0, v0
	s_and_saveexec_b64 s[4:5], vcc
	s_cbranch_execnz .LBB292_23
.LBB292_18:
	s_endpgm
.LBB292_19:
	s_cmp_eq_u32 s3, 0
	s_cbranch_scc1 .LBB292_27
; %bb.20:
	s_mul_i32 s20, s20, 3
	s_cbranch_execnz .LBB292_22
.LBB292_21:
	ds_read2_b64 v[2:5], v10 offset1:1
	ds_read2_b64 v[14:17], v13 offset1:1
	v_ashrrev_i32_e32 v7, 31, v6
	v_lshlrev_b64 v[22:23], 4, v[6:7]
	v_lshl_add_u64 v[18:19], s[12:13], 0, v[22:23]
	s_waitcnt lgkmcnt(1)
	global_store_dwordx4 v[18:19], v[2:5], off
	ds_read2_b64 v[18:21], v12 offset1:1
	v_lshl_add_u64 v[12:13], s[14:15], 0, v[22:23]
	v_add_u32_e32 v2, s21, v6
	v_mov_b32_e32 v3, 0
	v_lshlrev_b64 v[6:7], 4, v[2:3]
	ds_read2_b64 v[2:5], v1 offset1:1
	v_lshl_add_u64 v[24:25], s[12:13], 0, v[6:7]
	s_mov_b32 s20, s21
	s_waitcnt lgkmcnt(2)
	global_store_dwordx4 v[24:25], v[14:17], off
	s_waitcnt lgkmcnt(0)
	global_store_dwordx4 v[12:13], v[2:5], off
	s_nop 1
	v_lshl_add_u64 v[2:3], s[14:15], 0, v[6:7]
	global_store_dwordx4 v[2:3], v[18:21], off
.LBB292_22:
	ds_read2_b64 v[2:5], v9 offset1:1
	ds_read2_b64 v[10:13], v11 offset1:1
	v_ashrrev_i32_e32 v9, 31, v8
	v_add_u32_e32 v6, s20, v8
	v_lshl_add_u64 v[8:9], v[8:9], 4, s[16:17]
	v_mov_b32_e32 v7, 0
	s_waitcnt lgkmcnt(1)
	global_store_dwordx4 v[8:9], v[2:5], off
	s_nop 1
	v_lshl_add_u64 v[2:3], v[6:7], 4, s[16:17]
	s_waitcnt lgkmcnt(0)
	global_store_dwordx4 v[2:3], v[10:13], off
	s_or_b64 exec, exec, s[18:19]
	v_cmp_eq_u32_e32 vcc, 0, v0
	s_and_saveexec_b64 s[4:5], vcc
	s_cbranch_execz .LBB292_18
.LBB292_23:
	s_cmp_eq_u32 s3, 0
	s_cbranch_scc1 .LBB292_28
; %bb.24:
	s_load_dword s12, s[0:1], 0x50
	s_cbranch_execnz .LBB292_26
.LBB292_25:
	v_mov_b32_e32 v8, 0
	ds_read_b128 v[0:3], v8 offset:8192
	ds_read_b128 v[4:7], v8 offset:16368
	s_waitcnt lgkmcnt(0)
	s_load_dword s12, s[0:1], 0x50
	s_mov_b32 s4, s3
	s_ashr_i32 s3, s2, 31
	s_lshl_b64 s[14:15], s[2:3], 4
	s_add_u32 s0, s10, s14
	s_addc_u32 s1, s11, s15
	global_store_dwordx4 v8, v[0:3], s[0:1]
	s_waitcnt lgkmcnt(0)
	s_add_i32 s0, s12, s2
	s_mov_b32 s1, 0
	s_lshl_b64 s[0:1], s[0:1], 4
	s_mov_b32 s3, s4
	s_add_u32 s4, s10, s0
	s_addc_u32 s5, s11, s1
	ds_read_b128 v[0:3], v8
	global_store_dwordx4 v8, v[4:7], s[4:5]
	ds_read_b128 v[4:7], v8 offset:8176
	s_add_u32 s4, s6, s14
	s_addc_u32 s5, s7, s15
	s_add_u32 s0, s6, s0
	s_addc_u32 s1, s7, s1
	s_waitcnt lgkmcnt(1)
	global_store_dwordx4 v8, v[0:3], s[4:5]
	s_waitcnt lgkmcnt(0)
	global_store_dwordx4 v8, v[4:7], s[0:1]
.LBB292_26:
	s_waitcnt lgkmcnt(0)
	s_mul_i32 s0, s12, s3
	s_lshl_b32 s0, s0, 1
	s_add_i32 s0, s0, s2
	s_mov_b32 s1, 0
	v_mov_b32_e32 v8, 0
	s_lshl_b64 s[2:3], s[0:1], 4
	ds_read_b128 v[0:3], v8 offset:16384
	ds_read_b128 v[4:7], v8 offset:24560
	s_add_u32 s2, s8, s2
	s_addc_u32 s3, s9, s3
	s_add_i32 s0, s0, s12
	s_lshl_b64 s[0:1], s[0:1], 4
	s_add_u32 s0, s8, s0
	s_addc_u32 s1, s9, s1
	s_waitcnt lgkmcnt(1)
	global_store_dwordx4 v8, v[0:3], s[2:3]
	s_waitcnt lgkmcnt(0)
	global_store_dwordx4 v8, v[4:7], s[0:1]
	s_endpgm
.LBB292_27:
                                        ; implicit-def: $sgpr20
	s_branch .LBB292_21
.LBB292_28:
                                        ; implicit-def: $sgpr12
	s_branch .LBB292_25
	.section	.rodata,"a",@progbits
	.p2align	6, 0x0
	.amdhsa_kernel _ZN9rocsparseL29gtsv_spike_block_level_kernelILj256ELj4E21rocsparse_complex_numIdEEEviiiPT1_PKS3_S6_S4_S4_S4_S4_S4_
		.amdhsa_group_segment_fixed_size 24576
		.amdhsa_private_segment_fixed_size 0
		.amdhsa_kernarg_size 336
		.amdhsa_user_sgpr_count 2
		.amdhsa_user_sgpr_dispatch_ptr 0
		.amdhsa_user_sgpr_queue_ptr 0
		.amdhsa_user_sgpr_kernarg_segment_ptr 1
		.amdhsa_user_sgpr_dispatch_id 0
		.amdhsa_user_sgpr_kernarg_preload_length 0
		.amdhsa_user_sgpr_kernarg_preload_offset 0
		.amdhsa_user_sgpr_private_segment_size 0
		.amdhsa_uses_dynamic_stack 0
		.amdhsa_enable_private_segment 0
		.amdhsa_system_sgpr_workgroup_id_x 1
		.amdhsa_system_sgpr_workgroup_id_y 1
		.amdhsa_system_sgpr_workgroup_id_z 0
		.amdhsa_system_sgpr_workgroup_info 0
		.amdhsa_system_vgpr_workitem_id 0
		.amdhsa_next_free_vgpr 73
		.amdhsa_next_free_sgpr 91
		.amdhsa_accum_offset 48
		.amdhsa_reserve_vcc 1
		.amdhsa_float_round_mode_32 0
		.amdhsa_float_round_mode_16_64 0
		.amdhsa_float_denorm_mode_32 3
		.amdhsa_float_denorm_mode_16_64 3
		.amdhsa_dx10_clamp 1
		.amdhsa_ieee_mode 1
		.amdhsa_fp16_overflow 0
		.amdhsa_tg_split 0
		.amdhsa_exception_fp_ieee_invalid_op 0
		.amdhsa_exception_fp_denorm_src 0
		.amdhsa_exception_fp_ieee_div_zero 0
		.amdhsa_exception_fp_ieee_overflow 0
		.amdhsa_exception_fp_ieee_underflow 0
		.amdhsa_exception_fp_ieee_inexact 0
		.amdhsa_exception_int_div_zero 0
	.end_amdhsa_kernel
	.section	.text._ZN9rocsparseL29gtsv_spike_block_level_kernelILj256ELj4E21rocsparse_complex_numIdEEEviiiPT1_PKS3_S6_S4_S4_S4_S4_S4_,"axG",@progbits,_ZN9rocsparseL29gtsv_spike_block_level_kernelILj256ELj4E21rocsparse_complex_numIdEEEviiiPT1_PKS3_S6_S4_S4_S4_S4_S4_,comdat
.Lfunc_end292:
	.size	_ZN9rocsparseL29gtsv_spike_block_level_kernelILj256ELj4E21rocsparse_complex_numIdEEEviiiPT1_PKS3_S6_S4_S4_S4_S4_S4_, .Lfunc_end292-_ZN9rocsparseL29gtsv_spike_block_level_kernelILj256ELj4E21rocsparse_complex_numIdEEEviiiPT1_PKS3_S6_S4_S4_S4_S4_S4_
                                        ; -- End function
	.set _ZN9rocsparseL29gtsv_spike_block_level_kernelILj256ELj4E21rocsparse_complex_numIdEEEviiiPT1_PKS3_S6_S4_S4_S4_S4_S4_.num_vgpr, 48
	.set _ZN9rocsparseL29gtsv_spike_block_level_kernelILj256ELj4E21rocsparse_complex_numIdEEEviiiPT1_PKS3_S6_S4_S4_S4_S4_S4_.num_agpr, 0
	.set _ZN9rocsparseL29gtsv_spike_block_level_kernelILj256ELj4E21rocsparse_complex_numIdEEEviiiPT1_PKS3_S6_S4_S4_S4_S4_S4_.numbered_sgpr, 26
	.set _ZN9rocsparseL29gtsv_spike_block_level_kernelILj256ELj4E21rocsparse_complex_numIdEEEviiiPT1_PKS3_S6_S4_S4_S4_S4_S4_.num_named_barrier, 0
	.set _ZN9rocsparseL29gtsv_spike_block_level_kernelILj256ELj4E21rocsparse_complex_numIdEEEviiiPT1_PKS3_S6_S4_S4_S4_S4_S4_.private_seg_size, 0
	.set _ZN9rocsparseL29gtsv_spike_block_level_kernelILj256ELj4E21rocsparse_complex_numIdEEEviiiPT1_PKS3_S6_S4_S4_S4_S4_S4_.uses_vcc, 1
	.set _ZN9rocsparseL29gtsv_spike_block_level_kernelILj256ELj4E21rocsparse_complex_numIdEEEviiiPT1_PKS3_S6_S4_S4_S4_S4_S4_.uses_flat_scratch, 0
	.set _ZN9rocsparseL29gtsv_spike_block_level_kernelILj256ELj4E21rocsparse_complex_numIdEEEviiiPT1_PKS3_S6_S4_S4_S4_S4_S4_.has_dyn_sized_stack, 0
	.set _ZN9rocsparseL29gtsv_spike_block_level_kernelILj256ELj4E21rocsparse_complex_numIdEEEviiiPT1_PKS3_S6_S4_S4_S4_S4_S4_.has_recursion, 0
	.set _ZN9rocsparseL29gtsv_spike_block_level_kernelILj256ELj4E21rocsparse_complex_numIdEEEviiiPT1_PKS3_S6_S4_S4_S4_S4_S4_.has_indirect_call, 0
	.section	.AMDGPU.csdata,"",@progbits
; Kernel info:
; codeLenInByte = 2088
; TotalNumSgprs: 32
; NumVgprs: 48
; NumAgprs: 0
; TotalNumVgprs: 48
; ScratchSize: 0
; MemoryBound: 1
; FloatMode: 240
; IeeeMode: 1
; LDSByteSize: 24576 bytes/workgroup (compile time only)
; SGPRBlocks: 12
; VGPRBlocks: 9
; NumSGPRsForWavesPerEU: 97
; NumVGPRsForWavesPerEU: 73
; AccumOffset: 48
; Occupancy: 6
; WaveLimiterHint : 0
; COMPUTE_PGM_RSRC2:SCRATCH_EN: 0
; COMPUTE_PGM_RSRC2:USER_SGPR: 2
; COMPUTE_PGM_RSRC2:TRAP_HANDLER: 0
; COMPUTE_PGM_RSRC2:TGID_X_EN: 1
; COMPUTE_PGM_RSRC2:TGID_Y_EN: 1
; COMPUTE_PGM_RSRC2:TGID_Z_EN: 0
; COMPUTE_PGM_RSRC2:TIDIG_COMP_CNT: 0
; COMPUTE_PGM_RSRC3_GFX90A:ACCUM_OFFSET: 11
; COMPUTE_PGM_RSRC3_GFX90A:TG_SPLIT: 0
	.section	.text._ZN9rocsparseL33gtsv_solve_spike_propagate_kernelILj256ELj4E21rocsparse_complex_numIdEEEviiiPT1_PKS3_S6_S6_,"axG",@progbits,_ZN9rocsparseL33gtsv_solve_spike_propagate_kernelILj256ELj4E21rocsparse_complex_numIdEEEviiiPT1_PKS3_S6_S6_,comdat
	.globl	_ZN9rocsparseL33gtsv_solve_spike_propagate_kernelILj256ELj4E21rocsparse_complex_numIdEEEviiiPT1_PKS3_S6_S6_ ; -- Begin function _ZN9rocsparseL33gtsv_solve_spike_propagate_kernelILj256ELj4E21rocsparse_complex_numIdEEEviiiPT1_PKS3_S6_S6_
	.p2align	8
	.type	_ZN9rocsparseL33gtsv_solve_spike_propagate_kernelILj256ELj4E21rocsparse_complex_numIdEEEviiiPT1_PKS3_S6_S6_,@function
_ZN9rocsparseL33gtsv_solve_spike_propagate_kernelILj256ELj4E21rocsparse_complex_numIdEEEviiiPT1_PKS3_S6_S6_: ; @_ZN9rocsparseL33gtsv_solve_spike_propagate_kernelILj256ELj4E21rocsparse_complex_numIdEEEviiiPT1_PKS3_S6_S6_
; %bb.0:
	s_load_dword s8, s[0:1], 0x0
	v_lshl_or_b32 v2, s2, 8, v0
	v_lshlrev_b32_e32 v4, 4, v0
	s_waitcnt lgkmcnt(0)
	s_lshr_b32 s20, s8, 2
	v_cmp_gt_i32_e32 vcc, s20, v2
	v_cmp_le_i32_e64 s[4:5], s20, v2
	s_and_saveexec_b64 s[6:7], s[4:5]
	s_xor_b64 s[6:7], exec, s[6:7]
; %bb.1:
	v_mov_b32_e32 v6, 0
	v_mov_b32_e32 v7, v6
	;; [unrolled: 1-line block ×4, first 2 shown]
	ds_write_b128 v4, v[6:9] offset:16416
; %bb.2:
	s_or_saveexec_b64 s[6:7], s[6:7]
	v_mov_b64_e32 v[6:7], 0
	v_ashrrev_i32_e32 v3, 31, v2
	v_mov_b64_e32 v[8:9], 0
	s_xor_b64 exec, exec, s[6:7]
	s_cbranch_execz .LBB293_4
; %bb.3:
	s_load_dwordx2 s[10:11], s[0:1], 0x18
	v_mad_u64_u32 v[6:7], s[12:13], s20, 3, v[2:3]
	v_mov_b32_e32 v7, 0
	s_waitcnt lgkmcnt(0)
	v_lshl_add_u64 v[14:15], v[2:3], 4, s[10:11]
	v_lshl_add_u64 v[16:17], v[6:7], 4, s[10:11]
	global_load_dwordx4 v[10:13], v[14:15], off
	global_load_dwordx4 v[6:9], v[16:17], off
	s_waitcnt vmcnt(1)
	ds_write_b128 v4, v[10:13] offset:16416
.LBB293_4:
	s_or_b64 exec, exec, s[6:7]
	s_waitcnt vmcnt(0)
	ds_write_b128 v4, v[6:9] offset:20512
	s_and_saveexec_b64 s[6:7], s[4:5]
	s_xor_b64 s[4:5], exec, s[6:7]
; %bb.5:
	v_mov_b32_e32 v6, 0
	v_mov_b32_e32 v7, v6
	;; [unrolled: 1-line block ×4, first 2 shown]
	ds_write_b128 v4, v[6:9] offset:8224
; %bb.6:
	s_or_saveexec_b64 s[4:5], s[4:5]
	s_load_dwordx2 s[6:7], s[0:1], 0x10
	v_mov_b64_e32 v[8:9], 0
	v_mov_b64_e32 v[10:11], 0
	v_mov_b64_e32 v[12:13], 0
	s_xor_b64 exec, exec, s[4:5]
	s_cbranch_execz .LBB293_8
; %bb.7:
	s_load_dwordx2 s[10:11], s[0:1], 0x20
	v_mad_u64_u32 v[6:7], s[12:13], s20, 3, v[2:3]
	v_mov_b32_e32 v7, 0
	s_waitcnt lgkmcnt(0)
	v_lshl_add_u64 v[18:19], v[2:3], 4, s[10:11]
	v_lshl_add_u64 v[6:7], v[6:7], 4, s[10:11]
	global_load_dwordx4 v[14:17], v[18:19], off
	global_load_dwordx4 v[10:13], v[6:7], off
	s_waitcnt vmcnt(1)
	ds_write_b128 v4, v[14:17] offset:8224
.LBB293_8:
	s_or_b64 exec, exec, s[4:5]
	s_mul_i32 s8, s8, s3
	v_mov_b64_e32 v[6:7], 0
	s_waitcnt vmcnt(0)
	ds_write_b128 v4, v[10:13] offset:12320
	s_and_saveexec_b64 s[4:5], vcc
	s_cbranch_execz .LBB293_10
; %bb.9:
	s_mul_i32 s9, s20, 3
	s_add_i32 s9, s9, s8
	v_add_u32_e32 v6, s9, v2
	v_mov_b32_e32 v7, 0
	s_waitcnt lgkmcnt(0)
	v_lshl_add_u64 v[6:7], v[6:7], 4, s[6:7]
	global_load_dwordx4 v[6:9], v[6:7], off
.LBB293_10:
	s_or_b64 exec, exec, s[4:5]
	s_waitcnt vmcnt(0)
	ds_write_b128 v4, v[6:9] offset:16
	v_mov_b64_e32 v[8:9], 0
	v_add_u32_e32 v2, s8, v2
	v_mov_b64_e32 v[6:7], 0
	s_and_saveexec_b64 s[4:5], vcc
	s_cbranch_execz .LBB293_12
; %bb.11:
	v_ashrrev_i32_e32 v3, 31, v2
	s_waitcnt lgkmcnt(0)
	v_lshl_add_u64 v[6:7], v[2:3], 4, s[6:7]
	global_load_dwordx4 v[6:9], v[6:7], off
.LBB293_12:
	s_or_b64 exec, exec, s[4:5]
	v_cmp_eq_u32_e64 s[4:5], 0, v0
	s_waitcnt vmcnt(0)
	ds_write_b128 v4, v[6:9] offset:4112
	s_waitcnt lgkmcnt(0)
	s_barrier
	s_and_saveexec_b64 s[16:17], s[4:5]
	s_cbranch_execz .LBB293_18
; %bb.13:
	s_load_dword s21, s[0:1], 0x30
	s_load_dwordx2 s[18:19], s[0:1], 0x28
	s_cmp_lt_i32 s2, 1
	s_mov_b64 s[10:11], 0
	s_mov_b64 s[14:15], 0
	s_waitcnt lgkmcnt(0)
	s_mul_i32 s3, s3, s21
	s_mov_b64 s[12:13], 0
	s_cbranch_scc1 .LBB293_15
; %bb.14:
	s_lshl_b32 s0, s3, 1
	s_add_i32 s1, s2, s21
	s_add_i32 s0, s1, s0
	s_add_i32 s0, s0, -1
	s_mov_b32 s1, 0
	s_lshl_b64 s[0:1], s[0:1], 4
	s_add_u32 s0, s18, s0
	s_addc_u32 s1, s19, s1
	s_load_dwordx4 s[12:15], s[0:1], 0x0
.LBB293_15:
	s_add_i32 s0, s21, -1
	s_waitcnt lgkmcnt(0)
	v_mov_b32_e32 v6, s12
	v_mov_b32_e32 v7, s13
	;; [unrolled: 1-line block ×5, first 2 shown]
	s_cmp_ge_u32 s2, s0
	s_mov_b64 s[8:9], 0
	ds_write_b128 v1, v[6:9]
	s_cbranch_scc1 .LBB293_17
; %bb.16:
	s_lshl_b32 s0, s3, 1
	s_add_i32 s0, s2, s0
	s_add_i32 s0, s0, 1
	s_mov_b32 s1, 0
	s_lshl_b64 s[0:1], s[0:1], 4
	s_add_u32 s0, s18, s0
	s_addc_u32 s1, s19, s1
	s_load_dwordx4 s[8:11], s[0:1], 0x0
.LBB293_17:
	s_lshl_b32 s0, s3, 1
	s_add_i32 s0, s0, s2
	s_mov_b32 s1, 0
	s_lshl_b64 s[2:3], s[0:1], 4
	s_add_u32 s2, s18, s2
	s_addc_u32 s3, s19, s3
	s_add_i32 s0, s0, s21
	s_lshl_b64 s[0:1], s[0:1], 4
	s_add_u32 s0, s18, s0
	s_addc_u32 s1, s19, s1
	global_load_dwordx4 v[6:9], v1, s[2:3]
	global_load_dwordx4 v[10:13], v1, s[0:1]
	s_waitcnt lgkmcnt(0)
	v_mov_b32_e32 v14, s8
	v_mov_b32_e32 v15, s9
	;; [unrolled: 1-line block ×4, first 2 shown]
	ds_write_b128 v1, v[14:17] offset:8208
	s_waitcnt vmcnt(1)
	ds_write_b128 v1, v[6:9] offset:4112
	s_waitcnt vmcnt(0)
	ds_write_b128 v1, v[10:13] offset:4096
.LBB293_18:
	s_or_b64 exec, exec, s[16:17]
	v_add_u32_e32 v1, 16, v4
	v_add_u32_e32 v3, 0x1010, v4
	s_waitcnt lgkmcnt(0)
	s_barrier
	s_and_saveexec_b64 s[0:1], s[4:5]
	s_cbranch_execz .LBB293_20
; %bb.19:
	v_mov_b32_e32 v34, 0
	ds_read_b128 v[4:7], v34 offset:8208
	ds_read_b128 v[8:11], v34 offset:14352
	;; [unrolled: 1-line block ×5, first 2 shown]
	ds_read_b128 v[24:27], v34
	ds_read_b128 v[28:31], v34 offset:22544
	s_waitcnt lgkmcnt(5)
	v_mul_f64 v[32:33], v[6:7], -v[10:11]
	v_fmac_f64_e32 v[32:33], v[8:9], v[4:5]
	v_mul_f64 v[8:9], v[6:7], v[8:9]
	v_fmac_f64_e32 v[8:9], v[10:11], v[4:5]
	s_waitcnt lgkmcnt(4)
	v_add_f64 v[12:13], v[12:13], -v[32:33]
	s_waitcnt lgkmcnt(0)
	v_mul_f64 v[32:33], v[26:27], -v[30:31]
	v_add_f64 v[14:15], v[14:15], -v[8:9]
	ds_read_b128 v[8:11], v34 offset:18464
	v_fmac_f64_e32 v[32:33], v[28:29], v[24:25]
	v_mul_f64 v[28:29], v[26:27], v[28:29]
	v_fmac_f64_e32 v[28:29], v[30:31], v[24:25]
	v_add_f64 v[12:13], v[12:13], -v[32:33]
	v_add_f64 v[14:15], v[14:15], -v[28:29]
	ds_write_b128 v34, v[12:15] offset:2048
	v_mul_f64 v[12:13], v[6:7], -v[18:19]
	v_fmac_f64_e32 v[12:13], v[16:17], v[4:5]
	v_mul_f64 v[6:7], v[6:7], v[16:17]
	v_fmac_f64_e32 v[6:7], v[18:19], v[4:5]
	v_add_f64 v[4:5], v[20:21], -v[12:13]
	s_waitcnt lgkmcnt(1)
	v_mul_f64 v[12:13], v[26:27], -v[10:11]
	v_fmac_f64_e32 v[12:13], v[8:9], v[24:25]
	v_mul_f64 v[8:9], v[26:27], v[8:9]
	v_add_f64 v[6:7], v[22:23], -v[6:7]
	v_fmac_f64_e32 v[8:9], v[10:11], v[24:25]
	v_add_f64 v[4:5], v[4:5], -v[12:13]
	v_add_f64 v[6:7], v[6:7], -v[8:9]
	ds_write_b128 v34, v[4:7] offset:6160
.LBB293_20:
	s_or_b64 exec, exec, s[0:1]
	v_cmp_gt_u32_e64 s[0:1], 2, v0
	s_waitcnt lgkmcnt(0)
	s_barrier
	s_and_saveexec_b64 s[2:3], s[0:1]
	s_cbranch_execz .LBB293_22
; %bb.21:
	v_lshlrev_b32_e32 v34, 11, v0
	ds_read_b128 v[4:7], v34 offset:6160
	ds_read_b128 v[8:11], v34 offset:13328
	ds_read_b128 v[12:15], v34 offset:1024
	ds_read_b128 v[16:19], v34 offset:9248
	ds_read_b128 v[20:23], v34 offset:5136
	ds_read_b128 v[24:27], v34
	ds_read_b128 v[28:31], v34 offset:21520
	s_waitcnt lgkmcnt(5)
	v_mul_f64 v[32:33], v[6:7], -v[10:11]
	v_fmac_f64_e32 v[32:33], v[8:9], v[4:5]
	v_mul_f64 v[8:9], v[6:7], v[8:9]
	v_fmac_f64_e32 v[8:9], v[10:11], v[4:5]
	s_waitcnt lgkmcnt(4)
	v_add_f64 v[12:13], v[12:13], -v[32:33]
	s_waitcnt lgkmcnt(0)
	v_mul_f64 v[32:33], v[26:27], -v[30:31]
	v_add_f64 v[14:15], v[14:15], -v[8:9]
	ds_read_b128 v[8:11], v34 offset:17440
	v_fmac_f64_e32 v[32:33], v[28:29], v[24:25]
	v_mul_f64 v[28:29], v[26:27], v[28:29]
	v_fmac_f64_e32 v[28:29], v[30:31], v[24:25]
	v_add_f64 v[12:13], v[12:13], -v[32:33]
	v_add_f64 v[14:15], v[14:15], -v[28:29]
	ds_write_b128 v34, v[12:15] offset:1024
	v_mul_f64 v[12:13], v[6:7], -v[18:19]
	v_fmac_f64_e32 v[12:13], v[16:17], v[4:5]
	v_mul_f64 v[6:7], v[6:7], v[16:17]
	v_fmac_f64_e32 v[6:7], v[18:19], v[4:5]
	v_add_f64 v[4:5], v[20:21], -v[12:13]
	s_waitcnt lgkmcnt(1)
	v_mul_f64 v[12:13], v[26:27], -v[10:11]
	v_fmac_f64_e32 v[12:13], v[8:9], v[24:25]
	v_mul_f64 v[8:9], v[26:27], v[8:9]
	v_add_f64 v[6:7], v[22:23], -v[6:7]
	v_fmac_f64_e32 v[8:9], v[10:11], v[24:25]
	v_add_f64 v[4:5], v[4:5], -v[12:13]
	v_add_f64 v[6:7], v[6:7], -v[8:9]
	ds_write_b128 v34, v[4:7] offset:5136
.LBB293_22:
	s_or_b64 exec, exec, s[2:3]
	v_cmp_gt_u32_e64 s[0:1], 4, v0
	s_waitcnt lgkmcnt(0)
	s_barrier
	s_and_saveexec_b64 s[2:3], s[0:1]
	s_cbranch_execz .LBB293_24
; %bb.23:
	v_lshlrev_b32_e32 v34, 10, v0
	ds_read_b128 v[4:7], v34 offset:5136
	ds_read_b128 v[8:11], v34 offset:12816
	ds_read_b128 v[12:15], v34 offset:512
	ds_read_b128 v[16:19], v34 offset:8736
	ds_read_b128 v[20:23], v34 offset:4624
	ds_read_b128 v[24:27], v34
	ds_read_b128 v[28:31], v34 offset:21008
	s_waitcnt lgkmcnt(5)
	v_mul_f64 v[32:33], v[6:7], -v[10:11]
	v_fmac_f64_e32 v[32:33], v[8:9], v[4:5]
	v_mul_f64 v[8:9], v[6:7], v[8:9]
	v_fmac_f64_e32 v[8:9], v[10:11], v[4:5]
	s_waitcnt lgkmcnt(4)
	v_add_f64 v[12:13], v[12:13], -v[32:33]
	s_waitcnt lgkmcnt(0)
	v_mul_f64 v[32:33], v[26:27], -v[30:31]
	v_add_f64 v[14:15], v[14:15], -v[8:9]
	ds_read_b128 v[8:11], v34 offset:16928
	v_fmac_f64_e32 v[32:33], v[28:29], v[24:25]
	v_mul_f64 v[28:29], v[26:27], v[28:29]
	v_fmac_f64_e32 v[28:29], v[30:31], v[24:25]
	v_add_f64 v[12:13], v[12:13], -v[32:33]
	v_add_f64 v[14:15], v[14:15], -v[28:29]
	ds_write_b128 v34, v[12:15] offset:512
	v_mul_f64 v[12:13], v[6:7], -v[18:19]
	v_fmac_f64_e32 v[12:13], v[16:17], v[4:5]
	v_mul_f64 v[6:7], v[6:7], v[16:17]
	v_fmac_f64_e32 v[6:7], v[18:19], v[4:5]
	v_add_f64 v[4:5], v[20:21], -v[12:13]
	s_waitcnt lgkmcnt(1)
	v_mul_f64 v[12:13], v[26:27], -v[10:11]
	v_fmac_f64_e32 v[12:13], v[8:9], v[24:25]
	v_mul_f64 v[8:9], v[26:27], v[8:9]
	v_add_f64 v[6:7], v[22:23], -v[6:7]
	v_fmac_f64_e32 v[8:9], v[10:11], v[24:25]
	v_add_f64 v[4:5], v[4:5], -v[12:13]
	v_add_f64 v[6:7], v[6:7], -v[8:9]
	ds_write_b128 v34, v[4:7] offset:4624
.LBB293_24:
	;; [unrolled: 47-line block ×5, first 2 shown]
	s_or_b64 exec, exec, s[2:3]
	v_cmp_gt_u32_e64 s[0:1], 64, v0
	s_waitcnt lgkmcnt(0)
	s_barrier
	s_and_saveexec_b64 s[2:3], s[0:1]
	s_cbranch_execz .LBB293_32
; %bb.31:
	v_lshlrev_b32_e32 v34, 6, v0
	ds_read_b128 v[4:7], v34 offset:4176
	ds_read_b128 v[8:11], v34 offset:12336
	;; [unrolled: 1-line block ×4, first 2 shown]
	ds_read_b128 v[20:23], v34
	ds_read_b128 v[24:27], v34 offset:32
	ds_read_b128 v[28:31], v34 offset:20528
	s_waitcnt lgkmcnt(5)
	v_mul_f64 v[32:33], v[6:7], -v[10:11]
	v_fmac_f64_e32 v[32:33], v[8:9], v[4:5]
	v_mul_f64 v[8:9], v[6:7], v[8:9]
	v_fmac_f64_e32 v[8:9], v[10:11], v[4:5]
	s_waitcnt lgkmcnt(1)
	v_add_f64 v[24:25], v[24:25], -v[32:33]
	v_add_f64 v[26:27], v[26:27], -v[8:9]
	ds_read_b128 v[8:11], v34 offset:16448
	s_waitcnt lgkmcnt(1)
	v_mul_f64 v[32:33], v[22:23], -v[30:31]
	v_fmac_f64_e32 v[32:33], v[28:29], v[20:21]
	v_mul_f64 v[28:29], v[22:23], v[28:29]
	v_fmac_f64_e32 v[28:29], v[30:31], v[20:21]
	v_add_f64 v[24:25], v[24:25], -v[32:33]
	v_add_f64 v[26:27], v[26:27], -v[28:29]
	ds_write_b128 v34, v[24:27] offset:32
	v_mul_f64 v[24:25], v[6:7], -v[14:15]
	v_fmac_f64_e32 v[24:25], v[12:13], v[4:5]
	v_mul_f64 v[6:7], v[6:7], v[12:13]
	s_waitcnt lgkmcnt(1)
	v_mul_f64 v[12:13], v[22:23], -v[10:11]
	v_fmac_f64_e32 v[6:7], v[14:15], v[4:5]
	v_fmac_f64_e32 v[12:13], v[8:9], v[20:21]
	v_mul_f64 v[8:9], v[22:23], v[8:9]
	v_add_f64 v[4:5], v[16:17], -v[24:25]
	v_add_f64 v[6:7], v[18:19], -v[6:7]
	v_fmac_f64_e32 v[8:9], v[10:11], v[20:21]
	v_add_f64 v[4:5], v[4:5], -v[12:13]
	v_add_f64 v[6:7], v[6:7], -v[8:9]
	ds_write_b128 v34, v[4:7] offset:4144
.LBB293_32:
	s_or_b64 exec, exec, s[2:3]
	s_movk_i32 s0, 0x80
	v_cmp_gt_u32_e64 s[0:1], s0, v0
	s_waitcnt lgkmcnt(0)
	s_barrier
	s_and_saveexec_b64 s[2:3], s[0:1]
	s_cbranch_execz .LBB293_34
; %bb.33:
	v_lshlrev_b32_e32 v0, 5, v0
	ds_read_b128 v[4:7], v0 offset:4144
	ds_read_b128 v[8:11], v0 offset:12320
	;; [unrolled: 1-line block ×4, first 2 shown]
	ds_read_b128 v[20:23], v0
	ds_read_b128 v[24:27], v0 offset:16
	ds_read_b128 v[28:31], v0 offset:20512
	s_waitcnt lgkmcnt(5)
	v_mul_f64 v[32:33], v[6:7], -v[10:11]
	v_fmac_f64_e32 v[32:33], v[8:9], v[4:5]
	v_mul_f64 v[8:9], v[6:7], v[8:9]
	v_fmac_f64_e32 v[8:9], v[10:11], v[4:5]
	s_waitcnt lgkmcnt(1)
	v_add_f64 v[24:25], v[24:25], -v[32:33]
	v_add_f64 v[26:27], v[26:27], -v[8:9]
	ds_read_b128 v[8:11], v0 offset:16432
	s_waitcnt lgkmcnt(1)
	v_mul_f64 v[32:33], v[22:23], -v[30:31]
	v_fmac_f64_e32 v[32:33], v[28:29], v[20:21]
	v_mul_f64 v[28:29], v[22:23], v[28:29]
	v_fmac_f64_e32 v[28:29], v[30:31], v[20:21]
	v_add_f64 v[24:25], v[24:25], -v[32:33]
	v_add_f64 v[26:27], v[26:27], -v[28:29]
	ds_write_b128 v0, v[24:27] offset:16
	v_mul_f64 v[24:25], v[6:7], -v[14:15]
	v_fmac_f64_e32 v[24:25], v[12:13], v[4:5]
	v_mul_f64 v[6:7], v[6:7], v[12:13]
	s_waitcnt lgkmcnt(1)
	v_mul_f64 v[12:13], v[22:23], -v[10:11]
	v_fmac_f64_e32 v[6:7], v[14:15], v[4:5]
	v_fmac_f64_e32 v[12:13], v[8:9], v[20:21]
	v_mul_f64 v[8:9], v[22:23], v[8:9]
	v_add_f64 v[4:5], v[16:17], -v[24:25]
	v_add_f64 v[6:7], v[18:19], -v[6:7]
	v_fmac_f64_e32 v[8:9], v[10:11], v[20:21]
	v_add_f64 v[4:5], v[4:5], -v[12:13]
	v_add_f64 v[6:7], v[6:7], -v[8:9]
	ds_write_b128 v0, v[4:7] offset:4128
.LBB293_34:
	s_or_b64 exec, exec, s[2:3]
	s_waitcnt lgkmcnt(0)
	s_barrier
	s_and_saveexec_b64 s[0:1], vcc
	s_cbranch_execz .LBB293_36
; %bb.35:
	ds_read2_b64 v[4:7], v3 offset1:1
	ds_read2_b64 v[8:11], v1 offset1:1
	v_ashrrev_i32_e32 v3, 31, v2
	v_lshl_add_u64 v[0:1], v[2:3], 4, s[6:7]
	s_waitcnt lgkmcnt(1)
	global_store_dwordx4 v[0:1], v[4:7], off
	v_mad_u64_u32 v[0:1], s[0:1], s20, 3, v[2:3]
	v_mov_b32_e32 v1, 0
	v_lshl_add_u64 v[0:1], v[0:1], 4, s[6:7]
	s_waitcnt lgkmcnt(0)
	global_store_dwordx4 v[0:1], v[8:11], off
.LBB293_36:
	s_endpgm
	.section	.rodata,"a",@progbits
	.p2align	6, 0x0
	.amdhsa_kernel _ZN9rocsparseL33gtsv_solve_spike_propagate_kernelILj256ELj4E21rocsparse_complex_numIdEEEviiiPT1_PKS3_S6_S6_
		.amdhsa_group_segment_fixed_size 24608
		.amdhsa_private_segment_fixed_size 0
		.amdhsa_kernarg_size 304
		.amdhsa_user_sgpr_count 2
		.amdhsa_user_sgpr_dispatch_ptr 0
		.amdhsa_user_sgpr_queue_ptr 0
		.amdhsa_user_sgpr_kernarg_segment_ptr 1
		.amdhsa_user_sgpr_dispatch_id 0
		.amdhsa_user_sgpr_kernarg_preload_length 0
		.amdhsa_user_sgpr_kernarg_preload_offset 0
		.amdhsa_user_sgpr_private_segment_size 0
		.amdhsa_uses_dynamic_stack 0
		.amdhsa_enable_private_segment 0
		.amdhsa_system_sgpr_workgroup_id_x 1
		.amdhsa_system_sgpr_workgroup_id_y 1
		.amdhsa_system_sgpr_workgroup_id_z 0
		.amdhsa_system_sgpr_workgroup_info 0
		.amdhsa_system_vgpr_workitem_id 0
		.amdhsa_next_free_vgpr 73
		.amdhsa_next_free_sgpr 91
		.amdhsa_accum_offset 36
		.amdhsa_reserve_vcc 1
		.amdhsa_float_round_mode_32 0
		.amdhsa_float_round_mode_16_64 0
		.amdhsa_float_denorm_mode_32 3
		.amdhsa_float_denorm_mode_16_64 3
		.amdhsa_dx10_clamp 1
		.amdhsa_ieee_mode 1
		.amdhsa_fp16_overflow 0
		.amdhsa_tg_split 0
		.amdhsa_exception_fp_ieee_invalid_op 0
		.amdhsa_exception_fp_denorm_src 0
		.amdhsa_exception_fp_ieee_div_zero 0
		.amdhsa_exception_fp_ieee_overflow 0
		.amdhsa_exception_fp_ieee_underflow 0
		.amdhsa_exception_fp_ieee_inexact 0
		.amdhsa_exception_int_div_zero 0
	.end_amdhsa_kernel
	.section	.text._ZN9rocsparseL33gtsv_solve_spike_propagate_kernelILj256ELj4E21rocsparse_complex_numIdEEEviiiPT1_PKS3_S6_S6_,"axG",@progbits,_ZN9rocsparseL33gtsv_solve_spike_propagate_kernelILj256ELj4E21rocsparse_complex_numIdEEEviiiPT1_PKS3_S6_S6_,comdat
.Lfunc_end293:
	.size	_ZN9rocsparseL33gtsv_solve_spike_propagate_kernelILj256ELj4E21rocsparse_complex_numIdEEEviiiPT1_PKS3_S6_S6_, .Lfunc_end293-_ZN9rocsparseL33gtsv_solve_spike_propagate_kernelILj256ELj4E21rocsparse_complex_numIdEEEviiiPT1_PKS3_S6_S6_
                                        ; -- End function
	.set _ZN9rocsparseL33gtsv_solve_spike_propagate_kernelILj256ELj4E21rocsparse_complex_numIdEEEviiiPT1_PKS3_S6_S6_.num_vgpr, 35
	.set _ZN9rocsparseL33gtsv_solve_spike_propagate_kernelILj256ELj4E21rocsparse_complex_numIdEEEviiiPT1_PKS3_S6_S6_.num_agpr, 0
	.set _ZN9rocsparseL33gtsv_solve_spike_propagate_kernelILj256ELj4E21rocsparse_complex_numIdEEEviiiPT1_PKS3_S6_S6_.numbered_sgpr, 22
	.set _ZN9rocsparseL33gtsv_solve_spike_propagate_kernelILj256ELj4E21rocsparse_complex_numIdEEEviiiPT1_PKS3_S6_S6_.num_named_barrier, 0
	.set _ZN9rocsparseL33gtsv_solve_spike_propagate_kernelILj256ELj4E21rocsparse_complex_numIdEEEviiiPT1_PKS3_S6_S6_.private_seg_size, 0
	.set _ZN9rocsparseL33gtsv_solve_spike_propagate_kernelILj256ELj4E21rocsparse_complex_numIdEEEviiiPT1_PKS3_S6_S6_.uses_vcc, 1
	.set _ZN9rocsparseL33gtsv_solve_spike_propagate_kernelILj256ELj4E21rocsparse_complex_numIdEEEviiiPT1_PKS3_S6_S6_.uses_flat_scratch, 0
	.set _ZN9rocsparseL33gtsv_solve_spike_propagate_kernelILj256ELj4E21rocsparse_complex_numIdEEEviiiPT1_PKS3_S6_S6_.has_dyn_sized_stack, 0
	.set _ZN9rocsparseL33gtsv_solve_spike_propagate_kernelILj256ELj4E21rocsparse_complex_numIdEEEviiiPT1_PKS3_S6_S6_.has_recursion, 0
	.set _ZN9rocsparseL33gtsv_solve_spike_propagate_kernelILj256ELj4E21rocsparse_complex_numIdEEEviiiPT1_PKS3_S6_S6_.has_indirect_call, 0
	.section	.AMDGPU.csdata,"",@progbits
; Kernel info:
; codeLenInByte = 3164
; TotalNumSgprs: 28
; NumVgprs: 35
; NumAgprs: 0
; TotalNumVgprs: 35
; ScratchSize: 0
; MemoryBound: 0
; FloatMode: 240
; IeeeMode: 1
; LDSByteSize: 24608 bytes/workgroup (compile time only)
; SGPRBlocks: 12
; VGPRBlocks: 9
; NumSGPRsForWavesPerEU: 97
; NumVGPRsForWavesPerEU: 73
; AccumOffset: 36
; Occupancy: 6
; WaveLimiterHint : 0
; COMPUTE_PGM_RSRC2:SCRATCH_EN: 0
; COMPUTE_PGM_RSRC2:USER_SGPR: 2
; COMPUTE_PGM_RSRC2:TRAP_HANDLER: 0
; COMPUTE_PGM_RSRC2:TGID_X_EN: 1
; COMPUTE_PGM_RSRC2:TGID_Y_EN: 1
; COMPUTE_PGM_RSRC2:TGID_Z_EN: 0
; COMPUTE_PGM_RSRC2:TIDIG_COMP_CNT: 0
; COMPUTE_PGM_RSRC3_GFX90A:ACCUM_OFFSET: 8
; COMPUTE_PGM_RSRC3_GFX90A:TG_SPLIT: 0
	.section	.text._ZN9rocsparseL39gtsv_spike_backward_substitution_kernelILj256ELj4E21rocsparse_complex_numIdEEEviiiPT1_PKS3_S6_,"axG",@progbits,_ZN9rocsparseL39gtsv_spike_backward_substitution_kernelILj256ELj4E21rocsparse_complex_numIdEEEviiiPT1_PKS3_S6_,comdat
	.globl	_ZN9rocsparseL39gtsv_spike_backward_substitution_kernelILj256ELj4E21rocsparse_complex_numIdEEEviiiPT1_PKS3_S6_ ; -- Begin function _ZN9rocsparseL39gtsv_spike_backward_substitution_kernelILj256ELj4E21rocsparse_complex_numIdEEEviiiPT1_PKS3_S6_
	.p2align	8
	.type	_ZN9rocsparseL39gtsv_spike_backward_substitution_kernelILj256ELj4E21rocsparse_complex_numIdEEEviiiPT1_PKS3_S6_,@function
_ZN9rocsparseL39gtsv_spike_backward_substitution_kernelILj256ELj4E21rocsparse_complex_numIdEEEviiiPT1_PKS3_S6_: ; @_ZN9rocsparseL39gtsv_spike_backward_substitution_kernelILj256ELj4E21rocsparse_complex_numIdEEEviiiPT1_PKS3_S6_
; %bb.0:
	s_load_dword s6, s[0:1], 0x0
	v_lshl_or_b32 v8, s2, 8, v0
	s_waitcnt lgkmcnt(0)
	s_lshr_b32 s12, s6, 2
	v_cmp_gt_i32_e32 vcc, s12, v8
	s_and_saveexec_b64 s[4:5], vcc
	s_cbranch_execz .LBB294_6
; %bb.1:
	s_load_dwordx2 s[8:9], s[0:1], 0x10
	v_cmp_lt_i32_e32 vcc, 0, v8
	v_mov_b64_e32 v[0:1], 0
	s_mul_i32 s2, s6, s3
	v_mov_b64_e32 v[2:3], 0
	s_and_saveexec_b64 s[4:5], vcc
	s_cbranch_execz .LBB294_3
; %bb.2:
	s_mul_i32 s7, s12, 3
	s_mul_i32 s3, s6, s3
	s_add_i32 s7, s7, s3
	v_add3_u32 v0, v8, s7, -1
	v_mov_b32_e32 v1, 0
	s_waitcnt lgkmcnt(0)
	v_lshl_add_u64 v[0:1], v[0:1], 4, s[8:9]
	global_load_dwordx4 v[0:3], v[0:1], off
.LBB294_3:
	s_or_b64 exec, exec, s[4:5]
	v_add_u32_e32 v4, 4, v8
	v_cmp_le_u32_e32 vcc, s6, v4
	s_and_saveexec_b64 s[4:5], vcc
	s_xor_b64 s[4:5], exec, s[4:5]
	s_or_saveexec_b64 s[10:11], s[4:5]
	s_load_dwordx4 s[4:7], s[0:1], 0x18
	v_mov_b64_e32 v[4:5], 0
	v_mov_b32_e32 v9, s2
	v_mov_b64_e32 v[6:7], 0
	s_xor_b64 exec, exec, s[10:11]
	s_cbranch_execz .LBB294_5
; %bb.4:
	s_ashr_i32 s3, s2, 31
	v_ashrrev_i32_e32 v9, 31, v8
	v_lshl_add_u64 v[4:5], v[8:9], 0, s[2:3]
	s_waitcnt lgkmcnt(0)
	v_lshl_add_u64 v[4:5], v[4:5], 4, s[8:9]
	global_load_dwordx4 v[4:7], v[4:5], off offset:16
	v_mov_b32_e32 v9, s2
.LBB294_5:
	s_or_b64 exec, exec, s[10:11]
	v_add_u32_e32 v22, s12, v8
	v_ashrrev_i32_e32 v23, 31, v22
	v_lshlrev_b64 v[14:15], 4, v[22:23]
	s_waitcnt lgkmcnt(0)
	v_lshl_add_u64 v[10:11], s[4:5], 0, v[14:15]
	v_add_u32_e32 v18, v22, v9
	global_load_dwordx4 v[10:13], v[10:11], off
	v_lshl_add_u64 v[14:15], s[6:7], 0, v[14:15]
	v_ashrrev_i32_e32 v19, 31, v18
	global_load_dwordx4 v[14:17], v[14:15], off
	v_lshl_add_u64 v[30:31], v[18:19], 4, s[8:9]
	global_load_dwordx4 v[18:21], v[30:31], off
	v_add_u32_e32 v8, s12, v22
	v_add_u32_e32 v22, v8, v9
	v_ashrrev_i32_e32 v9, 31, v8
	v_lshlrev_b64 v[8:9], 4, v[8:9]
	v_ashrrev_i32_e32 v23, 31, v22
	v_lshl_add_u64 v[34:35], s[4:5], 0, v[8:9]
	v_lshl_add_u64 v[8:9], s[6:7], 0, v[8:9]
	;; [unrolled: 1-line block ×3, first 2 shown]
	global_load_dwordx4 v[22:25], v[34:35], off
	global_load_dwordx4 v[26:29], v[8:9], off
	s_waitcnt vmcnt(4)
	v_mul_f64 v[8:9], v[2:3], -v[12:13]
	v_mul_f64 v[34:35], v[2:3], v[10:11]
	v_fmac_f64_e32 v[8:9], v[10:11], v[0:1]
	s_waitcnt vmcnt(3)
	v_mul_f64 v[36:37], v[6:7], -v[16:17]
	v_mul_f64 v[38:39], v[6:7], v[14:15]
	v_fmac_f64_e32 v[34:35], v[12:13], v[0:1]
	v_fmac_f64_e32 v[36:37], v[14:15], v[4:5]
	v_fmac_f64_e32 v[38:39], v[16:17], v[4:5]
	s_waitcnt vmcnt(2)
	v_add_f64 v[8:9], v[18:19], -v[8:9]
	v_add_f64 v[10:11], v[20:21], -v[34:35]
	;; [unrolled: 1-line block ×4, first 2 shown]
	global_store_dwordx4 v[30:31], v[8:11], off
	global_load_dwordx4 v[8:11], v[32:33], off
	s_waitcnt vmcnt(3)
	v_mul_f64 v[12:13], v[2:3], -v[24:25]
	v_mul_f64 v[2:3], v[2:3], v[22:23]
	s_waitcnt vmcnt(2)
	v_mul_f64 v[14:15], v[6:7], -v[28:29]
	v_mul_f64 v[6:7], v[6:7], v[26:27]
	v_fmac_f64_e32 v[12:13], v[22:23], v[0:1]
	v_fmac_f64_e32 v[2:3], v[24:25], v[0:1]
	v_fmac_f64_e32 v[14:15], v[26:27], v[4:5]
	v_fmac_f64_e32 v[6:7], v[28:29], v[4:5]
	s_waitcnt vmcnt(0)
	v_add_f64 v[0:1], v[8:9], -v[12:13]
	v_add_f64 v[2:3], v[10:11], -v[2:3]
	;; [unrolled: 1-line block ×4, first 2 shown]
	global_store_dwordx4 v[32:33], v[0:3], off
.LBB294_6:
	s_endpgm
	.section	.rodata,"a",@progbits
	.p2align	6, 0x0
	.amdhsa_kernel _ZN9rocsparseL39gtsv_spike_backward_substitution_kernelILj256ELj4E21rocsparse_complex_numIdEEEviiiPT1_PKS3_S6_
		.amdhsa_group_segment_fixed_size 0
		.amdhsa_private_segment_fixed_size 0
		.amdhsa_kernarg_size 40
		.amdhsa_user_sgpr_count 2
		.amdhsa_user_sgpr_dispatch_ptr 0
		.amdhsa_user_sgpr_queue_ptr 0
		.amdhsa_user_sgpr_kernarg_segment_ptr 1
		.amdhsa_user_sgpr_dispatch_id 0
		.amdhsa_user_sgpr_kernarg_preload_length 0
		.amdhsa_user_sgpr_kernarg_preload_offset 0
		.amdhsa_user_sgpr_private_segment_size 0
		.amdhsa_uses_dynamic_stack 0
		.amdhsa_enable_private_segment 0
		.amdhsa_system_sgpr_workgroup_id_x 1
		.amdhsa_system_sgpr_workgroup_id_y 1
		.amdhsa_system_sgpr_workgroup_id_z 0
		.amdhsa_system_sgpr_workgroup_info 0
		.amdhsa_system_vgpr_workitem_id 0
		.amdhsa_next_free_vgpr 40
		.amdhsa_next_free_sgpr 13
		.amdhsa_accum_offset 40
		.amdhsa_reserve_vcc 1
		.amdhsa_float_round_mode_32 0
		.amdhsa_float_round_mode_16_64 0
		.amdhsa_float_denorm_mode_32 3
		.amdhsa_float_denorm_mode_16_64 3
		.amdhsa_dx10_clamp 1
		.amdhsa_ieee_mode 1
		.amdhsa_fp16_overflow 0
		.amdhsa_tg_split 0
		.amdhsa_exception_fp_ieee_invalid_op 0
		.amdhsa_exception_fp_denorm_src 0
		.amdhsa_exception_fp_ieee_div_zero 0
		.amdhsa_exception_fp_ieee_overflow 0
		.amdhsa_exception_fp_ieee_underflow 0
		.amdhsa_exception_fp_ieee_inexact 0
		.amdhsa_exception_int_div_zero 0
	.end_amdhsa_kernel
	.section	.text._ZN9rocsparseL39gtsv_spike_backward_substitution_kernelILj256ELj4E21rocsparse_complex_numIdEEEviiiPT1_PKS3_S6_,"axG",@progbits,_ZN9rocsparseL39gtsv_spike_backward_substitution_kernelILj256ELj4E21rocsparse_complex_numIdEEEviiiPT1_PKS3_S6_,comdat
.Lfunc_end294:
	.size	_ZN9rocsparseL39gtsv_spike_backward_substitution_kernelILj256ELj4E21rocsparse_complex_numIdEEEviiiPT1_PKS3_S6_, .Lfunc_end294-_ZN9rocsparseL39gtsv_spike_backward_substitution_kernelILj256ELj4E21rocsparse_complex_numIdEEEviiiPT1_PKS3_S6_
                                        ; -- End function
	.set _ZN9rocsparseL39gtsv_spike_backward_substitution_kernelILj256ELj4E21rocsparse_complex_numIdEEEviiiPT1_PKS3_S6_.num_vgpr, 40
	.set _ZN9rocsparseL39gtsv_spike_backward_substitution_kernelILj256ELj4E21rocsparse_complex_numIdEEEviiiPT1_PKS3_S6_.num_agpr, 0
	.set _ZN9rocsparseL39gtsv_spike_backward_substitution_kernelILj256ELj4E21rocsparse_complex_numIdEEEviiiPT1_PKS3_S6_.numbered_sgpr, 13
	.set _ZN9rocsparseL39gtsv_spike_backward_substitution_kernelILj256ELj4E21rocsparse_complex_numIdEEEviiiPT1_PKS3_S6_.num_named_barrier, 0
	.set _ZN9rocsparseL39gtsv_spike_backward_substitution_kernelILj256ELj4E21rocsparse_complex_numIdEEEviiiPT1_PKS3_S6_.private_seg_size, 0
	.set _ZN9rocsparseL39gtsv_spike_backward_substitution_kernelILj256ELj4E21rocsparse_complex_numIdEEEviiiPT1_PKS3_S6_.uses_vcc, 1
	.set _ZN9rocsparseL39gtsv_spike_backward_substitution_kernelILj256ELj4E21rocsparse_complex_numIdEEEviiiPT1_PKS3_S6_.uses_flat_scratch, 0
	.set _ZN9rocsparseL39gtsv_spike_backward_substitution_kernelILj256ELj4E21rocsparse_complex_numIdEEEviiiPT1_PKS3_S6_.has_dyn_sized_stack, 0
	.set _ZN9rocsparseL39gtsv_spike_backward_substitution_kernelILj256ELj4E21rocsparse_complex_numIdEEEviiiPT1_PKS3_S6_.has_recursion, 0
	.set _ZN9rocsparseL39gtsv_spike_backward_substitution_kernelILj256ELj4E21rocsparse_complex_numIdEEEviiiPT1_PKS3_S6_.has_indirect_call, 0
	.section	.AMDGPU.csdata,"",@progbits
; Kernel info:
; codeLenInByte = 560
; TotalNumSgprs: 19
; NumVgprs: 40
; NumAgprs: 0
; TotalNumVgprs: 40
; ScratchSize: 0
; MemoryBound: 0
; FloatMode: 240
; IeeeMode: 1
; LDSByteSize: 0 bytes/workgroup (compile time only)
; SGPRBlocks: 2
; VGPRBlocks: 4
; NumSGPRsForWavesPerEU: 19
; NumVGPRsForWavesPerEU: 40
; AccumOffset: 40
; Occupancy: 8
; WaveLimiterHint : 0
; COMPUTE_PGM_RSRC2:SCRATCH_EN: 0
; COMPUTE_PGM_RSRC2:USER_SGPR: 2
; COMPUTE_PGM_RSRC2:TRAP_HANDLER: 0
; COMPUTE_PGM_RSRC2:TGID_X_EN: 1
; COMPUTE_PGM_RSRC2:TGID_Y_EN: 1
; COMPUTE_PGM_RSRC2:TGID_Z_EN: 0
; COMPUTE_PGM_RSRC2:TIDIG_COMP_CNT: 0
; COMPUTE_PGM_RSRC3_GFX90A:ACCUM_OFFSET: 9
; COMPUTE_PGM_RSRC3_GFX90A:TG_SPLIT: 0
	.section	.text._ZN9rocsparseL32gtsv_transpose_back_array_kernelILj256ELj4E21rocsparse_complex_numIdEEEviiiPKT1_PS3_,"axG",@progbits,_ZN9rocsparseL32gtsv_transpose_back_array_kernelILj256ELj4E21rocsparse_complex_numIdEEEviiiPKT1_PS3_,comdat
	.globl	_ZN9rocsparseL32gtsv_transpose_back_array_kernelILj256ELj4E21rocsparse_complex_numIdEEEviiiPKT1_PS3_ ; -- Begin function _ZN9rocsparseL32gtsv_transpose_back_array_kernelILj256ELj4E21rocsparse_complex_numIdEEEviiiPKT1_PS3_
	.p2align	8
	.type	_ZN9rocsparseL32gtsv_transpose_back_array_kernelILj256ELj4E21rocsparse_complex_numIdEEEviiiPKT1_PS3_,@function
_ZN9rocsparseL32gtsv_transpose_back_array_kernelILj256ELj4E21rocsparse_complex_numIdEEEviiiPKT1_PS3_: ; @_ZN9rocsparseL32gtsv_transpose_back_array_kernelILj256ELj4E21rocsparse_complex_numIdEEEviiiPKT1_PS3_
; %bb.0:
	s_load_dwordx4 s[4:7], s[0:1], 0x0
	v_lshl_or_b32 v0, s2, 8, v0
	v_lshlrev_b32_e32 v2, 2, v0
	s_waitcnt lgkmcnt(0)
	v_cvt_f32_u32_e32 v1, s5
	s_sub_i32 s2, 0, s5
	v_rcp_iflag_f32_e32 v1, v1
	s_nop 0
	v_mul_f32_e32 v1, 0x4f7ffffe, v1
	v_cvt_u32_f32_e32 v1, v1
	v_mul_lo_u32 v3, s2, v1
	v_mul_hi_u32 v3, v1, v3
	v_add_u32_e32 v1, v1, v3
	v_mul_hi_u32 v1, v2, v1
	v_mul_lo_u32 v3, v1, s5
	v_sub_u32_e32 v3, v2, v3
	v_add_u32_e32 v4, 1, v1
	v_cmp_le_u32_e32 vcc, s5, v3
	s_nop 1
	v_cndmask_b32_e32 v1, v1, v4, vcc
	v_subrev_u32_e32 v4, s5, v3
	v_cndmask_b32_e32 v3, v3, v4, vcc
	v_add_u32_e32 v4, 1, v1
	v_cmp_le_u32_e32 vcc, s5, v3
	s_nop 1
	v_cndmask_b32_e32 v1, v1, v4, vcc
	v_mul_lo_u32 v3, v1, s5
	v_sub_u32_e32 v2, v2, v3
	v_add_u32_e32 v1, v1, v2
	v_cmp_gt_i32_e32 vcc, s4, v1
	s_and_saveexec_b64 s[8:9], vcc
	s_cbranch_execz .LBB295_2
; %bb.1:
	s_load_dwordx4 s[8:11], s[0:1], 0x10
	s_mul_i32 s0, s5, s3
	v_add_u32_e32 v2, s0, v0
	v_ashrrev_i32_e32 v3, 31, v2
	s_mul_i32 s0, s6, s3
	s_waitcnt lgkmcnt(0)
	v_lshl_add_u64 v[2:3], v[2:3], 4, s[8:9]
	global_load_dwordx4 v[2:5], v[2:3], off
	v_add_u32_e32 v0, s0, v1
	v_ashrrev_i32_e32 v1, 31, v0
	v_lshl_add_u64 v[0:1], v[0:1], 4, s[10:11]
	s_waitcnt vmcnt(0)
	global_store_dwordx4 v[0:1], v[2:5], off
.LBB295_2:
	s_endpgm
	.section	.rodata,"a",@progbits
	.p2align	6, 0x0
	.amdhsa_kernel _ZN9rocsparseL32gtsv_transpose_back_array_kernelILj256ELj4E21rocsparse_complex_numIdEEEviiiPKT1_PS3_
		.amdhsa_group_segment_fixed_size 0
		.amdhsa_private_segment_fixed_size 0
		.amdhsa_kernarg_size 32
		.amdhsa_user_sgpr_count 2
		.amdhsa_user_sgpr_dispatch_ptr 0
		.amdhsa_user_sgpr_queue_ptr 0
		.amdhsa_user_sgpr_kernarg_segment_ptr 1
		.amdhsa_user_sgpr_dispatch_id 0
		.amdhsa_user_sgpr_kernarg_preload_length 0
		.amdhsa_user_sgpr_kernarg_preload_offset 0
		.amdhsa_user_sgpr_private_segment_size 0
		.amdhsa_uses_dynamic_stack 0
		.amdhsa_enable_private_segment 0
		.amdhsa_system_sgpr_workgroup_id_x 1
		.amdhsa_system_sgpr_workgroup_id_y 1
		.amdhsa_system_sgpr_workgroup_id_z 0
		.amdhsa_system_sgpr_workgroup_info 0
		.amdhsa_system_vgpr_workitem_id 0
		.amdhsa_next_free_vgpr 6
		.amdhsa_next_free_sgpr 12
		.amdhsa_accum_offset 8
		.amdhsa_reserve_vcc 1
		.amdhsa_float_round_mode_32 0
		.amdhsa_float_round_mode_16_64 0
		.amdhsa_float_denorm_mode_32 3
		.amdhsa_float_denorm_mode_16_64 3
		.amdhsa_dx10_clamp 1
		.amdhsa_ieee_mode 1
		.amdhsa_fp16_overflow 0
		.amdhsa_tg_split 0
		.amdhsa_exception_fp_ieee_invalid_op 0
		.amdhsa_exception_fp_denorm_src 0
		.amdhsa_exception_fp_ieee_div_zero 0
		.amdhsa_exception_fp_ieee_overflow 0
		.amdhsa_exception_fp_ieee_underflow 0
		.amdhsa_exception_fp_ieee_inexact 0
		.amdhsa_exception_int_div_zero 0
	.end_amdhsa_kernel
	.section	.text._ZN9rocsparseL32gtsv_transpose_back_array_kernelILj256ELj4E21rocsparse_complex_numIdEEEviiiPKT1_PS3_,"axG",@progbits,_ZN9rocsparseL32gtsv_transpose_back_array_kernelILj256ELj4E21rocsparse_complex_numIdEEEviiiPKT1_PS3_,comdat
.Lfunc_end295:
	.size	_ZN9rocsparseL32gtsv_transpose_back_array_kernelILj256ELj4E21rocsparse_complex_numIdEEEviiiPKT1_PS3_, .Lfunc_end295-_ZN9rocsparseL32gtsv_transpose_back_array_kernelILj256ELj4E21rocsparse_complex_numIdEEEviiiPKT1_PS3_
                                        ; -- End function
	.set _ZN9rocsparseL32gtsv_transpose_back_array_kernelILj256ELj4E21rocsparse_complex_numIdEEEviiiPKT1_PS3_.num_vgpr, 6
	.set _ZN9rocsparseL32gtsv_transpose_back_array_kernelILj256ELj4E21rocsparse_complex_numIdEEEviiiPKT1_PS3_.num_agpr, 0
	.set _ZN9rocsparseL32gtsv_transpose_back_array_kernelILj256ELj4E21rocsparse_complex_numIdEEEviiiPKT1_PS3_.numbered_sgpr, 12
	.set _ZN9rocsparseL32gtsv_transpose_back_array_kernelILj256ELj4E21rocsparse_complex_numIdEEEviiiPKT1_PS3_.num_named_barrier, 0
	.set _ZN9rocsparseL32gtsv_transpose_back_array_kernelILj256ELj4E21rocsparse_complex_numIdEEEviiiPKT1_PS3_.private_seg_size, 0
	.set _ZN9rocsparseL32gtsv_transpose_back_array_kernelILj256ELj4E21rocsparse_complex_numIdEEEviiiPKT1_PS3_.uses_vcc, 1
	.set _ZN9rocsparseL32gtsv_transpose_back_array_kernelILj256ELj4E21rocsparse_complex_numIdEEEviiiPKT1_PS3_.uses_flat_scratch, 0
	.set _ZN9rocsparseL32gtsv_transpose_back_array_kernelILj256ELj4E21rocsparse_complex_numIdEEEviiiPKT1_PS3_.has_dyn_sized_stack, 0
	.set _ZN9rocsparseL32gtsv_transpose_back_array_kernelILj256ELj4E21rocsparse_complex_numIdEEEviiiPKT1_PS3_.has_recursion, 0
	.set _ZN9rocsparseL32gtsv_transpose_back_array_kernelILj256ELj4E21rocsparse_complex_numIdEEEviiiPKT1_PS3_.has_indirect_call, 0
	.section	.AMDGPU.csdata,"",@progbits
; Kernel info:
; codeLenInByte = 236
; TotalNumSgprs: 18
; NumVgprs: 6
; NumAgprs: 0
; TotalNumVgprs: 6
; ScratchSize: 0
; MemoryBound: 0
; FloatMode: 240
; IeeeMode: 1
; LDSByteSize: 0 bytes/workgroup (compile time only)
; SGPRBlocks: 2
; VGPRBlocks: 0
; NumSGPRsForWavesPerEU: 18
; NumVGPRsForWavesPerEU: 6
; AccumOffset: 8
; Occupancy: 8
; WaveLimiterHint : 0
; COMPUTE_PGM_RSRC2:SCRATCH_EN: 0
; COMPUTE_PGM_RSRC2:USER_SGPR: 2
; COMPUTE_PGM_RSRC2:TRAP_HANDLER: 0
; COMPUTE_PGM_RSRC2:TGID_X_EN: 1
; COMPUTE_PGM_RSRC2:TGID_Y_EN: 1
; COMPUTE_PGM_RSRC2:TGID_Z_EN: 0
; COMPUTE_PGM_RSRC2:TIDIG_COMP_CNT: 0
; COMPUTE_PGM_RSRC3_GFX90A:ACCUM_OFFSET: 1
; COMPUTE_PGM_RSRC3_GFX90A:TG_SPLIT: 0
	.section	.text._ZN9rocsparseL42gtsv_transpose_and_pad_array_shared_kernelILj256ELj8E21rocsparse_complex_numIdEEEviiiPKT1_PS3_S3_,"axG",@progbits,_ZN9rocsparseL42gtsv_transpose_and_pad_array_shared_kernelILj256ELj8E21rocsparse_complex_numIdEEEviiiPKT1_PS3_S3_,comdat
	.globl	_ZN9rocsparseL42gtsv_transpose_and_pad_array_shared_kernelILj256ELj8E21rocsparse_complex_numIdEEEviiiPKT1_PS3_S3_ ; -- Begin function _ZN9rocsparseL42gtsv_transpose_and_pad_array_shared_kernelILj256ELj8E21rocsparse_complex_numIdEEEviiiPKT1_PS3_S3_
	.p2align	8
	.type	_ZN9rocsparseL42gtsv_transpose_and_pad_array_shared_kernelILj256ELj8E21rocsparse_complex_numIdEEEviiiPKT1_PS3_S3_,@function
_ZN9rocsparseL42gtsv_transpose_and_pad_array_shared_kernelILj256ELj8E21rocsparse_complex_numIdEEEviiiPKT1_PS3_S3_: ; @_ZN9rocsparseL42gtsv_transpose_and_pad_array_shared_kernelILj256ELj8E21rocsparse_complex_numIdEEEviiiPKT1_PS3_S3_
; %bb.0:
	s_load_dwordx4 s[4:7], s[0:1], 0x0
	v_lshl_or_b32 v2, s2, 8, v0
	v_lshlrev_b32_e32 v1, 4, v0
	s_waitcnt lgkmcnt(0)
	v_cmp_le_i32_e32 vcc, s4, v2
	s_and_saveexec_b64 s[8:9], vcc
	s_xor_b64 s[8:9], exec, s[8:9]
	s_cbranch_execz .LBB296_2
; %bb.1:
	s_load_dwordx4 s[12:15], s[0:1], 0x20
	s_waitcnt lgkmcnt(0)
	v_mov_b64_e32 v[2:3], s[12:13]
	v_mov_b64_e32 v[4:5], s[14:15]
	ds_write_b128 v1, v[2:5]
                                        ; implicit-def: $vgpr2
                                        ; implicit-def: $vgpr1
.LBB296_2:
	s_andn2_saveexec_b64 s[8:9], s[8:9]
	s_cbranch_execz .LBB296_4
; %bb.3:
	s_load_dwordx2 s[10:11], s[0:1], 0x10
	s_mul_i32 s4, s6, s3
	v_add_u32_e32 v2, s4, v2
	v_ashrrev_i32_e32 v3, 31, v2
	s_waitcnt lgkmcnt(0)
	v_lshl_add_u64 v[2:3], v[2:3], 4, s[10:11]
	global_load_dwordx4 v[2:5], v[2:3], off
	s_waitcnt vmcnt(0)
	ds_write2_b64 v1, v[2:3], v[4:5] offset1:1
.LBB296_4:
	s_or_b64 exec, exec, s[8:9]
	v_and_b32_e32 v3, 31, v0
	v_lshrrev_b32_e32 v2, 5, v0
	s_lshr_b32 s4, s5, 3
	v_lshl_or_b32 v0, s2, 5, v3
	v_mad_u64_u32 v[0:1], s[6:7], s4, v2, v[0:1]
	v_cmp_gt_i32_e32 vcc, s5, v0
	s_waitcnt lgkmcnt(0)
	s_barrier
	s_and_saveexec_b64 s[6:7], vcc
	s_cbranch_execz .LBB296_6
; %bb.5:
	v_lshlrev_b32_e32 v1, 4, v2
	s_load_dwordx2 s[0:1], s[0:1], 0x18
	v_lshl_or_b32 v1, v3, 7, v1
	ds_read2_b64 v[2:5], v1 offset1:1
	s_mul_i32 s2, s5, s3
	v_add_u32_e32 v0, s2, v0
	v_ashrrev_i32_e32 v1, 31, v0
	s_waitcnt lgkmcnt(0)
	v_lshl_add_u64 v[0:1], v[0:1], 4, s[0:1]
	global_store_dwordx4 v[0:1], v[2:5], off
.LBB296_6:
	s_endpgm
	.section	.rodata,"a",@progbits
	.p2align	6, 0x0
	.amdhsa_kernel _ZN9rocsparseL42gtsv_transpose_and_pad_array_shared_kernelILj256ELj8E21rocsparse_complex_numIdEEEviiiPKT1_PS3_S3_
		.amdhsa_group_segment_fixed_size 4096
		.amdhsa_private_segment_fixed_size 0
		.amdhsa_kernarg_size 48
		.amdhsa_user_sgpr_count 2
		.amdhsa_user_sgpr_dispatch_ptr 0
		.amdhsa_user_sgpr_queue_ptr 0
		.amdhsa_user_sgpr_kernarg_segment_ptr 1
		.amdhsa_user_sgpr_dispatch_id 0
		.amdhsa_user_sgpr_kernarg_preload_length 0
		.amdhsa_user_sgpr_kernarg_preload_offset 0
		.amdhsa_user_sgpr_private_segment_size 0
		.amdhsa_uses_dynamic_stack 0
		.amdhsa_enable_private_segment 0
		.amdhsa_system_sgpr_workgroup_id_x 1
		.amdhsa_system_sgpr_workgroup_id_y 1
		.amdhsa_system_sgpr_workgroup_id_z 0
		.amdhsa_system_sgpr_workgroup_info 0
		.amdhsa_system_vgpr_workitem_id 0
		.amdhsa_next_free_vgpr 6
		.amdhsa_next_free_sgpr 16
		.amdhsa_accum_offset 8
		.amdhsa_reserve_vcc 1
		.amdhsa_float_round_mode_32 0
		.amdhsa_float_round_mode_16_64 0
		.amdhsa_float_denorm_mode_32 3
		.amdhsa_float_denorm_mode_16_64 3
		.amdhsa_dx10_clamp 1
		.amdhsa_ieee_mode 1
		.amdhsa_fp16_overflow 0
		.amdhsa_tg_split 0
		.amdhsa_exception_fp_ieee_invalid_op 0
		.amdhsa_exception_fp_denorm_src 0
		.amdhsa_exception_fp_ieee_div_zero 0
		.amdhsa_exception_fp_ieee_overflow 0
		.amdhsa_exception_fp_ieee_underflow 0
		.amdhsa_exception_fp_ieee_inexact 0
		.amdhsa_exception_int_div_zero 0
	.end_amdhsa_kernel
	.section	.text._ZN9rocsparseL42gtsv_transpose_and_pad_array_shared_kernelILj256ELj8E21rocsparse_complex_numIdEEEviiiPKT1_PS3_S3_,"axG",@progbits,_ZN9rocsparseL42gtsv_transpose_and_pad_array_shared_kernelILj256ELj8E21rocsparse_complex_numIdEEEviiiPKT1_PS3_S3_,comdat
.Lfunc_end296:
	.size	_ZN9rocsparseL42gtsv_transpose_and_pad_array_shared_kernelILj256ELj8E21rocsparse_complex_numIdEEEviiiPKT1_PS3_S3_, .Lfunc_end296-_ZN9rocsparseL42gtsv_transpose_and_pad_array_shared_kernelILj256ELj8E21rocsparse_complex_numIdEEEviiiPKT1_PS3_S3_
                                        ; -- End function
	.set _ZN9rocsparseL42gtsv_transpose_and_pad_array_shared_kernelILj256ELj8E21rocsparse_complex_numIdEEEviiiPKT1_PS3_S3_.num_vgpr, 6
	.set _ZN9rocsparseL42gtsv_transpose_and_pad_array_shared_kernelILj256ELj8E21rocsparse_complex_numIdEEEviiiPKT1_PS3_S3_.num_agpr, 0
	.set _ZN9rocsparseL42gtsv_transpose_and_pad_array_shared_kernelILj256ELj8E21rocsparse_complex_numIdEEEviiiPKT1_PS3_S3_.numbered_sgpr, 16
	.set _ZN9rocsparseL42gtsv_transpose_and_pad_array_shared_kernelILj256ELj8E21rocsparse_complex_numIdEEEviiiPKT1_PS3_S3_.num_named_barrier, 0
	.set _ZN9rocsparseL42gtsv_transpose_and_pad_array_shared_kernelILj256ELj8E21rocsparse_complex_numIdEEEviiiPKT1_PS3_S3_.private_seg_size, 0
	.set _ZN9rocsparseL42gtsv_transpose_and_pad_array_shared_kernelILj256ELj8E21rocsparse_complex_numIdEEEviiiPKT1_PS3_S3_.uses_vcc, 1
	.set _ZN9rocsparseL42gtsv_transpose_and_pad_array_shared_kernelILj256ELj8E21rocsparse_complex_numIdEEEviiiPKT1_PS3_S3_.uses_flat_scratch, 0
	.set _ZN9rocsparseL42gtsv_transpose_and_pad_array_shared_kernelILj256ELj8E21rocsparse_complex_numIdEEEviiiPKT1_PS3_S3_.has_dyn_sized_stack, 0
	.set _ZN9rocsparseL42gtsv_transpose_and_pad_array_shared_kernelILj256ELj8E21rocsparse_complex_numIdEEEviiiPKT1_PS3_S3_.has_recursion, 0
	.set _ZN9rocsparseL42gtsv_transpose_and_pad_array_shared_kernelILj256ELj8E21rocsparse_complex_numIdEEEviiiPKT1_PS3_S3_.has_indirect_call, 0
	.section	.AMDGPU.csdata,"",@progbits
; Kernel info:
; codeLenInByte = 244
; TotalNumSgprs: 22
; NumVgprs: 6
; NumAgprs: 0
; TotalNumVgprs: 6
; ScratchSize: 0
; MemoryBound: 0
; FloatMode: 240
; IeeeMode: 1
; LDSByteSize: 4096 bytes/workgroup (compile time only)
; SGPRBlocks: 2
; VGPRBlocks: 0
; NumSGPRsForWavesPerEU: 22
; NumVGPRsForWavesPerEU: 6
; AccumOffset: 8
; Occupancy: 8
; WaveLimiterHint : 0
; COMPUTE_PGM_RSRC2:SCRATCH_EN: 0
; COMPUTE_PGM_RSRC2:USER_SGPR: 2
; COMPUTE_PGM_RSRC2:TRAP_HANDLER: 0
; COMPUTE_PGM_RSRC2:TGID_X_EN: 1
; COMPUTE_PGM_RSRC2:TGID_Y_EN: 1
; COMPUTE_PGM_RSRC2:TGID_Z_EN: 0
; COMPUTE_PGM_RSRC2:TIDIG_COMP_CNT: 0
; COMPUTE_PGM_RSRC3_GFX90A:ACCUM_OFFSET: 1
; COMPUTE_PGM_RSRC3_GFX90A:TG_SPLIT: 0
	.section	.text._ZN9rocsparseL18gtsv_LBM_wv_kernelILj256ELj8E21rocsparse_complex_numIdEEEviiiPKT1_S5_S5_PS3_S6_S6_Pi,"axG",@progbits,_ZN9rocsparseL18gtsv_LBM_wv_kernelILj256ELj8E21rocsparse_complex_numIdEEEviiiPKT1_S5_S5_PS3_S6_S6_Pi,comdat
	.globl	_ZN9rocsparseL18gtsv_LBM_wv_kernelILj256ELj8E21rocsparse_complex_numIdEEEviiiPKT1_S5_S5_PS3_S6_S6_Pi ; -- Begin function _ZN9rocsparseL18gtsv_LBM_wv_kernelILj256ELj8E21rocsparse_complex_numIdEEEviiiPKT1_S5_S5_PS3_S6_S6_Pi
	.p2align	8
	.type	_ZN9rocsparseL18gtsv_LBM_wv_kernelILj256ELj8E21rocsparse_complex_numIdEEEviiiPKT1_S5_S5_PS3_S6_S6_Pi,@function
_ZN9rocsparseL18gtsv_LBM_wv_kernelILj256ELj8E21rocsparse_complex_numIdEEEviiiPKT1_S5_S5_PS3_S6_S6_Pi: ; @_ZN9rocsparseL18gtsv_LBM_wv_kernelILj256ELj8E21rocsparse_complex_numIdEEEviiiPKT1_S5_S5_PS3_S6_S6_Pi
; %bb.0:
	s_load_dword s29, s[0:1], 0x0
	v_lshl_or_b32 v40, s2, 8, v0
	s_waitcnt lgkmcnt(0)
	s_lshr_b32 s28, s29, 3
	v_cmp_gt_i32_e32 vcc, s28, v40
	s_and_saveexec_b64 s[2:3], vcc
	s_cbranch_execz .LBB297_72
; %bb.1:
	s_load_dwordx2 s[16:17], s[0:1], 0x10
	s_load_dwordx8 s[8:15], s[0:1], 0x20
	v_ashrrev_i32_e32 v41, 31, v40
	s_mul_i32 s30, s28, 7
	v_lshlrev_b64 v[8:9], 4, v[40:41]
	v_add_u32_e32 v10, s30, v40
	v_mov_b32_e32 v11, 0
	s_waitcnt lgkmcnt(0)
	v_lshl_add_u64 v[0:1], s[16:17], 0, v[8:9]
	v_lshlrev_b64 v[12:13], 4, v[10:11]
	global_load_dwordx4 v[0:3], v[0:1], off
	v_lshl_add_u64 v[4:5], s[8:9], 0, v[12:13]
	global_load_dwordx4 v[4:7], v[4:5], off
	s_load_dwordx2 s[6:7], s[0:1], 0x40
	s_cmp_lt_i32 s29, 1
	v_add_u32_e32 v58, s28, v40
	v_lshl_add_u64 v[42:43], s[10:11], 0, v[8:9]
	v_mov_b32_e32 v44, v11
	v_lshl_add_u64 v[8:9], s[12:13], 0, v[12:13]
	s_waitcnt vmcnt(1)
	global_store_dwordx4 v[42:43], v[0:3], off
	s_waitcnt vmcnt(1)
	global_store_dwordx4 v[8:9], v[4:7], off
	s_cbranch_scc1 .LBB297_65
; %bb.2:
	s_load_dwordx2 s[18:19], s[0:1], 0x18
	s_mov_b32 s22, 0
	s_mov_b32 s24, 0x372fe950
	s_mul_i32 s31, s28, 6
	s_lshl_b32 s33, s28, 1
	s_waitcnt lgkmcnt(0)
	v_lshl_add_u64 v[0:1], v[40:41], 4, s[18:19]
	global_load_dwordx4 v[0:3], v[0:1], off
	v_add_u32_e32 v41, s28, v58
	v_mov_b32_e32 v44, 0
	s_mov_b64 s[20:21], 0
	s_brev_b32 s23, 8
	v_mov_b32_e32 v59, 0x260
	s_mov_b32 s25, 0x3fe3c6ef
	v_mov_b32_e32 v60, 2
	v_mov_b32_e32 v61, 1
	v_mov_b32_e32 v62, 0x100
	v_mov_b32_e32 v63, 0xffffff80
	s_branch .LBB297_5
.LBB297_3:                              ;   in Loop: Header=BB297_5 Depth=1
	s_or_b64 exec, exec, s[4:5]
	v_mul_f64 v[4:5], v[2:3], -v[50:51]
	v_mul_f64 v[2:3], v[2:3], v[48:49]
	v_fmac_f64_e32 v[4:5], v[48:49], v[0:1]
	v_fmac_f64_e32 v[2:3], v[50:51], v[0:1]
	v_add_f64 v[0:1], v[8:9], -v[4:5]
	v_add_f64 v[2:3], v[10:11], -v[2:3]
	v_mov_b32_e32 v12, s28
.LBB297_4:                              ;   in Loop: Header=BB297_5 Depth=1
	s_or_b64 exec, exec, s[2:3]
	v_add_u32_e32 v44, v12, v44
	v_cmp_le_i32_e32 vcc, s29, v44
	s_or_b64 s[20:21], vcc, s[20:21]
	s_andn2_b64 exec, exec, s[20:21]
	s_cbranch_execz .LBB297_64
.LBB297_5:                              ; =>This Inner Loop Header: Depth=1
	v_add_u32_e32 v46, v44, v40
	v_ashrrev_i32_e32 v47, 31, v46
	v_lshl_add_u64 v[4:5], v[46:47], 4, s[8:9]
	global_load_dwordx4 v[16:19], v[4:5], off
	v_cmp_gt_u32_e64 s[0:1], s30, v44
	v_mov_b64_e32 v[8:9], 0
	v_mov_b64_e32 v[4:5], 0
	;; [unrolled: 1-line block ×3, first 2 shown]
	s_and_saveexec_b64 s[2:3], s[0:1]
	s_cbranch_execz .LBB297_7
; %bb.6:                                ;   in Loop: Header=BB297_5 Depth=1
	v_add_u32_e32 v4, v58, v44
	v_ashrrev_i32_e32 v5, 31, v4
	v_lshl_add_u64 v[4:5], v[4:5], 4, s[16:17]
	global_load_dwordx4 v[4:7], v[4:5], off
.LBB297_7:                              ;   in Loop: Header=BB297_5 Depth=1
	s_or_b64 exec, exec, s[2:3]
	v_mov_b64_e32 v[10:11], 0
	s_and_saveexec_b64 s[2:3], s[0:1]
	s_cbranch_execz .LBB297_9
; %bb.8:                                ;   in Loop: Header=BB297_5 Depth=1
	v_add_u32_e32 v8, v58, v44
	v_ashrrev_i32_e32 v9, 31, v8
	v_lshl_add_u64 v[8:9], v[8:9], 4, s[18:19]
	global_load_dwordx4 v[8:11], v[8:9], off
.LBB297_9:                              ;   in Loop: Header=BB297_5 Depth=1
	s_or_b64 exec, exec, s[2:3]
	v_mov_b64_e32 v[20:21], 0
	v_mov_b64_e32 v[12:13], 0
	;; [unrolled: 1-line block ×3, first 2 shown]
	s_and_saveexec_b64 s[2:3], s[0:1]
	s_cbranch_execz .LBB297_11
; %bb.10:                               ;   in Loop: Header=BB297_5 Depth=1
	v_add_u32_e32 v12, v58, v44
	v_ashrrev_i32_e32 v13, 31, v12
	v_lshl_add_u64 v[12:13], v[12:13], 4, s[8:9]
	global_load_dwordx4 v[12:15], v[12:13], off
.LBB297_11:                             ;   in Loop: Header=BB297_5 Depth=1
	s_or_b64 exec, exec, s[2:3]
	v_cmp_gt_u32_e64 s[2:3], s31, v44
	v_mov_b64_e32 v[22:23], 0
	s_and_saveexec_b64 s[4:5], s[2:3]
	s_cbranch_execz .LBB297_13
; %bb.12:                               ;   in Loop: Header=BB297_5 Depth=1
	v_add_u32_e32 v20, v41, v44
	v_ashrrev_i32_e32 v21, 31, v20
	v_lshl_add_u64 v[20:21], v[20:21], 4, s[16:17]
	global_load_dwordx4 v[20:23], v[20:21], off
.LBB297_13:                             ;   in Loop: Header=BB297_5 Depth=1
	s_or_b64 exec, exec, s[4:5]
	s_waitcnt vmcnt(0)
	v_xor_b32_e32 v24, 0x80000000, v5
	v_cmp_gt_f64_e32 vcc, 0, v[4:5]
	v_mov_b32_e32 v26, v4
	v_mov_b32_e32 v28, v6
	v_cndmask_b32_e32 v27, v5, v24, vcc
	v_xor_b32_e32 v24, 0x80000000, v7
	v_cmp_gt_f64_e32 vcc, 0, v[6:7]
	s_nop 1
	v_cndmask_b32_e32 v29, v7, v24, vcc
	v_cmp_ngt_f64_e32 vcc, v[26:27], v[28:29]
                                        ; implicit-def: $vgpr24_vgpr25
	s_and_saveexec_b64 s[4:5], vcc
	s_xor_b64 s[4:5], exec, s[4:5]
	s_cbranch_execz .LBB297_17
; %bb.14:                               ;   in Loop: Header=BB297_5 Depth=1
	v_mov_b64_e32 v[24:25], 0
	v_cmp_neq_f64_e32 vcc, 0, v[6:7]
	s_and_saveexec_b64 s[26:27], vcc
	s_cbranch_execz .LBB297_16
; %bb.15:                               ;   in Loop: Header=BB297_5 Depth=1
	v_div_scale_f64 v[24:25], s[34:35], v[28:29], v[28:29], v[26:27]
	v_rcp_f64_e32 v[30:31], v[24:25]
	v_div_scale_f64 v[32:33], vcc, v[26:27], v[28:29], v[26:27]
	v_fma_f64 v[34:35], -v[24:25], v[30:31], 1.0
	v_fmac_f64_e32 v[30:31], v[30:31], v[34:35]
	v_fma_f64 v[34:35], -v[24:25], v[30:31], 1.0
	v_fmac_f64_e32 v[30:31], v[30:31], v[34:35]
	v_mul_f64 v[34:35], v[32:33], v[30:31]
	v_fma_f64 v[24:25], -v[24:25], v[34:35], v[32:33]
	v_div_fmas_f64 v[24:25], v[24:25], v[30:31], v[34:35]
	v_div_fixup_f64 v[24:25], v[24:25], v[28:29], v[26:27]
	v_fma_f64 v[24:25], v[24:25], v[24:25], 1.0
	v_cmp_gt_f64_e32 vcc, s[22:23], v[24:25]
	s_nop 1
	v_cndmask_b32_e32 v26, 0, v62, vcc
	v_ldexp_f64 v[24:25], v[24:25], v26
	v_rsq_f64_e32 v[26:27], v[24:25]
	s_nop 0
	v_mul_f64 v[30:31], v[24:25], v[26:27]
	v_mul_f64 v[26:27], v[26:27], 0.5
	v_fma_f64 v[32:33], -v[26:27], v[30:31], 0.5
	v_fmac_f64_e32 v[30:31], v[30:31], v[32:33]
	v_fma_f64 v[34:35], -v[30:31], v[30:31], v[24:25]
	v_fmac_f64_e32 v[26:27], v[26:27], v[32:33]
	v_fmac_f64_e32 v[30:31], v[34:35], v[26:27]
	v_fma_f64 v[32:33], -v[30:31], v[30:31], v[24:25]
	v_fmac_f64_e32 v[30:31], v[32:33], v[26:27]
	v_cndmask_b32_e32 v26, 0, v63, vcc
	v_ldexp_f64 v[26:27], v[30:31], v26
	v_cmp_class_f64_e32 vcc, v[24:25], v59
	s_nop 1
	v_cndmask_b32_e32 v25, v27, v25, vcc
	v_cndmask_b32_e32 v24, v26, v24, vcc
	v_mul_f64 v[24:25], v[28:29], v[24:25]
.LBB297_16:                             ;   in Loop: Header=BB297_5 Depth=1
	s_or_b64 exec, exec, s[26:27]
                                        ; implicit-def: $vgpr26_vgpr27
                                        ; implicit-def: $vgpr28_vgpr29
.LBB297_17:                             ;   in Loop: Header=BB297_5 Depth=1
	s_andn2_saveexec_b64 s[4:5], s[4:5]
	s_cbranch_execz .LBB297_19
; %bb.18:                               ;   in Loop: Header=BB297_5 Depth=1
	v_div_scale_f64 v[24:25], s[26:27], v[26:27], v[26:27], v[28:29]
	v_rcp_f64_e32 v[30:31], v[24:25]
	v_div_scale_f64 v[32:33], vcc, v[28:29], v[26:27], v[28:29]
	v_fma_f64 v[34:35], -v[24:25], v[30:31], 1.0
	v_fmac_f64_e32 v[30:31], v[30:31], v[34:35]
	v_fma_f64 v[34:35], -v[24:25], v[30:31], 1.0
	v_fmac_f64_e32 v[30:31], v[30:31], v[34:35]
	v_mul_f64 v[34:35], v[32:33], v[30:31]
	v_fma_f64 v[24:25], -v[24:25], v[34:35], v[32:33]
	v_div_fmas_f64 v[24:25], v[24:25], v[30:31], v[34:35]
	v_div_fixup_f64 v[24:25], v[24:25], v[26:27], v[28:29]
	v_fma_f64 v[24:25], v[24:25], v[24:25], 1.0
	v_cmp_gt_f64_e32 vcc, s[22:23], v[24:25]
	s_nop 1
	v_cndmask_b32_e32 v28, 0, v62, vcc
	v_ldexp_f64 v[24:25], v[24:25], v28
	v_rsq_f64_e32 v[28:29], v[24:25]
	s_nop 0
	v_mul_f64 v[30:31], v[24:25], v[28:29]
	v_mul_f64 v[28:29], v[28:29], 0.5
	v_fma_f64 v[32:33], -v[28:29], v[30:31], 0.5
	v_fmac_f64_e32 v[30:31], v[30:31], v[32:33]
	v_fma_f64 v[34:35], -v[30:31], v[30:31], v[24:25]
	v_fmac_f64_e32 v[28:29], v[28:29], v[32:33]
	v_fmac_f64_e32 v[30:31], v[34:35], v[28:29]
	v_fma_f64 v[32:33], -v[30:31], v[30:31], v[24:25]
	v_fmac_f64_e32 v[30:31], v[32:33], v[28:29]
	v_cndmask_b32_e32 v28, 0, v63, vcc
	v_ldexp_f64 v[28:29], v[30:31], v28
	v_cmp_class_f64_e32 vcc, v[24:25], v59
	s_nop 1
	v_cndmask_b32_e32 v25, v29, v25, vcc
	v_cndmask_b32_e32 v24, v28, v24, vcc
	v_mul_f64 v[24:25], v[26:27], v[24:25]
.LBB297_19:                             ;   in Loop: Header=BB297_5 Depth=1
	s_or_b64 exec, exec, s[4:5]
	v_xor_b32_e32 v26, 0x80000000, v21
	v_cmp_gt_f64_e32 vcc, 0, v[20:21]
	v_mov_b32_e32 v28, v20
	v_mov_b32_e32 v30, v22
	v_cndmask_b32_e32 v29, v21, v26, vcc
	v_xor_b32_e32 v26, 0x80000000, v23
	v_cmp_gt_f64_e32 vcc, 0, v[22:23]
	s_nop 1
	v_cndmask_b32_e32 v31, v23, v26, vcc
	v_cmp_ngt_f64_e32 vcc, v[28:29], v[30:31]
                                        ; implicit-def: $vgpr26_vgpr27
	s_and_saveexec_b64 s[4:5], vcc
	s_xor_b64 s[4:5], exec, s[4:5]
	s_cbranch_execz .LBB297_23
; %bb.20:                               ;   in Loop: Header=BB297_5 Depth=1
	v_mov_b64_e32 v[26:27], 0
	v_cmp_neq_f64_e32 vcc, 0, v[22:23]
	s_and_saveexec_b64 s[26:27], vcc
	s_cbranch_execz .LBB297_22
; %bb.21:                               ;   in Loop: Header=BB297_5 Depth=1
	v_div_scale_f64 v[26:27], s[34:35], v[30:31], v[30:31], v[28:29]
	v_rcp_f64_e32 v[32:33], v[26:27]
	v_div_scale_f64 v[34:35], vcc, v[28:29], v[30:31], v[28:29]
	v_fma_f64 v[36:37], -v[26:27], v[32:33], 1.0
	v_fmac_f64_e32 v[32:33], v[32:33], v[36:37]
	v_fma_f64 v[36:37], -v[26:27], v[32:33], 1.0
	v_fmac_f64_e32 v[32:33], v[32:33], v[36:37]
	v_mul_f64 v[36:37], v[34:35], v[32:33]
	v_fma_f64 v[26:27], -v[26:27], v[36:37], v[34:35]
	v_div_fmas_f64 v[26:27], v[26:27], v[32:33], v[36:37]
	v_div_fixup_f64 v[26:27], v[26:27], v[30:31], v[28:29]
	v_fma_f64 v[26:27], v[26:27], v[26:27], 1.0
	v_cmp_gt_f64_e32 vcc, s[22:23], v[26:27]
	s_nop 1
	v_cndmask_b32_e32 v28, 0, v62, vcc
	v_ldexp_f64 v[26:27], v[26:27], v28
	v_rsq_f64_e32 v[28:29], v[26:27]
	s_nop 0
	v_mul_f64 v[32:33], v[26:27], v[28:29]
	v_mul_f64 v[28:29], v[28:29], 0.5
	v_fma_f64 v[34:35], -v[28:29], v[32:33], 0.5
	v_fmac_f64_e32 v[32:33], v[32:33], v[34:35]
	v_fma_f64 v[36:37], -v[32:33], v[32:33], v[26:27]
	v_fmac_f64_e32 v[28:29], v[28:29], v[34:35]
	v_fmac_f64_e32 v[32:33], v[36:37], v[28:29]
	v_fma_f64 v[34:35], -v[32:33], v[32:33], v[26:27]
	v_fmac_f64_e32 v[32:33], v[34:35], v[28:29]
	v_cndmask_b32_e32 v28, 0, v63, vcc
	v_ldexp_f64 v[28:29], v[32:33], v28
	v_cmp_class_f64_e32 vcc, v[26:27], v59
	s_nop 1
	v_cndmask_b32_e32 v27, v29, v27, vcc
	v_cndmask_b32_e32 v26, v28, v26, vcc
	v_mul_f64 v[26:27], v[30:31], v[26:27]
.LBB297_22:                             ;   in Loop: Header=BB297_5 Depth=1
	s_or_b64 exec, exec, s[26:27]
                                        ; implicit-def: $vgpr28_vgpr29
                                        ; implicit-def: $vgpr30_vgpr31
.LBB297_23:                             ;   in Loop: Header=BB297_5 Depth=1
	s_andn2_saveexec_b64 s[4:5], s[4:5]
	s_cbranch_execz .LBB297_25
; %bb.24:                               ;   in Loop: Header=BB297_5 Depth=1
	v_div_scale_f64 v[26:27], s[26:27], v[28:29], v[28:29], v[30:31]
	v_rcp_f64_e32 v[32:33], v[26:27]
	v_div_scale_f64 v[34:35], vcc, v[30:31], v[28:29], v[30:31]
	v_fma_f64 v[36:37], -v[26:27], v[32:33], 1.0
	v_fmac_f64_e32 v[32:33], v[32:33], v[36:37]
	v_fma_f64 v[36:37], -v[26:27], v[32:33], 1.0
	v_fmac_f64_e32 v[32:33], v[32:33], v[36:37]
	v_mul_f64 v[36:37], v[34:35], v[32:33]
	v_fma_f64 v[26:27], -v[26:27], v[36:37], v[34:35]
	v_div_fmas_f64 v[26:27], v[26:27], v[32:33], v[36:37]
	v_div_fixup_f64 v[26:27], v[26:27], v[28:29], v[30:31]
	v_fma_f64 v[26:27], v[26:27], v[26:27], 1.0
	v_cmp_gt_f64_e32 vcc, s[22:23], v[26:27]
	s_nop 1
	v_cndmask_b32_e32 v30, 0, v62, vcc
	v_ldexp_f64 v[26:27], v[26:27], v30
	v_rsq_f64_e32 v[30:31], v[26:27]
	s_nop 0
	v_mul_f64 v[32:33], v[26:27], v[30:31]
	v_mul_f64 v[30:31], v[30:31], 0.5
	v_fma_f64 v[34:35], -v[30:31], v[32:33], 0.5
	v_fmac_f64_e32 v[32:33], v[32:33], v[34:35]
	v_fma_f64 v[36:37], -v[32:33], v[32:33], v[26:27]
	v_fmac_f64_e32 v[30:31], v[30:31], v[34:35]
	v_fmac_f64_e32 v[32:33], v[36:37], v[30:31]
	v_fma_f64 v[34:35], -v[32:33], v[32:33], v[26:27]
	v_fmac_f64_e32 v[32:33], v[34:35], v[30:31]
	v_cndmask_b32_e32 v30, 0, v63, vcc
	v_ldexp_f64 v[30:31], v[32:33], v30
	v_cmp_class_f64_e32 vcc, v[26:27], v59
	s_nop 1
	v_cndmask_b32_e32 v27, v31, v27, vcc
	v_cndmask_b32_e32 v26, v30, v26, vcc
	v_mul_f64 v[26:27], v[28:29], v[26:27]
.LBB297_25:                             ;   in Loop: Header=BB297_5 Depth=1
	s_or_b64 exec, exec, s[4:5]
	v_xor_b32_e32 v28, 0x80000000, v9
	v_cmp_gt_f64_e32 vcc, 0, v[8:9]
	v_mov_b32_e32 v30, v8
	v_mov_b32_e32 v32, v10
	v_cndmask_b32_e32 v31, v9, v28, vcc
	v_xor_b32_e32 v28, 0x80000000, v11
	v_cmp_gt_f64_e32 vcc, 0, v[10:11]
	s_nop 1
	v_cndmask_b32_e32 v33, v11, v28, vcc
	v_cmp_ngt_f64_e32 vcc, v[30:31], v[32:33]
                                        ; implicit-def: $vgpr28_vgpr29
	s_and_saveexec_b64 s[4:5], vcc
	s_xor_b64 s[4:5], exec, s[4:5]
	s_cbranch_execz .LBB297_29
; %bb.26:                               ;   in Loop: Header=BB297_5 Depth=1
	v_mov_b64_e32 v[28:29], 0
	v_cmp_neq_f64_e32 vcc, 0, v[10:11]
	s_and_saveexec_b64 s[26:27], vcc
	s_cbranch_execz .LBB297_28
; %bb.27:                               ;   in Loop: Header=BB297_5 Depth=1
	v_div_scale_f64 v[28:29], s[34:35], v[32:33], v[32:33], v[30:31]
	v_rcp_f64_e32 v[34:35], v[28:29]
	v_div_scale_f64 v[36:37], vcc, v[30:31], v[32:33], v[30:31]
	v_fma_f64 v[38:39], -v[28:29], v[34:35], 1.0
	v_fmac_f64_e32 v[34:35], v[34:35], v[38:39]
	v_fma_f64 v[38:39], -v[28:29], v[34:35], 1.0
	v_fmac_f64_e32 v[34:35], v[34:35], v[38:39]
	v_mul_f64 v[38:39], v[36:37], v[34:35]
	v_fma_f64 v[28:29], -v[28:29], v[38:39], v[36:37]
	v_div_fmas_f64 v[28:29], v[28:29], v[34:35], v[38:39]
	v_div_fixup_f64 v[28:29], v[28:29], v[32:33], v[30:31]
	v_fma_f64 v[28:29], v[28:29], v[28:29], 1.0
	v_cmp_gt_f64_e32 vcc, s[22:23], v[28:29]
	s_nop 1
	v_cndmask_b32_e32 v30, 0, v62, vcc
	v_ldexp_f64 v[28:29], v[28:29], v30
	v_rsq_f64_e32 v[30:31], v[28:29]
	s_nop 0
	v_mul_f64 v[34:35], v[28:29], v[30:31]
	v_mul_f64 v[30:31], v[30:31], 0.5
	v_fma_f64 v[36:37], -v[30:31], v[34:35], 0.5
	v_fmac_f64_e32 v[34:35], v[34:35], v[36:37]
	v_fma_f64 v[38:39], -v[34:35], v[34:35], v[28:29]
	v_fmac_f64_e32 v[30:31], v[30:31], v[36:37]
	v_fmac_f64_e32 v[34:35], v[38:39], v[30:31]
	v_fma_f64 v[36:37], -v[34:35], v[34:35], v[28:29]
	v_fmac_f64_e32 v[34:35], v[36:37], v[30:31]
	v_cndmask_b32_e32 v30, 0, v63, vcc
	v_ldexp_f64 v[30:31], v[34:35], v30
	v_cmp_class_f64_e32 vcc, v[28:29], v59
	s_nop 1
	v_cndmask_b32_e32 v29, v31, v29, vcc
	v_cndmask_b32_e32 v28, v30, v28, vcc
	v_mul_f64 v[28:29], v[32:33], v[28:29]
.LBB297_28:                             ;   in Loop: Header=BB297_5 Depth=1
	s_or_b64 exec, exec, s[26:27]
                                        ; implicit-def: $vgpr30_vgpr31
                                        ; implicit-def: $vgpr32_vgpr33
.LBB297_29:                             ;   in Loop: Header=BB297_5 Depth=1
	s_andn2_saveexec_b64 s[4:5], s[4:5]
	s_cbranch_execz .LBB297_31
; %bb.30:                               ;   in Loop: Header=BB297_5 Depth=1
	v_div_scale_f64 v[28:29], s[26:27], v[30:31], v[30:31], v[32:33]
	v_rcp_f64_e32 v[34:35], v[28:29]
	v_div_scale_f64 v[36:37], vcc, v[32:33], v[30:31], v[32:33]
	v_fma_f64 v[38:39], -v[28:29], v[34:35], 1.0
	v_fmac_f64_e32 v[34:35], v[34:35], v[38:39]
	v_fma_f64 v[38:39], -v[28:29], v[34:35], 1.0
	v_fmac_f64_e32 v[34:35], v[34:35], v[38:39]
	v_mul_f64 v[38:39], v[36:37], v[34:35]
	v_fma_f64 v[28:29], -v[28:29], v[38:39], v[36:37]
	v_div_fmas_f64 v[28:29], v[28:29], v[34:35], v[38:39]
	v_div_fixup_f64 v[28:29], v[28:29], v[30:31], v[32:33]
	v_fma_f64 v[28:29], v[28:29], v[28:29], 1.0
	v_cmp_gt_f64_e32 vcc, s[22:23], v[28:29]
	s_nop 1
	v_cndmask_b32_e32 v32, 0, v62, vcc
	v_ldexp_f64 v[28:29], v[28:29], v32
	v_rsq_f64_e32 v[32:33], v[28:29]
	s_nop 0
	v_mul_f64 v[34:35], v[28:29], v[32:33]
	v_mul_f64 v[32:33], v[32:33], 0.5
	v_fma_f64 v[36:37], -v[32:33], v[34:35], 0.5
	v_fmac_f64_e32 v[34:35], v[34:35], v[36:37]
	v_fma_f64 v[38:39], -v[34:35], v[34:35], v[28:29]
	v_fmac_f64_e32 v[32:33], v[32:33], v[36:37]
	v_fmac_f64_e32 v[34:35], v[38:39], v[32:33]
	v_fma_f64 v[36:37], -v[34:35], v[34:35], v[28:29]
	v_fmac_f64_e32 v[34:35], v[36:37], v[32:33]
	v_cndmask_b32_e32 v32, 0, v63, vcc
	v_ldexp_f64 v[32:33], v[34:35], v32
	v_cmp_class_f64_e32 vcc, v[28:29], v59
	s_nop 1
	v_cndmask_b32_e32 v29, v33, v29, vcc
	v_cndmask_b32_e32 v28, v32, v28, vcc
	v_mul_f64 v[28:29], v[30:31], v[28:29]
.LBB297_31:                             ;   in Loop: Header=BB297_5 Depth=1
	s_or_b64 exec, exec, s[4:5]
	v_xor_b32_e32 v30, 0x80000000, v17
	v_cmp_gt_f64_e32 vcc, 0, v[16:17]
	v_mov_b32_e32 v32, v16
	v_mov_b32_e32 v34, v18
	v_cndmask_b32_e32 v33, v17, v30, vcc
	v_xor_b32_e32 v30, 0x80000000, v19
	v_cmp_gt_f64_e32 vcc, 0, v[18:19]
	s_nop 1
	v_cndmask_b32_e32 v35, v19, v30, vcc
	v_cmp_ngt_f64_e32 vcc, v[32:33], v[34:35]
                                        ; implicit-def: $vgpr30_vgpr31
	s_and_saveexec_b64 s[4:5], vcc
	s_xor_b64 s[4:5], exec, s[4:5]
	s_cbranch_execz .LBB297_35
; %bb.32:                               ;   in Loop: Header=BB297_5 Depth=1
	v_mov_b64_e32 v[30:31], 0
	v_cmp_neq_f64_e32 vcc, 0, v[18:19]
	s_and_saveexec_b64 s[26:27], vcc
	s_cbranch_execz .LBB297_34
; %bb.33:                               ;   in Loop: Header=BB297_5 Depth=1
	v_div_scale_f64 v[30:31], s[34:35], v[34:35], v[34:35], v[32:33]
	v_rcp_f64_e32 v[36:37], v[30:31]
	v_div_scale_f64 v[38:39], vcc, v[32:33], v[34:35], v[32:33]
	v_fma_f64 v[48:49], -v[30:31], v[36:37], 1.0
	v_fmac_f64_e32 v[36:37], v[36:37], v[48:49]
	v_fma_f64 v[48:49], -v[30:31], v[36:37], 1.0
	v_fmac_f64_e32 v[36:37], v[36:37], v[48:49]
	v_mul_f64 v[48:49], v[38:39], v[36:37]
	v_fma_f64 v[30:31], -v[30:31], v[48:49], v[38:39]
	v_div_fmas_f64 v[30:31], v[30:31], v[36:37], v[48:49]
	v_div_fixup_f64 v[30:31], v[30:31], v[34:35], v[32:33]
	v_fma_f64 v[30:31], v[30:31], v[30:31], 1.0
	v_cmp_gt_f64_e32 vcc, s[22:23], v[30:31]
	s_nop 1
	v_cndmask_b32_e32 v32, 0, v62, vcc
	v_ldexp_f64 v[30:31], v[30:31], v32
	v_rsq_f64_e32 v[32:33], v[30:31]
	s_nop 0
	v_mul_f64 v[36:37], v[30:31], v[32:33]
	v_mul_f64 v[32:33], v[32:33], 0.5
	v_fma_f64 v[38:39], -v[32:33], v[36:37], 0.5
	v_fmac_f64_e32 v[36:37], v[36:37], v[38:39]
	v_fma_f64 v[48:49], -v[36:37], v[36:37], v[30:31]
	v_fmac_f64_e32 v[32:33], v[32:33], v[38:39]
	v_fmac_f64_e32 v[36:37], v[48:49], v[32:33]
	v_fma_f64 v[38:39], -v[36:37], v[36:37], v[30:31]
	v_fmac_f64_e32 v[36:37], v[38:39], v[32:33]
	v_cndmask_b32_e32 v32, 0, v63, vcc
	v_ldexp_f64 v[32:33], v[36:37], v32
	v_cmp_class_f64_e32 vcc, v[30:31], v59
	s_nop 1
	v_cndmask_b32_e32 v31, v33, v31, vcc
	v_cndmask_b32_e32 v30, v32, v30, vcc
	v_mul_f64 v[30:31], v[34:35], v[30:31]
.LBB297_34:                             ;   in Loop: Header=BB297_5 Depth=1
	s_or_b64 exec, exec, s[26:27]
                                        ; implicit-def: $vgpr32_vgpr33
                                        ; implicit-def: $vgpr34_vgpr35
.LBB297_35:                             ;   in Loop: Header=BB297_5 Depth=1
	s_andn2_saveexec_b64 s[4:5], s[4:5]
	s_cbranch_execz .LBB297_37
; %bb.36:                               ;   in Loop: Header=BB297_5 Depth=1
	v_div_scale_f64 v[30:31], s[26:27], v[32:33], v[32:33], v[34:35]
	v_rcp_f64_e32 v[36:37], v[30:31]
	v_div_scale_f64 v[38:39], vcc, v[34:35], v[32:33], v[34:35]
	v_fma_f64 v[48:49], -v[30:31], v[36:37], 1.0
	v_fmac_f64_e32 v[36:37], v[36:37], v[48:49]
	v_fma_f64 v[48:49], -v[30:31], v[36:37], 1.0
	v_fmac_f64_e32 v[36:37], v[36:37], v[48:49]
	v_mul_f64 v[48:49], v[38:39], v[36:37]
	v_fma_f64 v[30:31], -v[30:31], v[48:49], v[38:39]
	v_div_fmas_f64 v[30:31], v[30:31], v[36:37], v[48:49]
	v_div_fixup_f64 v[30:31], v[30:31], v[32:33], v[34:35]
	v_fma_f64 v[30:31], v[30:31], v[30:31], 1.0
	v_cmp_gt_f64_e32 vcc, s[22:23], v[30:31]
	s_nop 1
	v_cndmask_b32_e32 v34, 0, v62, vcc
	v_ldexp_f64 v[30:31], v[30:31], v34
	v_rsq_f64_e32 v[34:35], v[30:31]
	s_nop 0
	v_mul_f64 v[36:37], v[30:31], v[34:35]
	v_mul_f64 v[34:35], v[34:35], 0.5
	v_fma_f64 v[38:39], -v[34:35], v[36:37], 0.5
	v_fmac_f64_e32 v[36:37], v[36:37], v[38:39]
	v_fma_f64 v[48:49], -v[36:37], v[36:37], v[30:31]
	v_fmac_f64_e32 v[34:35], v[34:35], v[38:39]
	v_fmac_f64_e32 v[36:37], v[48:49], v[34:35]
	v_fma_f64 v[38:39], -v[36:37], v[36:37], v[30:31]
	v_fmac_f64_e32 v[36:37], v[38:39], v[34:35]
	v_cndmask_b32_e32 v34, 0, v63, vcc
	v_ldexp_f64 v[34:35], v[36:37], v34
	v_cmp_class_f64_e32 vcc, v[30:31], v59
	s_nop 1
	v_cndmask_b32_e32 v31, v35, v31, vcc
	v_cndmask_b32_e32 v30, v34, v30, vcc
	v_mul_f64 v[30:31], v[32:33], v[30:31]
.LBB297_37:                             ;   in Loop: Header=BB297_5 Depth=1
	s_or_b64 exec, exec, s[4:5]
	v_xor_b32_e32 v32, 0x80000000, v13
	v_cmp_gt_f64_e32 vcc, 0, v[12:13]
	v_mov_b32_e32 v34, v12
	v_mov_b32_e32 v36, v14
	v_cndmask_b32_e32 v35, v13, v32, vcc
	v_xor_b32_e32 v32, 0x80000000, v15
	v_cmp_gt_f64_e32 vcc, 0, v[14:15]
	s_nop 1
	v_cndmask_b32_e32 v37, v15, v32, vcc
	v_cmp_ngt_f64_e32 vcc, v[34:35], v[36:37]
                                        ; implicit-def: $vgpr32_vgpr33
	s_and_saveexec_b64 s[4:5], vcc
	s_xor_b64 s[4:5], exec, s[4:5]
	s_cbranch_execz .LBB297_41
; %bb.38:                               ;   in Loop: Header=BB297_5 Depth=1
	v_mov_b64_e32 v[32:33], 0
	v_cmp_neq_f64_e32 vcc, 0, v[14:15]
	s_and_saveexec_b64 s[26:27], vcc
	s_cbranch_execz .LBB297_40
; %bb.39:                               ;   in Loop: Header=BB297_5 Depth=1
	v_div_scale_f64 v[32:33], s[34:35], v[36:37], v[36:37], v[34:35]
	v_rcp_f64_e32 v[38:39], v[32:33]
	v_div_scale_f64 v[48:49], vcc, v[34:35], v[36:37], v[34:35]
	v_fma_f64 v[50:51], -v[32:33], v[38:39], 1.0
	v_fmac_f64_e32 v[38:39], v[38:39], v[50:51]
	v_fma_f64 v[50:51], -v[32:33], v[38:39], 1.0
	v_fmac_f64_e32 v[38:39], v[38:39], v[50:51]
	v_mul_f64 v[50:51], v[48:49], v[38:39]
	v_fma_f64 v[32:33], -v[32:33], v[50:51], v[48:49]
	v_div_fmas_f64 v[32:33], v[32:33], v[38:39], v[50:51]
	v_div_fixup_f64 v[32:33], v[32:33], v[36:37], v[34:35]
	v_fma_f64 v[32:33], v[32:33], v[32:33], 1.0
	v_cmp_gt_f64_e32 vcc, s[22:23], v[32:33]
	s_nop 1
	v_cndmask_b32_e32 v34, 0, v62, vcc
	v_ldexp_f64 v[32:33], v[32:33], v34
	v_rsq_f64_e32 v[34:35], v[32:33]
	s_nop 0
	v_mul_f64 v[38:39], v[32:33], v[34:35]
	v_mul_f64 v[34:35], v[34:35], 0.5
	v_fma_f64 v[48:49], -v[34:35], v[38:39], 0.5
	v_fmac_f64_e32 v[38:39], v[38:39], v[48:49]
	v_fma_f64 v[50:51], -v[38:39], v[38:39], v[32:33]
	v_fmac_f64_e32 v[34:35], v[34:35], v[48:49]
	v_fmac_f64_e32 v[38:39], v[50:51], v[34:35]
	v_fma_f64 v[48:49], -v[38:39], v[38:39], v[32:33]
	v_fmac_f64_e32 v[38:39], v[48:49], v[34:35]
	v_cndmask_b32_e32 v34, 0, v63, vcc
	v_ldexp_f64 v[34:35], v[38:39], v34
	v_cmp_class_f64_e32 vcc, v[32:33], v59
	s_nop 1
	v_cndmask_b32_e32 v33, v35, v33, vcc
	v_cndmask_b32_e32 v32, v34, v32, vcc
	v_mul_f64 v[32:33], v[36:37], v[32:33]
.LBB297_40:                             ;   in Loop: Header=BB297_5 Depth=1
	s_or_b64 exec, exec, s[26:27]
                                        ; implicit-def: $vgpr34_vgpr35
                                        ; implicit-def: $vgpr36_vgpr37
.LBB297_41:                             ;   in Loop: Header=BB297_5 Depth=1
	s_andn2_saveexec_b64 s[4:5], s[4:5]
	s_cbranch_execz .LBB297_43
; %bb.42:                               ;   in Loop: Header=BB297_5 Depth=1
	v_div_scale_f64 v[32:33], s[26:27], v[34:35], v[34:35], v[36:37]
	v_rcp_f64_e32 v[38:39], v[32:33]
	v_div_scale_f64 v[48:49], vcc, v[36:37], v[34:35], v[36:37]
	v_fma_f64 v[50:51], -v[32:33], v[38:39], 1.0
	v_fmac_f64_e32 v[38:39], v[38:39], v[50:51]
	v_fma_f64 v[50:51], -v[32:33], v[38:39], 1.0
	v_fmac_f64_e32 v[38:39], v[38:39], v[50:51]
	v_mul_f64 v[50:51], v[48:49], v[38:39]
	v_fma_f64 v[32:33], -v[32:33], v[50:51], v[48:49]
	v_div_fmas_f64 v[32:33], v[32:33], v[38:39], v[50:51]
	v_div_fixup_f64 v[32:33], v[32:33], v[34:35], v[36:37]
	v_fma_f64 v[32:33], v[32:33], v[32:33], 1.0
	v_cmp_gt_f64_e32 vcc, s[22:23], v[32:33]
	s_nop 1
	v_cndmask_b32_e32 v36, 0, v62, vcc
	v_ldexp_f64 v[32:33], v[32:33], v36
	v_rsq_f64_e32 v[36:37], v[32:33]
	s_nop 0
	v_mul_f64 v[38:39], v[32:33], v[36:37]
	v_mul_f64 v[36:37], v[36:37], 0.5
	v_fma_f64 v[48:49], -v[36:37], v[38:39], 0.5
	v_fmac_f64_e32 v[38:39], v[38:39], v[48:49]
	v_fma_f64 v[50:51], -v[38:39], v[38:39], v[32:33]
	v_fmac_f64_e32 v[36:37], v[36:37], v[48:49]
	v_fmac_f64_e32 v[38:39], v[50:51], v[36:37]
	v_fma_f64 v[48:49], -v[38:39], v[38:39], v[32:33]
	v_fmac_f64_e32 v[38:39], v[48:49], v[36:37]
	v_cndmask_b32_e32 v36, 0, v63, vcc
	v_ldexp_f64 v[36:37], v[38:39], v36
	v_cmp_class_f64_e32 vcc, v[32:33], v59
	s_nop 1
	v_cndmask_b32_e32 v33, v37, v33, vcc
	v_cndmask_b32_e32 v32, v36, v32, vcc
	v_mul_f64 v[32:33], v[34:35], v[32:33]
.LBB297_43:                             ;   in Loop: Header=BB297_5 Depth=1
	s_or_b64 exec, exec, s[4:5]
	v_xor_b32_e32 v34, 0x80000000, v1
	v_cmp_gt_f64_e32 vcc, 0, v[0:1]
	v_mov_b32_e32 v36, v0
	v_mov_b32_e32 v38, v2
	v_cndmask_b32_e32 v37, v1, v34, vcc
	v_xor_b32_e32 v34, 0x80000000, v3
	v_cmp_gt_f64_e32 vcc, 0, v[2:3]
	s_nop 1
	v_cndmask_b32_e32 v39, v3, v34, vcc
	v_cmp_ngt_f64_e32 vcc, v[36:37], v[38:39]
                                        ; implicit-def: $vgpr34_vgpr35
	s_and_saveexec_b64 s[4:5], vcc
	s_xor_b64 s[4:5], exec, s[4:5]
	s_cbranch_execz .LBB297_47
; %bb.44:                               ;   in Loop: Header=BB297_5 Depth=1
	v_mov_b64_e32 v[34:35], 0
	v_cmp_neq_f64_e32 vcc, 0, v[2:3]
	s_and_saveexec_b64 s[26:27], vcc
	s_cbranch_execz .LBB297_46
; %bb.45:                               ;   in Loop: Header=BB297_5 Depth=1
	v_div_scale_f64 v[34:35], s[34:35], v[38:39], v[38:39], v[36:37]
	v_rcp_f64_e32 v[48:49], v[34:35]
	v_div_scale_f64 v[50:51], vcc, v[36:37], v[38:39], v[36:37]
	v_fma_f64 v[52:53], -v[34:35], v[48:49], 1.0
	v_fmac_f64_e32 v[48:49], v[48:49], v[52:53]
	v_fma_f64 v[52:53], -v[34:35], v[48:49], 1.0
	v_fmac_f64_e32 v[48:49], v[48:49], v[52:53]
	v_mul_f64 v[52:53], v[50:51], v[48:49]
	v_fma_f64 v[34:35], -v[34:35], v[52:53], v[50:51]
	v_div_fmas_f64 v[34:35], v[34:35], v[48:49], v[52:53]
	v_div_fixup_f64 v[34:35], v[34:35], v[38:39], v[36:37]
	v_fma_f64 v[34:35], v[34:35], v[34:35], 1.0
	v_cmp_gt_f64_e32 vcc, s[22:23], v[34:35]
	s_nop 1
	v_cndmask_b32_e32 v36, 0, v62, vcc
	v_ldexp_f64 v[34:35], v[34:35], v36
	v_rsq_f64_e32 v[36:37], v[34:35]
	s_nop 0
	v_mul_f64 v[48:49], v[34:35], v[36:37]
	v_mul_f64 v[36:37], v[36:37], 0.5
	v_fma_f64 v[50:51], -v[36:37], v[48:49], 0.5
	v_fmac_f64_e32 v[48:49], v[48:49], v[50:51]
	v_fma_f64 v[52:53], -v[48:49], v[48:49], v[34:35]
	v_fmac_f64_e32 v[36:37], v[36:37], v[50:51]
	v_fmac_f64_e32 v[48:49], v[52:53], v[36:37]
	v_fma_f64 v[50:51], -v[48:49], v[48:49], v[34:35]
	v_fmac_f64_e32 v[48:49], v[50:51], v[36:37]
	v_cndmask_b32_e32 v36, 0, v63, vcc
	v_ldexp_f64 v[36:37], v[48:49], v36
	v_cmp_class_f64_e32 vcc, v[34:35], v59
	s_nop 1
	v_cndmask_b32_e32 v35, v37, v35, vcc
	v_cndmask_b32_e32 v34, v36, v34, vcc
	v_mul_f64 v[34:35], v[38:39], v[34:35]
.LBB297_46:                             ;   in Loop: Header=BB297_5 Depth=1
	s_or_b64 exec, exec, s[26:27]
                                        ; implicit-def: $vgpr36_vgpr37
                                        ; implicit-def: $vgpr38_vgpr39
.LBB297_47:                             ;   in Loop: Header=BB297_5 Depth=1
	s_andn2_saveexec_b64 s[4:5], s[4:5]
	s_cbranch_execz .LBB297_49
; %bb.48:                               ;   in Loop: Header=BB297_5 Depth=1
	v_div_scale_f64 v[34:35], s[26:27], v[36:37], v[36:37], v[38:39]
	v_rcp_f64_e32 v[48:49], v[34:35]
	v_div_scale_f64 v[50:51], vcc, v[38:39], v[36:37], v[38:39]
	v_fma_f64 v[52:53], -v[34:35], v[48:49], 1.0
	v_fmac_f64_e32 v[48:49], v[48:49], v[52:53]
	v_fma_f64 v[52:53], -v[34:35], v[48:49], 1.0
	v_fmac_f64_e32 v[48:49], v[48:49], v[52:53]
	v_mul_f64 v[52:53], v[50:51], v[48:49]
	v_fma_f64 v[34:35], -v[34:35], v[52:53], v[50:51]
	v_div_fmas_f64 v[34:35], v[34:35], v[48:49], v[52:53]
	v_div_fixup_f64 v[34:35], v[34:35], v[36:37], v[38:39]
	v_fma_f64 v[34:35], v[34:35], v[34:35], 1.0
	v_cmp_gt_f64_e32 vcc, s[22:23], v[34:35]
	s_nop 1
	v_cndmask_b32_e32 v38, 0, v62, vcc
	v_ldexp_f64 v[34:35], v[34:35], v38
	v_rsq_f64_e32 v[38:39], v[34:35]
	s_nop 0
	v_mul_f64 v[48:49], v[34:35], v[38:39]
	v_mul_f64 v[38:39], v[38:39], 0.5
	v_fma_f64 v[50:51], -v[38:39], v[48:49], 0.5
	v_fmac_f64_e32 v[48:49], v[48:49], v[50:51]
	v_fma_f64 v[52:53], -v[48:49], v[48:49], v[34:35]
	v_fmac_f64_e32 v[38:39], v[38:39], v[50:51]
	v_fmac_f64_e32 v[48:49], v[52:53], v[38:39]
	v_fma_f64 v[50:51], -v[48:49], v[48:49], v[34:35]
	v_fmac_f64_e32 v[48:49], v[50:51], v[38:39]
	v_cndmask_b32_e32 v38, 0, v63, vcc
	v_ldexp_f64 v[38:39], v[48:49], v38
	v_cmp_class_f64_e32 vcc, v[34:35], v59
	s_nop 1
	v_cndmask_b32_e32 v35, v39, v35, vcc
	v_cndmask_b32_e32 v34, v38, v34, vcc
	v_mul_f64 v[34:35], v[36:37], v[34:35]
.LBB297_49:                             ;   in Loop: Header=BB297_5 Depth=1
	s_or_b64 exec, exec, s[4:5]
	v_mul_f64 v[48:49], v[18:19], -v[6:7]
	v_fmac_f64_e32 v[48:49], v[4:5], v[16:17]
	v_mul_f64 v[50:51], v[18:19], v[4:5]
	v_fmac_f64_e32 v[50:51], v[6:7], v[16:17]
	v_xor_b32_e32 v36, 0x80000000, v49
	v_cmp_gt_f64_e32 vcc, 0, v[48:49]
	v_xor_b32_e32 v38, 0x80000000, v51
                                        ; implicit-def: $vgpr52_vgpr53
	s_nop 0
	v_cndmask_b32_e32 v37, v49, v36, vcc
	v_cmp_gt_f64_e32 vcc, 0, v[50:51]
	v_mov_b32_e32 v36, v48
	s_nop 0
	v_cndmask_b32_e32 v39, v51, v38, vcc
	v_mov_b32_e32 v38, v50
	v_cmp_ngt_f64_e32 vcc, v[36:37], v[38:39]
	s_and_saveexec_b64 s[4:5], vcc
	s_xor_b64 s[4:5], exec, s[4:5]
	s_cbranch_execz .LBB297_53
; %bb.50:                               ;   in Loop: Header=BB297_5 Depth=1
	v_mov_b64_e32 v[52:53], 0
	v_cmp_neq_f64_e32 vcc, 0, v[50:51]
	s_and_saveexec_b64 s[26:27], vcc
	s_cbranch_execz .LBB297_52
; %bb.51:                               ;   in Loop: Header=BB297_5 Depth=1
	v_div_scale_f64 v[52:53], s[34:35], v[38:39], v[38:39], v[36:37]
	v_rcp_f64_e32 v[54:55], v[52:53]
	v_div_scale_f64 v[56:57], vcc, v[36:37], v[38:39], v[36:37]
	v_fma_f64 v[64:65], -v[52:53], v[54:55], 1.0
	v_fmac_f64_e32 v[54:55], v[54:55], v[64:65]
	v_fma_f64 v[64:65], -v[52:53], v[54:55], 1.0
	v_fmac_f64_e32 v[54:55], v[54:55], v[64:65]
	v_mul_f64 v[64:65], v[56:57], v[54:55]
	v_fma_f64 v[52:53], -v[52:53], v[64:65], v[56:57]
	v_div_fmas_f64 v[52:53], v[52:53], v[54:55], v[64:65]
	v_div_fixup_f64 v[36:37], v[52:53], v[38:39], v[36:37]
	v_fma_f64 v[36:37], v[36:37], v[36:37], 1.0
	v_cmp_gt_f64_e32 vcc, s[22:23], v[36:37]
	s_nop 1
	v_cndmask_b32_e32 v45, 0, v62, vcc
	v_ldexp_f64 v[36:37], v[36:37], v45
	v_rsq_f64_e32 v[52:53], v[36:37]
	v_cndmask_b32_e32 v45, 0, v63, vcc
	v_cmp_class_f64_e32 vcc, v[36:37], v59
	v_mul_f64 v[54:55], v[36:37], v[52:53]
	v_mul_f64 v[52:53], v[52:53], 0.5
	v_fma_f64 v[56:57], -v[52:53], v[54:55], 0.5
	v_fmac_f64_e32 v[54:55], v[54:55], v[56:57]
	v_fma_f64 v[64:65], -v[54:55], v[54:55], v[36:37]
	v_fmac_f64_e32 v[52:53], v[52:53], v[56:57]
	v_fmac_f64_e32 v[54:55], v[64:65], v[52:53]
	v_fma_f64 v[56:57], -v[54:55], v[54:55], v[36:37]
	v_fmac_f64_e32 v[54:55], v[56:57], v[52:53]
	v_ldexp_f64 v[52:53], v[54:55], v45
	v_cndmask_b32_e32 v37, v53, v37, vcc
	v_cndmask_b32_e32 v36, v52, v36, vcc
	v_mul_f64 v[52:53], v[38:39], v[36:37]
.LBB297_52:                             ;   in Loop: Header=BB297_5 Depth=1
	s_or_b64 exec, exec, s[26:27]
                                        ; implicit-def: $vgpr36_vgpr37
                                        ; implicit-def: $vgpr38_vgpr39
.LBB297_53:                             ;   in Loop: Header=BB297_5 Depth=1
	s_andn2_saveexec_b64 s[4:5], s[4:5]
	s_cbranch_execz .LBB297_55
; %bb.54:                               ;   in Loop: Header=BB297_5 Depth=1
	v_div_scale_f64 v[52:53], s[26:27], v[36:37], v[36:37], v[38:39]
	v_rcp_f64_e32 v[54:55], v[52:53]
	v_div_scale_f64 v[56:57], vcc, v[38:39], v[36:37], v[38:39]
	v_fma_f64 v[64:65], -v[52:53], v[54:55], 1.0
	v_fmac_f64_e32 v[54:55], v[54:55], v[64:65]
	v_fma_f64 v[64:65], -v[52:53], v[54:55], 1.0
	v_fmac_f64_e32 v[54:55], v[54:55], v[64:65]
	v_mul_f64 v[64:65], v[56:57], v[54:55]
	v_fma_f64 v[52:53], -v[52:53], v[64:65], v[56:57]
	v_div_fmas_f64 v[52:53], v[52:53], v[54:55], v[64:65]
	v_div_fixup_f64 v[38:39], v[52:53], v[36:37], v[38:39]
	v_fma_f64 v[38:39], v[38:39], v[38:39], 1.0
	v_cmp_gt_f64_e32 vcc, s[22:23], v[38:39]
	s_nop 1
	v_cndmask_b32_e32 v45, 0, v62, vcc
	v_ldexp_f64 v[38:39], v[38:39], v45
	v_rsq_f64_e32 v[52:53], v[38:39]
	v_cndmask_b32_e32 v45, 0, v63, vcc
	v_cmp_class_f64_e32 vcc, v[38:39], v59
	v_mul_f64 v[54:55], v[38:39], v[52:53]
	v_mul_f64 v[52:53], v[52:53], 0.5
	v_fma_f64 v[56:57], -v[52:53], v[54:55], 0.5
	v_fmac_f64_e32 v[54:55], v[54:55], v[56:57]
	v_fma_f64 v[64:65], -v[54:55], v[54:55], v[38:39]
	v_fmac_f64_e32 v[52:53], v[52:53], v[56:57]
	v_fmac_f64_e32 v[54:55], v[64:65], v[52:53]
	v_fma_f64 v[56:57], -v[54:55], v[54:55], v[38:39]
	v_fmac_f64_e32 v[54:55], v[56:57], v[52:53]
	v_ldexp_f64 v[52:53], v[54:55], v45
	v_cndmask_b32_e32 v39, v53, v39, vcc
	v_cndmask_b32_e32 v38, v52, v38, vcc
	v_mul_f64 v[52:53], v[36:37], v[38:39]
.LBB297_55:                             ;   in Loop: Header=BB297_5 Depth=1
	s_or_b64 exec, exec, s[4:5]
	v_cmp_lt_f64_e32 vcc, v[24:25], v[26:27]
	v_cmp_ne_u32_e64 s[4:5], s30, v44
	s_nop 0
	v_cndmask_b32_e32 v25, v25, v27, vcc
	v_cndmask_b32_e32 v24, v24, v26, vcc
	v_cmp_lt_f64_e32 vcc, v[28:29], v[24:25]
	v_mul_f64 v[26:27], v[52:53], s[24:25]
	s_nop 0
	v_cndmask_b32_e32 v25, v29, v25, vcc
	v_cndmask_b32_e32 v24, v28, v24, vcc
	v_cmp_lt_f64_e32 vcc, v[30:31], v[24:25]
	s_nop 1
	v_cndmask_b32_e32 v25, v31, v25, vcc
	v_cndmask_b32_e32 v24, v30, v24, vcc
	v_cmp_lt_f64_e32 vcc, v[32:33], v[24:25]
	s_nop 1
	v_cndmask_b32_e32 v25, v33, v25, vcc
	v_cndmask_b32_e32 v24, v32, v24, vcc
	v_mul_f64 v[24:25], v[24:25], v[34:35]
	v_cmp_nge_f64_e32 vcc, v[24:25], v[26:27]
	s_and_b64 s[4:5], s[4:5], vcc
	s_and_saveexec_b64 s[26:27], s[4:5]
	s_xor_b64 s[4:5], exec, s[26:27]
	s_cbranch_execz .LBB297_61
; %bb.56:                               ;   in Loop: Header=BB297_5 Depth=1
	v_add_u32_e32 v52, v58, v44
	v_ashrrev_i32_e32 v45, 31, v44
	v_lshlrev_b64 v[64:65], 4, v[46:47]
	v_ashrrev_i32_e32 v53, 31, v52
	v_lshl_add_u64 v[68:69], v[44:45], 4, v[42:43]
	v_lshl_add_u64 v[70:71], s[12:13], 0, v[64:65]
	v_lshlrev_b64 v[36:37], 4, v[52:53]
	global_load_dwordx4 v[24:27], v[68:69], off
	global_load_dwordx4 v[32:35], v[70:71], off
	v_lshl_add_u64 v[56:57], s[10:11], 0, v[36:37]
	global_load_dwordx4 v[28:31], v[56:57], off
	v_lshl_add_u64 v[54:55], s[12:13], 0, v[36:37]
	global_load_dwordx4 v[36:39], v[54:55], off
	v_mul_f64 v[66:67], v[10:11], -v[2:3]
	v_mul_f64 v[72:73], v[0:1], v[10:11]
	v_fmac_f64_e32 v[66:67], v[0:1], v[8:9]
	v_fmac_f64_e32 v[72:73], v[2:3], v[8:9]
	v_lshl_add_u64 v[78:79], v[46:47], 2, s[6:7]
	v_add_f64 v[46:47], v[66:67], -v[48:49]
	v_add_f64 v[48:49], v[72:73], -v[50:51]
	v_mul_f64 v[50:51], v[48:49], v[48:49]
	v_fmac_f64_e32 v[50:51], v[46:47], v[46:47]
	v_div_scale_f64 v[66:67], s[26:27], v[50:51], v[50:51], 1.0
	v_rcp_f64_e32 v[72:73], v[66:67]
	v_lshl_add_u64 v[80:81], s[14:15], 0, v[64:65]
	v_fma_f64 v[64:65], 0, v[48:49], v[46:47]
	v_fma_f64 v[48:49], v[46:47], 0, -v[48:49]
	v_fma_f64 v[82:83], -v[66:67], v[72:73], 1.0
	v_fmac_f64_e32 v[72:73], v[72:73], v[82:83]
	v_fma_f64 v[82:83], -v[66:67], v[72:73], 1.0
	v_div_scale_f64 v[46:47], vcc, 1.0, v[50:51], 1.0
	v_fmac_f64_e32 v[72:73], v[72:73], v[82:83]
	v_mul_f64 v[82:83], v[46:47], v[72:73]
	v_fma_f64 v[46:47], -v[66:67], v[82:83], v[46:47]
	s_nop 0
	v_div_fmas_f64 v[46:47], v[46:47], v[72:73], v[82:83]
	v_mul_f64 v[74:75], v[18:19], v[14:15]
	v_mul_f64 v[76:77], v[14:15], -v[16:17]
	v_div_fixup_f64 v[50:51], v[46:47], v[50:51], 1.0
	v_fma_f64 v[74:75], -v[16:17], v[12:13], v[74:75]
	v_fma_f64 v[76:77], -v[18:19], v[12:13], v[76:77]
	v_mul_f64 v[48:49], v[48:49], v[50:51]
	v_mul_f64 v[46:47], v[64:65], v[50:51]
	v_mul_f64 v[64:65], v[48:49], -v[76:77]
	v_mul_f64 v[66:67], v[48:49], v[74:75]
	v_fmac_f64_e32 v[64:65], v[74:75], v[46:47]
	v_fmac_f64_e32 v[66:67], v[76:77], v[46:47]
	global_store_dwordx4 v[80:81], v[64:67], off
	s_waitcnt vmcnt(4)
	v_mul_f64 v[50:51], v[26:27], -v[10:11]
	v_mul_f64 v[64:65], v[8:9], v[26:27]
	s_waitcnt vmcnt(3)
	v_mul_f64 v[66:67], v[34:35], -v[10:11]
	v_mul_f64 v[72:73], v[8:9], v[34:35]
	v_fmac_f64_e32 v[50:51], v[8:9], v[24:25]
	v_fmac_f64_e32 v[64:65], v[10:11], v[24:25]
	;; [unrolled: 1-line block ×4, first 2 shown]
	s_waitcnt vmcnt(2)
	v_mul_f64 v[8:9], v[30:31], -v[18:19]
	v_mul_f64 v[10:11], v[16:17], v[30:31]
	s_waitcnt vmcnt(1)
	v_mul_f64 v[74:75], v[38:39], -v[18:19]
	v_mul_f64 v[76:77], v[16:17], v[38:39]
	v_fmac_f64_e32 v[8:9], v[16:17], v[28:29]
	v_fmac_f64_e32 v[10:11], v[18:19], v[28:29]
	;; [unrolled: 1-line block ×4, first 2 shown]
	v_add_f64 v[50:51], v[50:51], -v[8:9]
	v_add_f64 v[64:65], v[64:65], -v[10:11]
	;; [unrolled: 1-line block ×4, first 2 shown]
	v_mul_f64 v[8:9], v[48:49], -v[64:65]
	v_mul_f64 v[10:11], v[48:49], v[50:51]
	v_mul_f64 v[16:17], v[48:49], -v[72:73]
	v_mul_f64 v[18:19], v[48:49], v[66:67]
	v_fmac_f64_e32 v[8:9], v[50:51], v[46:47]
	v_fmac_f64_e32 v[10:11], v[64:65], v[46:47]
	;; [unrolled: 1-line block ×4, first 2 shown]
	global_store_dwordx4 v[68:69], v[8:11], off
	global_store_dwordx4 v[70:71], v[16:19], off
	global_store_dword v[78:79], v60, off
	s_and_saveexec_b64 s[26:27], s[0:1]
	s_cbranch_execz .LBB297_58
; %bb.57:                               ;   in Loop: Header=BB297_5 Depth=1
	v_mul_f64 v[8:9], v[6:7], v[26:27]
	v_mul_f64 v[10:11], v[26:27], -v[4:5]
	v_mul_f64 v[16:17], v[30:31], -v[2:3]
	v_mul_f64 v[18:19], v[0:1], v[30:31]
	v_fma_f64 v[8:9], -v[4:5], v[24:25], v[8:9]
	v_fma_f64 v[10:11], -v[6:7], v[24:25], v[10:11]
	v_fmac_f64_e32 v[16:17], v[0:1], v[28:29]
	v_fmac_f64_e32 v[18:19], v[2:3], v[28:29]
	v_add_f64 v[16:17], v[8:9], v[16:17]
	v_add_f64 v[18:19], v[10:11], v[18:19]
	v_mul_f64 v[8:9], v[48:49], -v[18:19]
	v_mul_f64 v[10:11], v[48:49], v[16:17]
	v_fmac_f64_e32 v[8:9], v[16:17], v[46:47]
	v_fmac_f64_e32 v[10:11], v[18:19], v[46:47]
	global_store_dwordx4 v[56:57], v[8:11], off
	v_mul_f64 v[16:17], v[38:39], -v[2:3]
	v_mul_f64 v[18:19], v[0:1], v[38:39]
	v_mul_f64 v[8:9], v[6:7], v[34:35]
	v_mul_f64 v[10:11], v[34:35], -v[4:5]
	v_fma_f64 v[8:9], -v[4:5], v[32:33], v[8:9]
	v_fma_f64 v[10:11], -v[6:7], v[32:33], v[10:11]
	v_fmac_f64_e32 v[16:17], v[0:1], v[36:37]
	v_fmac_f64_e32 v[18:19], v[2:3], v[36:37]
	v_add_f64 v[16:17], v[8:9], v[16:17]
	v_add_f64 v[18:19], v[10:11], v[18:19]
	v_mul_f64 v[8:9], v[48:49], -v[18:19]
	v_mul_f64 v[10:11], v[48:49], v[16:17]
	v_fmac_f64_e32 v[8:9], v[16:17], v[46:47]
	v_fmac_f64_e32 v[10:11], v[18:19], v[46:47]
	v_mul_f64 v[16:17], v[0:1], v[14:15]
	global_store_dwordx4 v[54:55], v[8:11], off
	v_fmac_f64_e32 v[16:17], v[2:3], v[12:13]
	s_nop 0
	v_mul_f64 v[10:11], v[14:15], -v[2:3]
	v_fmac_f64_e32 v[10:11], v[0:1], v[12:13]
	v_mul_f64 v[8:9], v[48:49], -v[16:17]
	v_fmac_f64_e32 v[8:9], v[10:11], v[46:47]
	v_mul_f64 v[10:11], v[48:49], v[10:11]
	v_fmac_f64_e32 v[10:11], v[16:17], v[46:47]
	v_lshl_add_u64 v[16:17], v[52:53], 4, s[14:15]
	global_store_dwordx4 v[16:17], v[8:11], off
	s_nop 1
	v_lshl_add_u64 v[8:9], v[52:53], 2, s[6:7]
	global_store_dword v[8:9], v60, off
.LBB297_58:                             ;   in Loop: Header=BB297_5 Depth=1
	s_or_b64 exec, exec, s[26:27]
	v_mov_b64_e32 v[10:11], 0
	v_mov_b64_e32 v[8:9], 0
	s_and_saveexec_b64 s[26:27], s[2:3]
	s_cbranch_execz .LBB297_60
; %bb.59:                               ;   in Loop: Header=BB297_5 Depth=1
	v_add_u32_e32 v8, v41, v44
	v_ashrrev_i32_e32 v9, 31, v8
	v_lshlrev_b64 v[16:17], 4, v[8:9]
	v_lshl_add_u64 v[32:33], s[10:11], 0, v[16:17]
	v_lshl_add_u64 v[16:17], s[18:19], 0, v[16:17]
	global_load_dwordx4 v[8:11], v[32:33], off
	v_mul_f64 v[34:35], v[6:7], v[22:23]
	global_load_dwordx4 v[16:19], v[16:17], off
	v_mul_f64 v[36:37], v[22:23], -v[4:5]
	v_mul_f64 v[38:39], v[22:23], -v[2:3]
	v_mul_f64 v[50:51], v[0:1], v[22:23]
	v_mul_f64 v[52:53], v[2:3], -v[22:23]
	v_mul_f64 v[54:55], v[2:3], v[20:21]
	v_fma_f64 v[4:5], -v[4:5], v[20:21], v[34:35]
	v_fma_f64 v[6:7], -v[6:7], v[20:21], v[36:37]
	v_fmac_f64_e32 v[38:39], v[0:1], v[20:21]
	v_fmac_f64_e32 v[50:51], v[2:3], v[20:21]
	;; [unrolled: 1-line block ×4, first 2 shown]
	v_mul_f64 v[0:1], v[48:49], -v[6:7]
	v_mul_f64 v[2:3], v[48:49], v[4:5]
	v_mul_f64 v[20:21], v[48:49], -v[50:51]
	v_mul_f64 v[22:23], v[48:49], v[38:39]
	;; [unrolled: 2-line block ×3, first 2 shown]
	v_fmac_f64_e32 v[0:1], v[4:5], v[46:47]
	v_fmac_f64_e32 v[2:3], v[6:7], v[46:47]
	;; [unrolled: 1-line block ×6, first 2 shown]
	v_mul_f64 v[4:5], v[2:3], v[26:27]
	v_mul_f64 v[6:7], v[26:27], -v[0:1]
	v_mul_f64 v[12:13], v[30:31], -v[22:23]
	v_mul_f64 v[26:27], v[20:21], v[30:31]
	v_mul_f64 v[30:31], v[48:49], -v[14:15]
	v_mul_f64 v[36:37], v[48:49], v[34:35]
	v_fma_f64 v[0:1], -v[0:1], v[24:25], v[4:5]
	v_fma_f64 v[2:3], -v[2:3], v[24:25], v[6:7]
	v_fmac_f64_e32 v[12:13], v[20:21], v[28:29]
	v_fmac_f64_e32 v[26:27], v[22:23], v[28:29]
	;; [unrolled: 1-line block ×4, first 2 shown]
	v_add_f64 v[0:1], v[0:1], -v[12:13]
	v_add_f64 v[2:3], v[2:3], -v[26:27]
	s_waitcnt vmcnt(1)
	v_add_f64 v[0:1], v[0:1], v[8:9]
	v_add_f64 v[2:3], v[2:3], v[10:11]
	s_waitcnt vmcnt(0)
	v_add_f64 v[8:9], v[16:17], -v[30:31]
	v_add_f64 v[10:11], v[18:19], -v[36:37]
	global_store_dwordx4 v[32:33], v[0:3], off
.LBB297_60:                             ;   in Loop: Header=BB297_5 Depth=1
	s_or_b64 exec, exec, s[26:27]
	s_nop 0
	v_mov_b64_e32 v[2:3], v[10:11]
	v_mov_b64_e32 v[0:1], v[8:9]
                                        ; implicit-def: $vgpr4_vgpr5
                                        ; implicit-def: $vgpr8_vgpr9
                                        ; implicit-def: $vgpr48_vgpr49
                                        ; implicit-def: $vgpr50_vgpr51
                                        ; implicit-def: $vgpr46_vgpr47
                                        ; implicit-def: $vgpr18_vgpr19
.LBB297_61:                             ;   in Loop: Header=BB297_5 Depth=1
	s_or_saveexec_b64 s[2:3], s[4:5]
	v_mov_b32_e32 v12, s33
	s_xor_b64 exec, exec, s[2:3]
	s_cbranch_execz .LBB297_4
; %bb.62:                               ;   in Loop: Header=BB297_5 Depth=1
	v_ashrrev_i32_e32 v45, 31, v44
	v_lshl_add_u64 v[28:29], v[44:45], 4, v[42:43]
	v_lshlrev_b64 v[24:25], 4, v[46:47]
	global_load_dwordx4 v[12:15], v[28:29], off
	v_lshl_add_u64 v[30:31], s[12:13], 0, v[24:25]
	global_load_dwordx4 v[20:23], v[30:31], off
	v_mul_f64 v[26:27], v[2:3], v[2:3]
	v_fmac_f64_e32 v[26:27], v[0:1], v[0:1]
	v_fma_f64 v[32:33], 0, v[2:3], v[0:1]
	v_fma_f64 v[2:3], v[0:1], 0, -v[2:3]
	v_div_scale_f64 v[0:1], s[4:5], v[26:27], v[26:27], 1.0
	v_rcp_f64_e32 v[36:37], v[0:1]
	v_lshl_add_u64 v[34:35], v[46:47], 2, s[6:7]
	v_lshl_add_u64 v[38:39], s[14:15], 0, v[24:25]
	v_div_scale_f64 v[24:25], vcc, 1.0, v[26:27], 1.0
	v_fma_f64 v[46:47], -v[0:1], v[36:37], 1.0
	v_fmac_f64_e32 v[36:37], v[36:37], v[46:47]
	v_fma_f64 v[46:47], -v[0:1], v[36:37], 1.0
	v_fmac_f64_e32 v[36:37], v[36:37], v[46:47]
	v_mul_f64 v[46:47], v[24:25], v[36:37]
	v_fma_f64 v[0:1], -v[0:1], v[46:47], v[24:25]
	v_div_fmas_f64 v[0:1], v[0:1], v[36:37], v[46:47]
	v_div_fixup_f64 v[24:25], v[0:1], v[26:27], 1.0
	v_mul_f64 v[2:3], v[2:3], v[24:25]
	v_mul_f64 v[0:1], v[32:33], v[24:25]
	v_mul_f64 v[24:25], v[2:3], -v[18:19]
	v_mul_f64 v[26:27], v[2:3], v[16:17]
	v_fmac_f64_e32 v[24:25], v[16:17], v[0:1]
	v_fmac_f64_e32 v[26:27], v[18:19], v[0:1]
	global_store_dwordx4 v[38:39], v[24:27], off
	s_waitcnt vmcnt(2)
	v_mul_f64 v[16:17], v[2:3], -v[14:15]
	v_mul_f64 v[18:19], v[2:3], v[12:13]
	s_waitcnt vmcnt(1)
	v_mul_f64 v[24:25], v[2:3], -v[22:23]
	v_mul_f64 v[26:27], v[2:3], v[20:21]
	v_fmac_f64_e32 v[16:17], v[12:13], v[0:1]
	v_fmac_f64_e32 v[18:19], v[14:15], v[0:1]
	;; [unrolled: 1-line block ×4, first 2 shown]
	global_store_dwordx4 v[28:29], v[16:19], off
	global_store_dwordx4 v[30:31], v[24:27], off
	global_store_dword v[34:35], v61, off
	s_and_saveexec_b64 s[4:5], s[0:1]
	s_cbranch_execz .LBB297_3
; %bb.63:                               ;   in Loop: Header=BB297_5 Depth=1
	v_add_u32_e32 v16, v58, v44
	v_ashrrev_i32_e32 v17, 31, v16
	v_lshl_add_u64 v[20:21], v[16:17], 4, s[10:11]
	global_load_dwordx4 v[16:19], v[20:21], off
	v_mul_f64 v[22:23], v[2:3], v[4:5]
	v_mul_f64 v[24:25], v[2:3], -v[6:7]
	v_fmac_f64_e32 v[22:23], v[6:7], v[0:1]
	v_fmac_f64_e32 v[24:25], v[4:5], v[0:1]
	v_mul_f64 v[4:5], v[22:23], v[14:15]
	v_mul_f64 v[6:7], v[14:15], -v[24:25]
	v_fma_f64 v[4:5], -v[24:25], v[12:13], v[4:5]
	v_fma_f64 v[6:7], -v[22:23], v[12:13], v[6:7]
	s_waitcnt vmcnt(0)
	v_add_f64 v[4:5], v[4:5], v[16:17]
	v_add_f64 v[6:7], v[6:7], v[18:19]
	global_store_dwordx4 v[20:21], v[4:7], off
	s_branch .LBB297_3
.LBB297_64:
	s_or_b64 exec, exec, s[20:21]
.LBB297_65:
	v_subrev_u32_e32 v2, s28, v44
	v_add_u32_e32 v0, v2, v40
	v_ashrrev_i32_e32 v1, 31, v0
	s_waitcnt lgkmcnt(0)
	v_lshl_add_u64 v[0:1], v[0:1], 2, s[6:7]
	buffer_wbl2 sc1
	s_waitcnt vmcnt(0)
	buffer_inv sc1
	global_load_dword v0, v[0:1], off
	s_waitcnt vmcnt(0)
	v_mul_lo_u32 v0, v0, s28
	v_sub_u32_e32 v4, v2, v0
	v_cmp_lt_i32_e32 vcc, -1, v4
	s_and_b64 exec, exec, vcc
	s_cbranch_execz .LBB297_72
; %bb.66:
	v_subrev_u32_e32 v12, s28, v40
	s_lshl_b32 s4, s28, 1
	s_mov_b64 s[0:1], 0
	s_branch .LBB297_68
.LBB297_67:                             ;   in Loop: Header=BB297_68 Depth=1
	s_or_b64 exec, exec, s[2:3]
	v_lshl_add_u64 v[6:7], v[6:7], 4, s[12:13]
	global_load_dwordx4 v[0:3], v[6:7], off
	v_sub_u32_e32 v4, v4, v5
	v_cmp_gt_i32_e32 vcc, 0, v4
	s_or_b64 s[0:1], vcc, s[0:1]
	s_waitcnt vmcnt(0)
	v_add_f64 v[0:1], v[0:1], v[8:9]
	v_add_f64 v[2:3], v[10:11], v[2:3]
	global_store_dwordx4 v[6:7], v[0:3], off
	s_andn2_b64 exec, exec, s[0:1]
	s_cbranch_execz .LBB297_72
.LBB297_68:                             ; =>This Inner Loop Header: Depth=1
	v_add_u32_e32 v6, v4, v40
	v_ashrrev_i32_e32 v7, 31, v6
	v_lshl_add_u64 v[0:1], v[6:7], 2, s[6:7]
	global_load_dword v5, v[0:1], off
	v_lshl_add_u64 v[0:1], v[6:7], 4, s[14:15]
	global_load_dwordx4 v[0:3], v[0:1], off
                                        ; implicit-def: $vgpr10_vgpr11
                                        ; implicit-def: $vgpr8_vgpr9
	s_waitcnt vmcnt(1)
	v_cmp_ne_u32_e32 vcc, 1, v5
	s_and_saveexec_b64 s[2:3], vcc
	s_xor_b64 s[2:3], exec, s[2:3]
	s_cbranch_execz .LBB297_70
; %bb.69:                               ;   in Loop: Header=BB297_68 Depth=1
	v_add_u32_e32 v8, v58, v4
	v_ashrrev_i32_e32 v9, 31, v8
	v_lshlrev_b64 v[14:15], 4, v[8:9]
	v_lshl_add_u64 v[30:31], s[10:11], 0, v[14:15]
	global_load_dwordx4 v[8:11], v[30:31], off
	v_lshl_add_u64 v[32:33], s[12:13], 0, v[14:15]
	v_ashrrev_i32_e32 v5, 31, v4
	global_load_dwordx4 v[14:17], v[32:33], off
	v_lshl_add_u64 v[34:35], v[4:5], 4, v[42:43]
	global_load_dwordx4 v[18:21], v[34:35], off
	v_lshl_add_u64 v[36:37], v[6:7], 4, s[12:13]
	global_load_dwordx4 v[22:25], v[36:37], off
	v_add_u32_e32 v38, v12, v4
	v_ashrrev_i32_e32 v39, 31, v38
	v_lshlrev_b64 v[44:45], 4, v[38:39]
	v_lshl_add_u64 v[6:7], s[14:15], 0, v[44:45]
	global_load_dwordx4 v[26:29], v[6:7], off
	s_waitcnt vmcnt(4)
	v_mul_f64 v[6:7], v[2:3], v[10:11]
	v_mul_f64 v[10:11], v[10:11], -v[0:1]
	v_fma_f64 v[6:7], -v[0:1], v[8:9], v[6:7]
	s_waitcnt vmcnt(3)
	v_mul_f64 v[46:47], v[2:3], v[16:17]
	v_mul_f64 v[16:17], v[16:17], -v[0:1]
	v_fma_f64 v[8:9], -v[2:3], v[8:9], v[10:11]
	v_fma_f64 v[10:11], -v[0:1], v[14:15], v[46:47]
	;; [unrolled: 1-line block ×3, first 2 shown]
	s_waitcnt vmcnt(2)
	v_add_f64 v[0:1], v[18:19], v[6:7]
	v_add_f64 v[2:3], v[8:9], v[20:21]
	global_store_dwordx4 v[34:35], v[0:3], off
	s_waitcnt vmcnt(2)
	v_add_f64 v[6:7], v[22:23], v[10:11]
	v_add_f64 v[8:9], v[14:15], v[24:25]
	global_load_dwordx4 v[0:3], v[30:31], off
	v_lshl_add_u64 v[18:19], s[10:11], 0, v[44:45]
	global_store_dwordx4 v[36:37], v[6:9], off
	global_load_dwordx4 v[6:9], v[32:33], off
	s_waitcnt vmcnt(0)
	v_mul_f64 v[20:21], v[28:29], v[8:9]
	global_load_dwordx4 v[14:17], v[18:19], off
	v_mul_f64 v[10:11], v[28:29], v[2:3]
	v_mul_f64 v[2:3], v[2:3], -v[26:27]
	v_fma_f64 v[24:25], -v[26:27], v[0:1], v[10:11]
	v_fma_f64 v[2:3], -v[28:29], v[0:1], v[2:3]
	v_mul_f64 v[22:23], v[8:9], -v[26:27]
	v_fma_f64 v[8:9], -v[26:27], v[6:7], v[20:21]
	v_fma_f64 v[10:11], -v[28:29], v[6:7], v[22:23]
	v_mov_b64_e32 v[6:7], v[38:39]
	s_waitcnt vmcnt(0)
	v_add_f64 v[0:1], v[14:15], v[24:25]
	v_add_f64 v[2:3], v[2:3], v[16:17]
	global_store_dwordx4 v[18:19], v[0:3], off
                                        ; implicit-def: $vgpr2_vgpr3
.LBB297_70:                             ;   in Loop: Header=BB297_68 Depth=1
	s_or_saveexec_b64 s[2:3], s[2:3]
	v_mov_b32_e32 v5, s4
	s_xor_b64 exec, exec, s[2:3]
	s_cbranch_execz .LBB297_67
; %bb.71:                               ;   in Loop: Header=BB297_68 Depth=1
	v_add_u32_e32 v8, v58, v4
	v_ashrrev_i32_e32 v9, 31, v8
	v_lshlrev_b64 v[14:15], 4, v[8:9]
	v_lshl_add_u64 v[8:9], s[10:11], 0, v[14:15]
	global_load_dwordx4 v[8:11], v[8:9], off
	v_lshl_add_u64 v[14:15], s[12:13], 0, v[14:15]
	v_ashrrev_i32_e32 v5, 31, v4
	global_load_dwordx4 v[14:17], v[14:15], off
	v_lshl_add_u64 v[22:23], v[4:5], 4, v[42:43]
	global_load_dwordx4 v[18:21], v[22:23], off
	v_mov_b32_e32 v5, s28
	s_waitcnt vmcnt(2)
	v_mul_f64 v[24:25], v[2:3], v[10:11]
	v_mul_f64 v[10:11], v[10:11], -v[0:1]
	v_fma_f64 v[24:25], -v[0:1], v[8:9], v[24:25]
	s_waitcnt vmcnt(1)
	v_mul_f64 v[26:27], v[2:3], v[16:17]
	v_mul_f64 v[16:17], v[16:17], -v[0:1]
	v_fma_f64 v[28:29], -v[2:3], v[8:9], v[10:11]
	v_fma_f64 v[8:9], -v[0:1], v[14:15], v[26:27]
	;; [unrolled: 1-line block ×3, first 2 shown]
	s_waitcnt vmcnt(0)
	v_add_f64 v[0:1], v[18:19], v[24:25]
	v_add_f64 v[2:3], v[28:29], v[20:21]
	global_store_dwordx4 v[22:23], v[0:3], off
	s_branch .LBB297_67
.LBB297_72:
	s_endpgm
	.section	.rodata,"a",@progbits
	.p2align	6, 0x0
	.amdhsa_kernel _ZN9rocsparseL18gtsv_LBM_wv_kernelILj256ELj8E21rocsparse_complex_numIdEEEviiiPKT1_S5_S5_PS3_S6_S6_Pi
		.amdhsa_group_segment_fixed_size 0
		.amdhsa_private_segment_fixed_size 0
		.amdhsa_kernarg_size 72
		.amdhsa_user_sgpr_count 2
		.amdhsa_user_sgpr_dispatch_ptr 0
		.amdhsa_user_sgpr_queue_ptr 0
		.amdhsa_user_sgpr_kernarg_segment_ptr 1
		.amdhsa_user_sgpr_dispatch_id 0
		.amdhsa_user_sgpr_kernarg_preload_length 0
		.amdhsa_user_sgpr_kernarg_preload_offset 0
		.amdhsa_user_sgpr_private_segment_size 0
		.amdhsa_uses_dynamic_stack 0
		.amdhsa_enable_private_segment 0
		.amdhsa_system_sgpr_workgroup_id_x 1
		.amdhsa_system_sgpr_workgroup_id_y 0
		.amdhsa_system_sgpr_workgroup_id_z 0
		.amdhsa_system_sgpr_workgroup_info 0
		.amdhsa_system_vgpr_workitem_id 0
		.amdhsa_next_free_vgpr 84
		.amdhsa_next_free_sgpr 36
		.amdhsa_accum_offset 84
		.amdhsa_reserve_vcc 1
		.amdhsa_float_round_mode_32 0
		.amdhsa_float_round_mode_16_64 0
		.amdhsa_float_denorm_mode_32 3
		.amdhsa_float_denorm_mode_16_64 3
		.amdhsa_dx10_clamp 1
		.amdhsa_ieee_mode 1
		.amdhsa_fp16_overflow 0
		.amdhsa_tg_split 0
		.amdhsa_exception_fp_ieee_invalid_op 0
		.amdhsa_exception_fp_denorm_src 0
		.amdhsa_exception_fp_ieee_div_zero 0
		.amdhsa_exception_fp_ieee_overflow 0
		.amdhsa_exception_fp_ieee_underflow 0
		.amdhsa_exception_fp_ieee_inexact 0
		.amdhsa_exception_int_div_zero 0
	.end_amdhsa_kernel
	.section	.text._ZN9rocsparseL18gtsv_LBM_wv_kernelILj256ELj8E21rocsparse_complex_numIdEEEviiiPKT1_S5_S5_PS3_S6_S6_Pi,"axG",@progbits,_ZN9rocsparseL18gtsv_LBM_wv_kernelILj256ELj8E21rocsparse_complex_numIdEEEviiiPKT1_S5_S5_PS3_S6_S6_Pi,comdat
.Lfunc_end297:
	.size	_ZN9rocsparseL18gtsv_LBM_wv_kernelILj256ELj8E21rocsparse_complex_numIdEEEviiiPKT1_S5_S5_PS3_S6_S6_Pi, .Lfunc_end297-_ZN9rocsparseL18gtsv_LBM_wv_kernelILj256ELj8E21rocsparse_complex_numIdEEEviiiPKT1_S5_S5_PS3_S6_S6_Pi
                                        ; -- End function
	.set _ZN9rocsparseL18gtsv_LBM_wv_kernelILj256ELj8E21rocsparse_complex_numIdEEEviiiPKT1_S5_S5_PS3_S6_S6_Pi.num_vgpr, 84
	.set _ZN9rocsparseL18gtsv_LBM_wv_kernelILj256ELj8E21rocsparse_complex_numIdEEEviiiPKT1_S5_S5_PS3_S6_S6_Pi.num_agpr, 0
	.set _ZN9rocsparseL18gtsv_LBM_wv_kernelILj256ELj8E21rocsparse_complex_numIdEEEviiiPKT1_S5_S5_PS3_S6_S6_Pi.numbered_sgpr, 36
	.set _ZN9rocsparseL18gtsv_LBM_wv_kernelILj256ELj8E21rocsparse_complex_numIdEEEviiiPKT1_S5_S5_PS3_S6_S6_Pi.num_named_barrier, 0
	.set _ZN9rocsparseL18gtsv_LBM_wv_kernelILj256ELj8E21rocsparse_complex_numIdEEEviiiPKT1_S5_S5_PS3_S6_S6_Pi.private_seg_size, 0
	.set _ZN9rocsparseL18gtsv_LBM_wv_kernelILj256ELj8E21rocsparse_complex_numIdEEEviiiPKT1_S5_S5_PS3_S6_S6_Pi.uses_vcc, 1
	.set _ZN9rocsparseL18gtsv_LBM_wv_kernelILj256ELj8E21rocsparse_complex_numIdEEEviiiPKT1_S5_S5_PS3_S6_S6_Pi.uses_flat_scratch, 0
	.set _ZN9rocsparseL18gtsv_LBM_wv_kernelILj256ELj8E21rocsparse_complex_numIdEEEviiiPKT1_S5_S5_PS3_S6_S6_Pi.has_dyn_sized_stack, 0
	.set _ZN9rocsparseL18gtsv_LBM_wv_kernelILj256ELj8E21rocsparse_complex_numIdEEEviiiPKT1_S5_S5_PS3_S6_S6_Pi.has_recursion, 0
	.set _ZN9rocsparseL18gtsv_LBM_wv_kernelILj256ELj8E21rocsparse_complex_numIdEEEviiiPKT1_S5_S5_PS3_S6_S6_Pi.has_indirect_call, 0
	.section	.AMDGPU.csdata,"",@progbits
; Kernel info:
; codeLenInByte = 6668
; TotalNumSgprs: 42
; NumVgprs: 84
; NumAgprs: 0
; TotalNumVgprs: 84
; ScratchSize: 0
; MemoryBound: 1
; FloatMode: 240
; IeeeMode: 1
; LDSByteSize: 0 bytes/workgroup (compile time only)
; SGPRBlocks: 5
; VGPRBlocks: 10
; NumSGPRsForWavesPerEU: 42
; NumVGPRsForWavesPerEU: 84
; AccumOffset: 84
; Occupancy: 5
; WaveLimiterHint : 0
; COMPUTE_PGM_RSRC2:SCRATCH_EN: 0
; COMPUTE_PGM_RSRC2:USER_SGPR: 2
; COMPUTE_PGM_RSRC2:TRAP_HANDLER: 0
; COMPUTE_PGM_RSRC2:TGID_X_EN: 1
; COMPUTE_PGM_RSRC2:TGID_Y_EN: 0
; COMPUTE_PGM_RSRC2:TGID_Z_EN: 0
; COMPUTE_PGM_RSRC2:TIDIG_COMP_CNT: 0
; COMPUTE_PGM_RSRC3_GFX90A:ACCUM_OFFSET: 20
; COMPUTE_PGM_RSRC3_GFX90A:TG_SPLIT: 0
	.section	.text._ZN9rocsparseL19gtsv_LBM_rhs_kernelILj256ELj8ELj8E21rocsparse_complex_numIdEEEviiiPKT2_S5_S5_PS3_S5_PKi,"axG",@progbits,_ZN9rocsparseL19gtsv_LBM_rhs_kernelILj256ELj8ELj8E21rocsparse_complex_numIdEEEviiiPKT2_S5_S5_PS3_S5_PKi,comdat
	.globl	_ZN9rocsparseL19gtsv_LBM_rhs_kernelILj256ELj8ELj8E21rocsparse_complex_numIdEEEviiiPKT2_S5_S5_PS3_S5_PKi ; -- Begin function _ZN9rocsparseL19gtsv_LBM_rhs_kernelILj256ELj8ELj8E21rocsparse_complex_numIdEEEviiiPKT2_S5_S5_PS3_S5_PKi
	.p2align	8
	.type	_ZN9rocsparseL19gtsv_LBM_rhs_kernelILj256ELj8ELj8E21rocsparse_complex_numIdEEEviiiPKT2_S5_S5_PS3_S5_PKi,@function
_ZN9rocsparseL19gtsv_LBM_rhs_kernelILj256ELj8ELj8E21rocsparse_complex_numIdEEEviiiPKT2_S5_S5_PS3_S5_PKi: ; @_ZN9rocsparseL19gtsv_LBM_rhs_kernelILj256ELj8ELj8E21rocsparse_complex_numIdEEEviiiPKT2_S5_S5_PS3_S5_PKi
; %bb.0:
	s_load_dword s23, s[0:1], 0x0
	v_lshl_or_b32 v44, s2, 8, v0
	s_waitcnt lgkmcnt(0)
	s_lshr_b32 s22, s23, 3
	v_cmp_gt_i32_e32 vcc, s22, v44
	s_and_saveexec_b64 s[4:5], vcc
	s_cbranch_execz .LBB298_29
; %bb.1:
	s_load_dwordx4 s[8:11], s[0:1], 0x28
	s_load_dwordx2 s[6:7], s[0:1], 0x38
	s_cmp_lt_i32 s23, 1
	v_add_u32_e32 v114, s22, v44
	s_mul_i32 s24, s3, s23
	s_cbranch_scc1 .LBB298_21
; %bb.2:
	s_load_dwordx4 s[12:15], s[0:1], 0x10
	s_load_dwordx2 s[16:17], s[0:1], 0x20
	v_ashrrev_i32_e32 v45, 31, v44
	s_lshl_b32 s28, s24, 3
	s_add_i32 s29, s28, s23
	s_waitcnt lgkmcnt(0)
	v_lshl_add_u64 v[0:1], v[44:45], 4, s[14:15]
	global_load_dwordx4 v[0:3], v[0:1], off
	s_add_i32 s30, s29, s23
	s_add_i32 s31, s30, s23
	;; [unrolled: 1-line block ×5, first 2 shown]
	s_mul_i32 s25, s22, 7
	s_mul_i32 s26, s22, 6
	s_lshl_b32 s27, s22, 1
	v_add_u32_e32 v45, s22, v114
	s_add_i32 s36, s35, s23
	v_mov_b32_e32 v47, 0
	s_mov_b64 s[18:19], 0
	v_mov_b32_e32 v115, 0
	s_branch .LBB298_5
.LBB298_3:                              ;   in Loop: Header=BB298_5 Depth=1
	s_or_b64 exec, exec, s[4:5]
	v_fmac_f64_e32 v[50:51], v[4:5], v[8:9]
	v_fmac_f64_e32 v[48:49], v[6:7], v[8:9]
	v_mul_f64 v[0:1], v[52:53], -v[48:49]
	v_mul_f64 v[2:3], v[52:53], v[50:51]
	v_fmac_f64_e32 v[0:1], v[50:51], v[10:11]
	v_fmac_f64_e32 v[2:3], v[48:49], v[10:11]
	v_add_f64 v[0:1], v[12:13], -v[0:1]
	v_add_f64 v[2:3], v[14:15], -v[2:3]
	v_mov_b32_e32 v10, s22
.LBB298_4:                              ;   in Loop: Header=BB298_5 Depth=1
	s_or_b64 exec, exec, s[2:3]
	v_add_u32_e32 v115, v10, v115
	v_cmp_le_i32_e32 vcc, s23, v115
	s_or_b64 s[18:19], vcc, s[18:19]
	s_andn2_b64 exec, exec, s[18:19]
	s_cbranch_execz .LBB298_20
.LBB298_5:                              ; =>This Inner Loop Header: Depth=1
	v_add_u32_e32 v24, v115, v44
	v_ashrrev_i32_e32 v25, 31, v24
	v_lshl_add_u64 v[4:5], v[24:25], 4, s[16:17]
	global_load_dwordx4 v[8:11], v[4:5], off
	v_cmp_gt_u32_e64 s[0:1], s25, v115
	v_mov_b64_e32 v[12:13], 0
	v_mov_b64_e32 v[4:5], 0
	;; [unrolled: 1-line block ×3, first 2 shown]
	s_and_saveexec_b64 s[2:3], s[0:1]
	s_cbranch_execz .LBB298_7
; %bb.6:                                ;   in Loop: Header=BB298_5 Depth=1
	v_add_u32_e32 v4, v114, v115
	v_ashrrev_i32_e32 v5, 31, v4
	v_lshl_add_u64 v[4:5], v[4:5], 4, s[12:13]
	global_load_dwordx4 v[4:7], v[4:5], off
.LBB298_7:                              ;   in Loop: Header=BB298_5 Depth=1
	s_or_b64 exec, exec, s[2:3]
	v_mov_b64_e32 v[14:15], 0
	s_and_saveexec_b64 s[2:3], s[0:1]
	s_cbranch_execz .LBB298_9
; %bb.8:                                ;   in Loop: Header=BB298_5 Depth=1
	v_add_u32_e32 v12, v114, v115
	v_ashrrev_i32_e32 v13, 31, v12
	v_lshl_add_u64 v[12:13], v[12:13], 4, s[14:15]
	global_load_dwordx4 v[12:15], v[12:13], off
.LBB298_9:                              ;   in Loop: Header=BB298_5 Depth=1
	s_or_b64 exec, exec, s[2:3]
	v_mov_b64_e32 v[20:21], 0
	v_mov_b64_e32 v[16:17], 0
	;; [unrolled: 1-line block ×3, first 2 shown]
	s_and_saveexec_b64 s[2:3], s[0:1]
	s_cbranch_execz .LBB298_11
; %bb.10:                               ;   in Loop: Header=BB298_5 Depth=1
	v_add_u32_e32 v16, v114, v115
	v_ashrrev_i32_e32 v17, 31, v16
	v_lshl_add_u64 v[16:17], v[16:17], 4, s[16:17]
	global_load_dwordx4 v[16:19], v[16:17], off
.LBB298_11:                             ;   in Loop: Header=BB298_5 Depth=1
	s_or_b64 exec, exec, s[2:3]
	v_cmp_gt_u32_e64 s[2:3], s26, v115
	v_mov_b64_e32 v[22:23], 0
	s_and_saveexec_b64 s[4:5], s[2:3]
	s_cbranch_execz .LBB298_13
; %bb.12:                               ;   in Loop: Header=BB298_5 Depth=1
	v_add_u32_e32 v20, v45, v115
	v_ashrrev_i32_e32 v21, 31, v20
	v_lshl_add_u64 v[20:21], v[20:21], 4, s[12:13]
	global_load_dwordx4 v[20:23], v[20:21], off
.LBB298_13:                             ;   in Loop: Header=BB298_5 Depth=1
	s_or_b64 exec, exec, s[4:5]
	v_lshl_add_u64 v[26:27], v[24:25], 2, s[6:7]
	global_load_dword v25, v[26:27], off
	v_cmp_ne_u32_e32 vcc, s25, v115
	s_waitcnt vmcnt(1)
	v_mul_f64 v[50:51], v[10:11], -v[6:7]
	v_mul_f64 v[48:49], v[10:11], v[4:5]
	v_add_u32_e32 v46, s28, v24
	v_add_u32_e32 v42, s29, v24
	;; [unrolled: 1-line block ×8, first 2 shown]
	s_waitcnt vmcnt(0)
	v_cmp_ne_u32_e64 s[4:5], 1, v25
	s_and_b64 s[4:5], vcc, s[4:5]
	s_and_saveexec_b64 s[20:21], s[4:5]
	s_xor_b64 s[4:5], exec, s[20:21]
	s_cbranch_execz .LBB298_17
; %bb.14:                               ;   in Loop: Header=BB298_5 Depth=1
	v_add_u32_e32 v82, v114, v115
	v_lshl_add_u64 v[34:35], v[46:47], 4, s[8:9]
	v_add_u32_e32 v46, s28, v82
	v_lshl_add_u64 v[54:55], v[46:47], 4, s[8:9]
	global_load_dwordx4 v[24:27], v[34:35], off
	global_load_dwordx4 v[56:59], v[54:55], off
	v_mov_b32_e32 v43, v47
	v_add_u32_e32 v46, s29, v82
	v_lshl_add_u64 v[42:43], v[42:43], 4, s[8:9]
	v_lshl_add_u64 v[72:73], v[46:47], 4, s[8:9]
	global_load_dwordx4 v[60:63], v[42:43], off
	global_load_dwordx4 v[64:67], v[72:73], off
	v_mul_f64 v[68:69], v[14:15], -v[2:3]
	v_mul_f64 v[70:71], v[0:1], v[14:15]
	v_mov_b32_e32 v41, v47
	v_add_u32_e32 v46, s30, v82
	v_fmac_f64_e32 v[50:51], v[4:5], v[8:9]
	v_fmac_f64_e32 v[48:49], v[6:7], v[8:9]
	v_mov_b32_e32 v39, v47
	v_mov_b32_e32 v37, v47
	;; [unrolled: 1-line block ×4, first 2 shown]
	v_fmac_f64_e32 v[68:69], v[0:1], v[12:13]
	v_fmac_f64_e32 v[70:71], v[2:3], v[12:13]
	v_lshl_add_u64 v[52:53], v[40:41], 4, s[8:9]
	v_lshl_add_u64 v[112:113], v[46:47], 4, s[8:9]
	v_lshl_add_u64 v[40:41], v[38:39], 4, s[8:9]
	v_lshl_add_u64 v[38:39], v[36:37], 4, s[8:9]
	v_lshl_add_u64 v[36:37], v[30:31], 4, s[8:9]
	v_lshl_add_u64 v[100:101], v[28:29], 4, s[8:9]
	v_add_f64 v[28:29], v[68:69], -v[50:51]
	v_add_f64 v[30:31], v[70:71], -v[48:49]
	global_load_dwordx4 v[48:51], v[52:53], off
	global_load_dwordx4 v[76:79], v[40:41], off
	;; [unrolled: 1-line block ×4, first 2 shown]
	v_add_u32_e32 v46, s31, v82
	v_lshl_add_u64 v[110:111], v[46:47], 4, s[8:9]
	global_load_dwordx4 v[124:127], v[110:111], off
	v_add_u32_e32 v46, s33, v82
	v_lshl_add_u64 v[108:109], v[46:47], 4, s[8:9]
	global_load_dwordx4 v[128:131], v[108:109], off
	v_add_u32_e32 v46, s34, v82
	v_mov_b32_e32 v33, v47
	v_lshl_add_u64 v[106:107], v[46:47], 4, s[8:9]
	v_add_u32_e32 v46, s35, v82
	v_lshl_add_u64 v[32:33], v[32:33], 4, s[8:9]
	v_lshl_add_u64 v[104:105], v[46:47], 4, s[8:9]
	v_add_u32_e32 v46, s36, v82
	v_lshl_add_u64 v[102:103], v[46:47], 4, s[8:9]
	global_load_dwordx4 v[132:135], v[32:33], off
	global_load_dwordx4 v[136:139], v[36:37], off
	global_load_dwordx4 v[140:143], v[100:101], off
	global_load_dwordx4 v[144:147], v[106:107], off
	global_load_dwordx4 v[148:151], v[104:105], off
	global_load_dwordx4 v[152:155], v[102:103], off
	v_mul_f64 v[68:69], v[30:31], v[30:31]
	v_fmac_f64_e32 v[68:69], v[28:29], v[28:29]
	v_fma_f64 v[70:71], 0, v[30:31], v[28:29]
	v_fma_f64 v[30:31], v[28:29], 0, -v[30:31]
	v_div_scale_f64 v[28:29], s[20:21], v[68:69], v[68:69], 1.0
	v_rcp_f64_e32 v[80:81], v[28:29]
	v_div_scale_f64 v[74:75], vcc, 1.0, v[68:69], 1.0
	v_fma_f64 v[82:83], -v[28:29], v[80:81], 1.0
	v_fmac_f64_e32 v[80:81], v[80:81], v[82:83]
	v_fma_f64 v[82:83], -v[28:29], v[80:81], 1.0
	v_fmac_f64_e32 v[80:81], v[80:81], v[82:83]
	v_mul_f64 v[82:83], v[74:75], v[80:81]
	v_fma_f64 v[28:29], -v[28:29], v[82:83], v[74:75]
	v_div_fmas_f64 v[28:29], v[28:29], v[80:81], v[82:83]
	v_div_fixup_f64 v[68:69], v[28:29], v[68:69], 1.0
	v_mul_f64 v[30:31], v[30:31], v[68:69]
	v_mul_f64 v[28:29], v[70:71], v[68:69]
	s_waitcnt vmcnt(15)
	v_mul_f64 v[96:97], v[30:31], v[24:25]
	s_waitcnt vmcnt(14)
	v_mul_f64 v[98:99], v[30:31], v[56:57]
	v_mul_f64 v[84:85], v[30:31], -v[26:27]
	v_fmac_f64_e32 v[96:97], v[26:27], v[28:29]
	v_mul_f64 v[88:89], v[30:31], -v[58:59]
	v_fmac_f64_e32 v[98:99], v[58:59], v[28:29]
	v_fmac_f64_e32 v[84:85], v[24:25], v[28:29]
	v_mul_f64 v[24:25], v[96:97], -v[14:15]
	v_mul_f64 v[26:27], v[12:13], v[96:97]
	v_fmac_f64_e32 v[88:89], v[56:57], v[28:29]
	v_mul_f64 v[56:57], v[98:99], -v[10:11]
	v_mul_f64 v[58:59], v[8:9], v[98:99]
	v_fmac_f64_e32 v[24:25], v[12:13], v[84:85]
	v_fmac_f64_e32 v[26:27], v[14:15], v[84:85]
	;; [unrolled: 1-line block ×4, first 2 shown]
	s_waitcnt vmcnt(13)
	v_mul_f64 v[80:81], v[30:31], v[60:61]
	s_waitcnt vmcnt(12)
	v_mul_f64 v[82:83], v[30:31], v[64:65]
	v_add_f64 v[24:25], v[24:25], -v[56:57]
	v_add_f64 v[26:27], v[26:27], -v[58:59]
	v_mul_f64 v[70:71], v[30:31], -v[62:63]
	v_fmac_f64_e32 v[80:81], v[62:63], v[28:29]
	v_mul_f64 v[74:75], v[30:31], -v[66:67]
	v_fmac_f64_e32 v[82:83], v[66:67], v[28:29]
	global_store_dwordx4 v[34:35], v[24:27], off
	v_fmac_f64_e32 v[70:71], v[60:61], v[28:29]
	v_fmac_f64_e32 v[74:75], v[64:65], v[28:29]
	v_mul_f64 v[24:25], v[80:81], -v[14:15]
	v_mul_f64 v[26:27], v[12:13], v[80:81]
	v_mul_f64 v[34:35], v[82:83], -v[10:11]
	v_mul_f64 v[56:57], v[8:9], v[82:83]
	v_fmac_f64_e32 v[24:25], v[12:13], v[70:71]
	v_fmac_f64_e32 v[26:27], v[14:15], v[70:71]
	;; [unrolled: 1-line block ×4, first 2 shown]
	s_waitcnt vmcnt(12)
	v_mul_f64 v[92:93], v[30:31], v[48:49]
	s_waitcnt vmcnt(9)
	v_mul_f64 v[94:95], v[30:31], v[120:121]
	v_add_f64 v[24:25], v[24:25], -v[34:35]
	v_add_f64 v[26:27], v[26:27], -v[56:57]
	v_mul_f64 v[86:87], v[30:31], -v[50:51]
	v_fmac_f64_e32 v[92:93], v[50:51], v[28:29]
	v_mul_f64 v[90:91], v[30:31], -v[122:123]
	v_fmac_f64_e32 v[94:95], v[122:123], v[28:29]
	global_store_dwordx4 v[42:43], v[24:27], off
	v_fmac_f64_e32 v[86:87], v[48:49], v[28:29]
	v_fmac_f64_e32 v[90:91], v[120:121], v[28:29]
	v_mul_f64 v[24:25], v[92:93], -v[14:15]
	v_mul_f64 v[26:27], v[12:13], v[92:93]
	v_mul_f64 v[34:35], v[94:95], -v[10:11]
	v_mul_f64 v[42:43], v[8:9], v[94:95]
	v_fmac_f64_e32 v[24:25], v[12:13], v[86:87]
	v_fmac_f64_e32 v[26:27], v[14:15], v[86:87]
	v_fmac_f64_e32 v[34:35], v[8:9], v[90:91]
	v_fmac_f64_e32 v[42:43], v[10:11], v[90:91]
	v_mul_f64 v[58:59], v[30:31], v[76:77]
	s_waitcnt vmcnt(9)
	v_mul_f64 v[62:63], v[30:31], v[124:125]
	v_add_f64 v[24:25], v[24:25], -v[34:35]
	v_add_f64 v[26:27], v[26:27], -v[42:43]
	v_mul_f64 v[48:49], v[30:31], -v[78:79]
	v_fmac_f64_e32 v[58:59], v[78:79], v[28:29]
	v_mul_f64 v[50:51], v[30:31], -v[126:127]
	v_fmac_f64_e32 v[62:63], v[126:127], v[28:29]
	global_store_dwordx4 v[52:53], v[24:27], off
	v_fmac_f64_e32 v[48:49], v[76:77], v[28:29]
	v_fmac_f64_e32 v[50:51], v[124:125], v[28:29]
	v_mul_f64 v[24:25], v[58:59], -v[14:15]
	v_mul_f64 v[26:27], v[12:13], v[58:59]
	v_mul_f64 v[34:35], v[62:63], -v[10:11]
	v_mul_f64 v[42:43], v[8:9], v[62:63]
	v_fmac_f64_e32 v[24:25], v[12:13], v[48:49]
	v_fmac_f64_e32 v[26:27], v[14:15], v[48:49]
	v_fmac_f64_e32 v[34:35], v[8:9], v[50:51]
	v_fmac_f64_e32 v[42:43], v[10:11], v[50:51]
	;; [unrolled: 20-line block ×3, first 2 shown]
	s_waitcnt vmcnt(9)
	v_mul_f64 v[60:61], v[30:31], v[132:133]
	s_waitcnt vmcnt(6)
	v_mul_f64 v[64:65], v[30:31], v[144:145]
	v_add_f64 v[24:25], v[24:25], -v[34:35]
	v_add_f64 v[26:27], v[26:27], -v[40:41]
	v_mul_f64 v[52:53], v[30:31], -v[134:135]
	v_fmac_f64_e32 v[60:61], v[134:135], v[28:29]
	v_mul_f64 v[56:57], v[30:31], -v[146:147]
	v_fmac_f64_e32 v[64:65], v[146:147], v[28:29]
	global_store_dwordx4 v[38:39], v[24:27], off
	v_fmac_f64_e32 v[52:53], v[132:133], v[28:29]
	v_fmac_f64_e32 v[56:57], v[144:145], v[28:29]
	v_mul_f64 v[24:25], v[60:61], -v[14:15]
	v_mul_f64 v[26:27], v[12:13], v[60:61]
	v_mul_f64 v[34:35], v[64:65], -v[10:11]
	v_mul_f64 v[38:39], v[8:9], v[64:65]
	v_fmac_f64_e32 v[24:25], v[12:13], v[52:53]
	v_fmac_f64_e32 v[26:27], v[14:15], v[52:53]
	;; [unrolled: 1-line block ×4, first 2 shown]
	v_add_f64 v[24:25], v[24:25], -v[34:35]
	v_add_f64 v[26:27], v[26:27], -v[38:39]
	v_mul_f64 v[40:41], v[30:31], v[136:137]
	s_waitcnt vmcnt(6)
	v_mul_f64 v[42:43], v[30:31], v[148:149]
	global_store_dwordx4 v[32:33], v[24:27], off
	v_mul_f64 v[32:33], v[30:31], -v[138:139]
	v_fmac_f64_e32 v[40:41], v[138:139], v[28:29]
	v_mul_f64 v[34:35], v[30:31], -v[150:151]
	v_fmac_f64_e32 v[42:43], v[150:151], v[28:29]
	v_fmac_f64_e32 v[32:33], v[136:137], v[28:29]
	;; [unrolled: 1-line block ×3, first 2 shown]
	v_mul_f64 v[24:25], v[40:41], -v[14:15]
	v_mul_f64 v[26:27], v[12:13], v[40:41]
	v_mul_f64 v[38:39], v[42:43], -v[10:11]
	v_mul_f64 v[116:117], v[8:9], v[42:43]
	v_fmac_f64_e32 v[24:25], v[12:13], v[32:33]
	v_fmac_f64_e32 v[26:27], v[14:15], v[32:33]
	v_fmac_f64_e32 v[38:39], v[8:9], v[34:35]
	v_fmac_f64_e32 v[116:117], v[10:11], v[34:35]
	v_add_f64 v[24:25], v[24:25], -v[38:39]
	v_add_f64 v[26:27], v[26:27], -v[116:117]
	global_store_dwordx4 v[36:37], v[24:27], off
	v_mul_f64 v[36:37], v[30:31], v[140:141]
	v_fmac_f64_e32 v[36:37], v[142:143], v[28:29]
	v_mul_f64 v[24:25], v[30:31], -v[142:143]
	v_fmac_f64_e32 v[24:25], v[140:141], v[28:29]
	s_waitcnt vmcnt(7)
	v_mul_f64 v[38:39], v[30:31], v[152:153]
	v_mul_f64 v[116:117], v[36:37], -v[14:15]
	v_mul_f64 v[26:27], v[30:31], -v[154:155]
	v_fmac_f64_e32 v[38:39], v[154:155], v[28:29]
	v_fmac_f64_e32 v[116:117], v[12:13], v[24:25]
	v_mul_f64 v[12:13], v[12:13], v[36:37]
	v_fmac_f64_e32 v[26:27], v[152:153], v[28:29]
	v_fmac_f64_e32 v[12:13], v[14:15], v[24:25]
	v_mul_f64 v[14:15], v[38:39], -v[10:11]
	v_mul_f64 v[118:119], v[8:9], v[38:39]
	v_fmac_f64_e32 v[14:15], v[8:9], v[26:27]
	v_fmac_f64_e32 v[118:119], v[10:11], v[26:27]
	v_add_f64 v[8:9], v[116:117], -v[14:15]
	v_add_f64 v[10:11], v[12:13], -v[118:119]
	global_store_dwordx4 v[100:101], v[8:11], off
	v_mul_f64 v[12:13], v[98:99], -v[2:3]
	v_mul_f64 v[14:15], v[0:1], v[98:99]
	v_mul_f64 v[8:9], v[6:7], v[96:97]
	v_mul_f64 v[10:11], v[96:97], -v[4:5]
	v_fma_f64 v[8:9], -v[4:5], v[84:85], v[8:9]
	v_fma_f64 v[10:11], -v[6:7], v[84:85], v[10:11]
	v_fmac_f64_e32 v[12:13], v[0:1], v[88:89]
	v_fmac_f64_e32 v[14:15], v[2:3], v[88:89]
	v_add_f64 v[8:9], v[8:9], v[12:13]
	v_add_f64 v[10:11], v[10:11], v[14:15]
	global_store_dwordx4 v[54:55], v[8:11], off
	v_mul_f64 v[12:13], v[82:83], -v[2:3]
	v_mul_f64 v[14:15], v[0:1], v[82:83]
	v_mul_f64 v[8:9], v[6:7], v[80:81]
	v_mul_f64 v[10:11], v[80:81], -v[4:5]
	v_fma_f64 v[8:9], -v[4:5], v[70:71], v[8:9]
	v_fma_f64 v[10:11], -v[6:7], v[70:71], v[10:11]
	v_fmac_f64_e32 v[12:13], v[0:1], v[74:75]
	v_fmac_f64_e32 v[14:15], v[2:3], v[74:75]
	v_add_f64 v[8:9], v[8:9], v[12:13]
	v_add_f64 v[10:11], v[10:11], v[14:15]
	;; [unrolled: 11-line block ×8, first 2 shown]
	global_store_dwordx4 v[102:103], v[8:11], off
	s_nop 1
	v_mov_b64_e32 v[10:11], 0
	v_mov_b64_e32 v[8:9], 0
	s_and_saveexec_b64 s[20:21], s[2:3]
	s_cbranch_execz .LBB298_16
; %bb.15:                               ;   in Loop: Header=BB298_5 Depth=1
	v_add_u32_e32 v12, v45, v115
	v_add_u32_e32 v46, s28, v12
	v_lshl_add_u64 v[14:15], v[46:47], 4, s[8:9]
	global_load_dwordx4 v[100:103], v[14:15], off
	v_mul_f64 v[54:55], v[6:7], v[22:23]
	v_mul_f64 v[72:73], v[22:23], -v[4:5]
	v_mul_f64 v[8:9], v[22:23], -v[2:3]
	v_mul_f64 v[10:11], v[0:1], v[22:23]
	v_fma_f64 v[4:5], -v[4:5], v[20:21], v[54:55]
	v_fma_f64 v[6:7], -v[6:7], v[20:21], v[72:73]
	v_fmac_f64_e32 v[8:9], v[0:1], v[20:21]
	v_fmac_f64_e32 v[10:11], v[2:3], v[20:21]
	v_mul_f64 v[54:55], v[6:7], v[96:97]
	v_mul_f64 v[72:73], v[96:97], -v[4:5]
	v_mul_f64 v[96:97], v[98:99], -v[10:11]
	v_mul_f64 v[98:99], v[8:9], v[98:99]
	v_add_u32_e32 v46, s29, v12
	v_fma_f64 v[54:55], -v[4:5], v[84:85], v[54:55]
	v_fma_f64 v[72:73], -v[6:7], v[84:85], v[72:73]
	v_fmac_f64_e32 v[96:97], v[8:9], v[88:89]
	v_fmac_f64_e32 v[98:99], v[10:11], v[88:89]
	v_lshl_add_u64 v[84:85], v[46:47], 4, s[8:9]
	v_add_f64 v[54:55], v[54:55], -v[96:97]
	v_add_f64 v[72:73], v[72:73], -v[98:99]
	v_add_u32_e32 v46, s30, v12
	global_load_dwordx4 v[96:99], v[84:85], off
	v_lshl_add_u64 v[88:89], v[46:47], 4, s[8:9]
	v_mul_f64 v[104:105], v[94:95], -v[10:11]
	v_mul_f64 v[94:95], v[8:9], v[94:95]
	v_fmac_f64_e32 v[104:105], v[8:9], v[90:91]
	v_fmac_f64_e32 v[94:95], v[10:11], v[90:91]
	v_add_u32_e32 v46, s31, v12
	v_ashrrev_i32_e32 v13, 31, v12
	s_waitcnt vmcnt(1)
	v_add_f64 v[100:101], v[54:55], v[100:101]
	v_add_f64 v[102:103], v[72:73], v[102:103]
	global_store_dwordx4 v[14:15], v[100:103], off
	global_load_dwordx4 v[100:103], v[88:89], off
	v_mul_f64 v[14:15], v[6:7], v[80:81]
	v_mul_f64 v[54:55], v[80:81], -v[4:5]
	v_mul_f64 v[72:73], v[82:83], -v[10:11]
	v_mul_f64 v[80:81], v[8:9], v[82:83]
	v_mul_f64 v[82:83], v[6:7], v[92:93]
	v_fma_f64 v[14:15], -v[4:5], v[70:71], v[14:15]
	v_fma_f64 v[54:55], -v[6:7], v[70:71], v[54:55]
	v_fmac_f64_e32 v[72:73], v[8:9], v[74:75]
	v_fmac_f64_e32 v[80:81], v[10:11], v[74:75]
	v_mul_f64 v[92:93], v[92:93], -v[4:5]
	v_fma_f64 v[70:71], -v[4:5], v[86:87], v[82:83]
	v_add_f64 v[14:15], v[14:15], -v[72:73]
	v_add_f64 v[54:55], v[54:55], -v[80:81]
	v_fma_f64 v[74:75], -v[6:7], v[86:87], v[92:93]
	v_add_f64 v[80:81], v[70:71], -v[104:105]
	v_add_f64 v[74:75], v[74:75], -v[94:95]
	v_lshl_add_u64 v[86:87], v[46:47], 4, s[8:9]
	v_add_u32_e32 v46, s33, v12
	s_waitcnt vmcnt(2)
	v_add_f64 v[70:71], v[14:15], v[96:97]
	v_add_f64 v[72:73], v[54:55], v[98:99]
	global_store_dwordx4 v[84:85], v[70:73], off
	global_load_dwordx4 v[70:73], v[86:87], off
	v_lshl_add_u64 v[90:91], v[46:47], 4, s[8:9]
	v_mul_f64 v[14:15], v[6:7], v[58:59]
	v_mul_f64 v[54:55], v[58:59], -v[4:5]
	v_mul_f64 v[58:59], v[62:63], -v[10:11]
	v_mul_f64 v[62:63], v[8:9], v[62:63]
	v_mul_f64 v[84:85], v[78:79], -v[10:11]
	v_mul_f64 v[78:79], v[8:9], v[78:79]
	v_fma_f64 v[14:15], -v[4:5], v[48:49], v[14:15]
	v_fma_f64 v[48:49], -v[6:7], v[48:49], v[54:55]
	v_fmac_f64_e32 v[58:59], v[8:9], v[50:51]
	v_fmac_f64_e32 v[62:63], v[10:11], v[50:51]
	;; [unrolled: 1-line block ×4, first 2 shown]
	v_add_f64 v[14:15], v[14:15], -v[58:59]
	v_add_f64 v[58:59], v[48:49], -v[62:63]
	v_add_u32_e32 v46, s34, v12
	s_waitcnt vmcnt(2)
	v_add_f64 v[80:81], v[80:81], v[100:101]
	v_add_f64 v[82:83], v[74:75], v[102:103]
	global_store_dwordx4 v[88:89], v[80:83], off
	global_load_dwordx4 v[80:83], v[90:91], off
	v_mul_f64 v[74:75], v[6:7], v[76:77]
	v_mul_f64 v[76:77], v[76:77], -v[4:5]
	v_fma_f64 v[50:51], -v[4:5], v[66:67], v[74:75]
	v_fma_f64 v[54:55], -v[6:7], v[66:67], v[76:77]
	v_add_f64 v[62:63], v[50:51], -v[84:85]
	v_add_f64 v[54:55], v[54:55], -v[78:79]
	v_lshl_add_u64 v[66:67], v[46:47], 4, s[8:9]
	v_add_u32_e32 v46, s35, v12
	s_waitcnt vmcnt(2)
	v_add_f64 v[48:49], v[14:15], v[70:71]
	v_add_f64 v[50:51], v[58:59], v[72:73]
	global_store_dwordx4 v[86:87], v[48:51], off
	v_mul_f64 v[14:15], v[6:7], v[60:61]
	v_mul_f64 v[58:59], v[64:65], -v[10:11]
	v_fma_f64 v[14:15], -v[4:5], v[52:53], v[14:15]
	v_fmac_f64_e32 v[58:59], v[8:9], v[56:57]
	v_add_f64 v[14:15], v[14:15], -v[58:59]
	s_waitcnt vmcnt(1)
	v_add_f64 v[48:49], v[62:63], v[80:81]
	v_add_f64 v[50:51], v[54:55], v[82:83]
	global_store_dwordx4 v[90:91], v[48:51], off
	global_load_dwordx4 v[48:51], v[66:67], off
	v_mul_f64 v[54:55], v[60:61], -v[4:5]
	v_mul_f64 v[60:61], v[8:9], v[64:65]
	v_fma_f64 v[52:53], -v[6:7], v[52:53], v[54:55]
	v_fmac_f64_e32 v[60:61], v[10:11], v[56:57]
	v_add_f64 v[52:53], v[52:53], -v[60:61]
	v_lshl_add_u64 v[54:55], v[46:47], 4, s[8:9]
	v_lshl_add_u64 v[56:57], v[12:13], 4, s[14:15]
	v_add_u32_e32 v46, s36, v12
	s_waitcnt vmcnt(0)
	v_add_f64 v[48:49], v[14:15], v[48:49]
	v_add_f64 v[50:51], v[52:53], v[50:51]
	global_store_dwordx4 v[66:67], v[48:51], off
	global_load_dwordx4 v[48:51], v[54:55], off
	v_mul_f64 v[14:15], v[6:7], v[40:41]
	v_mul_f64 v[40:41], v[40:41], -v[4:5]
	v_mul_f64 v[52:53], v[42:43], -v[10:11]
	v_mul_f64 v[42:43], v[8:9], v[42:43]
	v_fma_f64 v[14:15], -v[4:5], v[32:33], v[14:15]
	v_fma_f64 v[40:41], -v[6:7], v[32:33], v[40:41]
	v_fmac_f64_e32 v[52:53], v[8:9], v[34:35]
	v_fmac_f64_e32 v[42:43], v[10:11], v[34:35]
	v_add_f64 v[14:15], v[14:15], -v[52:53]
	v_add_f64 v[40:41], v[40:41], -v[42:43]
	v_lshl_add_u64 v[42:43], v[46:47], 4, s[8:9]
	global_load_dwordx4 v[32:35], v[56:57], off
	s_waitcnt vmcnt(1)
	v_add_f64 v[12:13], v[14:15], v[48:49]
	v_add_f64 v[14:15], v[40:41], v[50:51]
	global_store_dwordx4 v[54:55], v[12:15], off
	global_load_dwordx4 v[12:15], v[42:43], off
	v_mul_f64 v[40:41], v[2:3], -v[22:23]
	v_mul_f64 v[2:3], v[2:3], v[20:21]
	v_fmac_f64_e32 v[40:41], v[20:21], v[0:1]
	v_fmac_f64_e32 v[2:3], v[22:23], v[0:1]
	v_mul_f64 v[0:1], v[6:7], v[36:37]
	v_mul_f64 v[20:21], v[36:37], -v[4:5]
	v_mul_f64 v[22:23], v[38:39], -v[10:11]
	v_mul_f64 v[36:37], v[8:9], v[38:39]
	v_mul_f64 v[38:39], v[18:19], -v[2:3]
	v_mul_f64 v[18:19], v[18:19], v[40:41]
	v_fma_f64 v[0:1], -v[4:5], v[24:25], v[0:1]
	v_fma_f64 v[4:5], -v[6:7], v[24:25], v[20:21]
	v_fmac_f64_e32 v[36:37], v[10:11], v[26:27]
	v_fmac_f64_e32 v[38:39], v[40:41], v[16:17]
	;; [unrolled: 1-line block ×4, first 2 shown]
	v_add_f64 v[2:3], v[4:5], -v[36:37]
	v_mul_f64 v[4:5], v[30:31], -v[18:19]
	v_mul_f64 v[6:7], v[30:31], v[38:39]
	v_add_f64 v[0:1], v[0:1], -v[22:23]
	v_fmac_f64_e32 v[4:5], v[38:39], v[28:29]
	v_fmac_f64_e32 v[6:7], v[18:19], v[28:29]
	s_waitcnt vmcnt(2)
	v_add_f64 v[8:9], v[32:33], -v[4:5]
	v_add_f64 v[10:11], v[34:35], -v[6:7]
	s_waitcnt vmcnt(0)
	v_add_f64 v[0:1], v[0:1], v[12:13]
	v_add_f64 v[2:3], v[2:3], v[14:15]
	global_store_dwordx4 v[42:43], v[0:3], off
.LBB298_16:                             ;   in Loop: Header=BB298_5 Depth=1
	s_or_b64 exec, exec, s[20:21]
	s_nop 0
	v_mov_b64_e32 v[2:3], v[10:11]
	v_mov_b64_e32 v[0:1], v[8:9]
                                        ; implicit-def: $vgpr4_vgpr5
                                        ; implicit-def: $vgpr12_vgpr13
                                        ; implicit-def: $vgpr8_vgpr9
                                        ; implicit-def: $vgpr50_vgpr51
                                        ; implicit-def: $vgpr48_vgpr49
                                        ; implicit-def: $vgpr42
                                        ; implicit-def: $vgpr40
                                        ; implicit-def: $vgpr38
                                        ; implicit-def: $vgpr36
                                        ; implicit-def: $vgpr32
                                        ; implicit-def: $vgpr30
                                        ; implicit-def: $vgpr28
.LBB298_17:                             ;   in Loop: Header=BB298_5 Depth=1
	s_or_saveexec_b64 s[2:3], s[4:5]
	v_mov_b32_e32 v10, s27
	s_xor_b64 exec, exec, s[2:3]
	s_cbranch_execz .LBB298_4
; %bb.18:                               ;   in Loop: Header=BB298_5 Depth=1
	v_mov_b32_e32 v41, v47
	v_mov_b32_e32 v37, v47
	;; [unrolled: 1-line block ×4, first 2 shown]
	v_lshl_add_u64 v[82:83], v[46:47], 4, s[8:9]
	v_mov_b32_e32 v43, v47
	v_lshl_add_u64 v[86:87], v[40:41], 4, s[8:9]
	v_mov_b32_e32 v39, v47
	;; [unrolled: 2-line block ×3, first 2 shown]
	v_lshl_add_u64 v[94:95], v[30:31], 4, s[8:9]
	v_lshl_add_u64 v[96:97], v[28:29], 4, s[8:9]
	;; [unrolled: 1-line block ×3, first 2 shown]
	global_load_dwordx4 v[16:19], v[82:83], off
	global_load_dwordx4 v[54:57], v[84:85], off
	v_lshl_add_u64 v[88:89], v[38:39], 4, s[8:9]
	global_load_dwordx4 v[58:61], v[86:87], off
	global_load_dwordx4 v[62:65], v[88:89], off
	v_lshl_add_u64 v[92:93], v[32:33], 4, s[8:9]
	global_load_dwordx4 v[66:69], v[90:91], off
	global_load_dwordx4 v[70:73], v[92:93], off
	;; [unrolled: 1-line block ×4, first 2 shown]
	v_mul_f64 v[10:11], v[2:3], v[2:3]
	v_fmac_f64_e32 v[10:11], v[0:1], v[0:1]
	v_div_scale_f64 v[22:23], s[4:5], v[10:11], v[10:11], 1.0
	v_rcp_f64_e32 v[24:25], v[22:23]
	v_fma_f64 v[20:21], 0, v[2:3], v[0:1]
	v_fma_f64 v[0:1], v[0:1], 0, -v[2:3]
	v_div_scale_f64 v[2:3], vcc, 1.0, v[10:11], 1.0
	v_fma_f64 v[26:27], -v[22:23], v[24:25], 1.0
	v_fmac_f64_e32 v[24:25], v[24:25], v[26:27]
	v_fma_f64 v[26:27], -v[22:23], v[24:25], 1.0
	v_fmac_f64_e32 v[24:25], v[24:25], v[26:27]
	v_mul_f64 v[26:27], v[2:3], v[24:25]
	v_fma_f64 v[2:3], -v[22:23], v[26:27], v[2:3]
	v_div_fmas_f64 v[2:3], v[2:3], v[24:25], v[26:27]
	v_div_fixup_f64 v[2:3], v[2:3], v[10:11], 1.0
	v_mul_f64 v[52:53], v[0:1], v[2:3]
	v_mul_f64 v[10:11], v[20:21], v[2:3]
	s_waitcnt vmcnt(7)
	v_mul_f64 v[40:41], v[52:53], -v[18:19]
	v_mul_f64 v[42:43], v[52:53], v[16:17]
	v_fmac_f64_e32 v[40:41], v[16:17], v[10:11]
	v_fmac_f64_e32 v[42:43], v[18:19], v[10:11]
	s_waitcnt vmcnt(6)
	v_mul_f64 v[36:37], v[52:53], -v[56:57]
	v_mul_f64 v[38:39], v[52:53], v[54:55]
	s_waitcnt vmcnt(5)
	v_mul_f64 v[32:33], v[52:53], -v[60:61]
	v_mul_f64 v[34:35], v[52:53], v[58:59]
	;; [unrolled: 3-line block ×7, first 2 shown]
	v_fmac_f64_e32 v[36:37], v[54:55], v[10:11]
	v_fmac_f64_e32 v[38:39], v[56:57], v[10:11]
	;; [unrolled: 1-line block ×14, first 2 shown]
	global_store_dwordx4 v[82:83], v[40:43], off
	global_store_dwordx4 v[84:85], v[36:39], off
	;; [unrolled: 1-line block ×8, first 2 shown]
	s_and_saveexec_b64 s[4:5], s[0:1]
	s_cbranch_execz .LBB298_3
; %bb.19:                               ;   in Loop: Header=BB298_5 Depth=1
	v_add_u32_e32 v70, v114, v115
	v_add_u32_e32 v46, s28, v70
	v_lshl_add_u64 v[62:63], v[46:47], 4, s[8:9]
	global_load_dwordx4 v[54:57], v[62:63], off
	v_add_u32_e32 v46, s29, v70
	v_lshl_add_u64 v[64:65], v[46:47], 4, s[8:9]
	global_load_dwordx4 v[58:61], v[64:65], off
	v_add_u32_e32 v46, s30, v70
	v_lshl_add_u64 v[66:67], v[46:47], 4, s[8:9]
	v_add_u32_e32 v46, s31, v70
	s_waitcnt vmcnt(1)
	v_fma_f64 v[54:55], -v[4:5], v[40:41], v[54:55]
	v_fma_f64 v[40:41], -v[6:7], v[40:41], v[56:57]
	v_fmac_f64_e32 v[54:55], v[6:7], v[42:43]
	v_fma_f64 v[56:57], -v[4:5], v[42:43], v[40:41]
	global_store_dwordx4 v[62:63], v[54:57], off
	global_load_dwordx4 v[40:43], v[66:67], off
	v_lshl_add_u64 v[62:63], v[46:47], 4, s[8:9]
	s_waitcnt vmcnt(2)
	v_fma_f64 v[54:55], -v[4:5], v[36:37], v[58:59]
	v_fma_f64 v[36:37], -v[6:7], v[36:37], v[60:61]
	v_fmac_f64_e32 v[54:55], v[6:7], v[38:39]
	v_fma_f64 v[56:57], -v[4:5], v[38:39], v[36:37]
	global_store_dwordx4 v[64:65], v[54:57], off
	global_load_dwordx4 v[36:39], v[62:63], off
	v_add_u32_e32 v46, s33, v70
	v_lshl_add_u64 v[68:69], v[46:47], 4, s[8:9]
	v_add_u32_e32 v46, s34, v70
	s_waitcnt vmcnt(2)
	v_fma_f64 v[40:41], -v[4:5], v[32:33], v[40:41]
	v_fma_f64 v[32:33], -v[6:7], v[32:33], v[42:43]
	v_fmac_f64_e32 v[40:41], v[6:7], v[34:35]
	v_fma_f64 v[42:43], -v[4:5], v[34:35], v[32:33]
	global_store_dwordx4 v[66:67], v[40:43], off
	global_load_dwordx4 v[32:35], v[68:69], off
	s_waitcnt vmcnt(2)
	v_fma_f64 v[36:37], -v[4:5], v[28:29], v[36:37]
	v_fma_f64 v[28:29], -v[6:7], v[28:29], v[38:39]
	;; [unrolled: 1-line block ×3, first 2 shown]
	v_fmac_f64_e32 v[36:37], v[6:7], v[30:31]
	v_lshl_add_u64 v[40:41], v[46:47], 4, s[8:9]
	global_store_dwordx4 v[62:63], v[36:39], off
	v_add_u32_e32 v46, s35, v70
	s_waitcnt vmcnt(1)
	v_fma_f64 v[28:29], -v[4:5], v[24:25], v[32:33]
	v_fma_f64 v[24:25], -v[6:7], v[24:25], v[34:35]
	v_fmac_f64_e32 v[28:29], v[6:7], v[26:27]
	v_fma_f64 v[30:31], -v[4:5], v[26:27], v[24:25]
	global_store_dwordx4 v[68:69], v[28:31], off
	global_load_dwordx4 v[24:27], v[40:41], off
	s_waitcnt vmcnt(0)
	v_fma_f64 v[24:25], -v[4:5], v[20:21], v[24:25]
	v_fma_f64 v[20:21], -v[6:7], v[20:21], v[26:27]
	v_fmac_f64_e32 v[24:25], v[6:7], v[22:23]
	v_fma_f64 v[26:27], -v[4:5], v[22:23], v[20:21]
	v_lshl_add_u64 v[28:29], v[46:47], 4, s[8:9]
	global_store_dwordx4 v[40:41], v[24:27], off
	global_load_dwordx4 v[20:23], v[28:29], off
	v_add_u32_e32 v46, s36, v70
	v_lshl_add_u64 v[24:25], v[46:47], 4, s[8:9]
	s_waitcnt vmcnt(0)
	v_fma_f64 v[20:21], -v[4:5], v[16:17], v[20:21]
	v_fma_f64 v[16:17], -v[6:7], v[16:17], v[22:23]
	v_fmac_f64_e32 v[20:21], v[6:7], v[18:19]
	v_fma_f64 v[22:23], -v[4:5], v[18:19], v[16:17]
	global_store_dwordx4 v[28:29], v[20:23], off
	global_load_dwordx4 v[16:19], v[24:25], off
	s_waitcnt vmcnt(0)
	v_fma_f64 v[16:17], -v[4:5], v[0:1], v[16:17]
	v_fma_f64 v[0:1], -v[6:7], v[0:1], v[18:19]
	v_fmac_f64_e32 v[16:17], v[6:7], v[2:3]
	v_fma_f64 v[18:19], -v[4:5], v[2:3], v[0:1]
	global_store_dwordx4 v[24:25], v[16:19], off
	s_branch .LBB298_3
.LBB298_20:
	s_or_b64 exec, exec, s[18:19]
	s_branch .LBB298_22
.LBB298_21:
	v_mov_b32_e32 v115, 0
.LBB298_22:
	v_subrev_u32_e32 v2, s22, v115
	v_add_u32_e32 v0, v2, v44
	v_ashrrev_i32_e32 v1, 31, v0
	s_waitcnt lgkmcnt(0)
	v_lshl_add_u64 v[0:1], v[0:1], 2, s[6:7]
	buffer_wbl2 sc1
	s_waitcnt vmcnt(0)
	buffer_inv sc1
	global_load_dword v0, v[0:1], off
	s_waitcnt vmcnt(0)
	v_mul_lo_u32 v0, v0, s22
	v_sub_u32_e32 v36, v2, v0
	v_cmp_lt_i32_e32 vcc, -1, v36
	s_and_b64 exec, exec, vcc
	s_cbranch_execz .LBB298_29
; %bb.23:
	s_lshl_b32 s4, s24, 3
	s_add_i32 s5, s4, s23
	s_add_i32 s12, s5, s23
	;; [unrolled: 1-line block ×7, first 2 shown]
	s_lshl_b32 s18, s22, 1
	s_mov_b64 s[0:1], 0
	v_mov_b32_e32 v33, 0
	s_branch .LBB298_25
.LBB298_24:                             ;   in Loop: Header=BB298_25 Depth=1
	s_or_b64 exec, exec, s[2:3]
	v_sub_u32_e32 v36, v36, v4
	v_cmp_gt_i32_e32 vcc, 0, v36
	s_or_b64 s[0:1], vcc, s[0:1]
	s_andn2_b64 exec, exec, s[0:1]
	s_cbranch_execz .LBB298_29
.LBB298_25:                             ; =>This Inner Loop Header: Depth=1
	v_add_u32_e32 v34, v36, v44
	v_ashrrev_i32_e32 v35, 31, v34
	s_waitcnt vmcnt(0)
	v_lshl_add_u64 v[0:1], v[34:35], 2, s[6:7]
	global_load_dword v4, v[0:1], off
	v_lshl_add_u64 v[0:1], v[34:35], 4, s[10:11]
	global_load_dwordx4 v[0:3], v[0:1], off
	s_waitcnt vmcnt(1)
	v_cmp_ne_u32_e32 vcc, 1, v4
	s_and_saveexec_b64 s[2:3], vcc
	s_xor_b64 s[2:3], exec, s[2:3]
	s_cbranch_execz .LBB298_27
; %bb.26:                               ;   in Loop: Header=BB298_25 Depth=1
	v_add_u32_e32 v4, v114, v36
	v_add_u32_e32 v32, s4, v4
	v_lshl_add_u64 v[42:43], v[32:33], 4, s[8:9]
	v_add_u32_e32 v32, s5, v4
	v_lshl_add_u64 v[50:51], v[32:33], 4, s[8:9]
	;; [unrolled: 2-line block ×9, first 2 shown]
	global_load_dwordx4 v[38:41], v[64:65], off
	global_load_dwordx4 v[46:49], v[42:43], off
	;; [unrolled: 1-line block ×9, first 2 shown]
	v_add_u32_e32 v32, s5, v34
	v_lshl_add_u64 v[42:43], v[32:33], 4, s[8:9]
	v_add_u32_e32 v32, s12, v34
	v_lshl_add_u64 v[50:51], v[32:33], 4, s[8:9]
	v_add_u32_e32 v32, s13, v34
	s_waitcnt vmcnt(7)
	v_fma_f64 v[38:39], -v[0:1], v[46:47], v[38:39]
	v_fma_f64 v[40:41], -v[2:3], v[46:47], v[40:41]
	v_fmac_f64_e32 v[38:39], v[2:3], v[48:49]
	v_fma_f64 v[40:41], -v[0:1], v[48:49], v[40:41]
	global_store_dwordx4 v[64:65], v[38:41], off
	global_load_dwordx4 v[38:41], v[42:43], off
	s_waitcnt vmcnt(0)
	v_fma_f64 v[38:39], -v[0:1], v[28:29], v[38:39]
	v_fma_f64 v[40:41], -v[2:3], v[28:29], v[40:41]
	v_fmac_f64_e32 v[38:39], v[2:3], v[30:31]
	v_fma_f64 v[40:41], -v[0:1], v[30:31], v[40:41]
	global_store_dwordx4 v[42:43], v[38:41], off
	global_load_dwordx4 v[38:41], v[50:51], off
	v_lshl_add_u64 v[42:43], v[32:33], 4, s[8:9]
	v_add_u32_e32 v32, s14, v34
	s_waitcnt vmcnt(0)
	v_fma_f64 v[38:39], -v[0:1], v[24:25], v[38:39]
	v_fma_f64 v[40:41], -v[2:3], v[24:25], v[40:41]
	v_fmac_f64_e32 v[38:39], v[2:3], v[26:27]
	v_fma_f64 v[40:41], -v[0:1], v[26:27], v[40:41]
	global_store_dwordx4 v[50:51], v[38:41], off
	global_load_dwordx4 v[38:41], v[42:43], off
	v_lshl_add_u64 v[50:51], v[32:33], 4, s[8:9]
	v_add_u32_e32 v32, s15, v34
	s_waitcnt vmcnt(0)
	v_fma_f64 v[38:39], -v[0:1], v[20:21], v[38:39]
	v_fma_f64 v[40:41], -v[2:3], v[20:21], v[40:41]
	v_fmac_f64_e32 v[38:39], v[2:3], v[22:23]
	v_fma_f64 v[40:41], -v[0:1], v[22:23], v[40:41]
	global_store_dwordx4 v[42:43], v[38:41], off
	global_load_dwordx4 v[38:41], v[50:51], off
	v_lshl_add_u64 v[42:43], v[32:33], 4, s[8:9]
	v_add_u32_e32 v32, s16, v34
	s_waitcnt vmcnt(0)
	v_fma_f64 v[38:39], -v[0:1], v[16:17], v[38:39]
	v_fma_f64 v[40:41], -v[2:3], v[16:17], v[40:41]
	v_fmac_f64_e32 v[38:39], v[2:3], v[18:19]
	v_fma_f64 v[40:41], -v[0:1], v[18:19], v[40:41]
	global_store_dwordx4 v[50:51], v[38:41], off
	global_load_dwordx4 v[38:41], v[42:43], off
	v_lshl_add_u64 v[50:51], v[32:33], 4, s[8:9]
	v_add_u32_e32 v32, s17, v34
	v_lshl_add_u64 v[34:35], v[32:33], 4, s[8:9]
	v_subrev_u32_e32 v32, s22, v36
	s_waitcnt vmcnt(0)
	v_fma_f64 v[38:39], -v[0:1], v[12:13], v[38:39]
	v_fma_f64 v[40:41], -v[2:3], v[12:13], v[40:41]
	v_fmac_f64_e32 v[38:39], v[2:3], v[14:15]
	v_fma_f64 v[40:41], -v[0:1], v[14:15], v[40:41]
	global_store_dwordx4 v[42:43], v[38:41], off
	global_load_dwordx4 v[38:41], v[50:51], off
	v_add_u32_e32 v42, v32, v44
	v_ashrrev_i32_e32 v43, 31, v42
	v_add_u32_e32 v32, s4, v42
	v_lshl_add_u64 v[54:55], v[32:33], 4, s[8:9]
	v_add_u32_e32 v32, s5, v42
	s_waitcnt vmcnt(0)
	v_fma_f64 v[38:39], -v[0:1], v[8:9], v[38:39]
	v_fma_f64 v[40:41], -v[2:3], v[8:9], v[40:41]
	v_fmac_f64_e32 v[38:39], v[2:3], v[10:11]
	v_fma_f64 v[40:41], -v[0:1], v[10:11], v[40:41]
	global_store_dwordx4 v[50:51], v[38:41], off
	global_load_dwordx4 v[38:41], v[34:35], off
	v_lshl_add_u64 v[50:51], v[42:43], 4, s[10:11]
	global_load_dwordx4 v[50:53], v[50:51], off
	s_waitcnt vmcnt(1)
	v_fma_f64 v[38:39], -v[0:1], v[4:5], v[38:39]
	v_fma_f64 v[40:41], -v[2:3], v[4:5], v[40:41]
	v_fmac_f64_e32 v[38:39], v[2:3], v[6:7]
	v_fma_f64 v[40:41], -v[0:1], v[6:7], v[40:41]
	global_store_dwordx4 v[34:35], v[38:41], off
	global_load_dwordx4 v[0:3], v[54:55], off
	v_lshl_add_u64 v[34:35], v[32:33], 4, s[8:9]
	v_add_u32_e32 v32, s12, v42
	v_lshl_add_u64 v[38:39], v[32:33], 4, s[8:9]
	v_add_u32_e32 v32, s13, v42
	s_waitcnt vmcnt(0)
	v_fma_f64 v[0:1], -v[50:51], v[46:47], v[0:1]
	v_fma_f64 v[2:3], -v[52:53], v[46:47], v[2:3]
	v_fmac_f64_e32 v[0:1], v[52:53], v[48:49]
	v_fma_f64 v[2:3], -v[50:51], v[48:49], v[2:3]
	global_store_dwordx4 v[54:55], v[0:3], off
	global_load_dwordx4 v[0:3], v[34:35], off
	s_waitcnt vmcnt(0)
	v_fma_f64 v[0:1], -v[50:51], v[28:29], v[0:1]
	v_fma_f64 v[2:3], -v[52:53], v[28:29], v[2:3]
	v_fmac_f64_e32 v[0:1], v[52:53], v[30:31]
	v_fma_f64 v[2:3], -v[50:51], v[30:31], v[2:3]
	global_store_dwordx4 v[34:35], v[0:3], off
	global_load_dwordx4 v[0:3], v[38:39], off
	v_lshl_add_u64 v[28:29], v[32:33], 4, s[8:9]
	v_add_u32_e32 v32, s14, v42
                                        ; implicit-def: $vgpr34
	s_waitcnt vmcnt(0)
	v_fma_f64 v[0:1], -v[50:51], v[24:25], v[0:1]
	v_fma_f64 v[2:3], -v[52:53], v[24:25], v[2:3]
	v_fmac_f64_e32 v[0:1], v[52:53], v[26:27]
	v_fma_f64 v[2:3], -v[50:51], v[26:27], v[2:3]
	global_store_dwordx4 v[38:39], v[0:3], off
	global_load_dwordx4 v[0:3], v[28:29], off
	v_lshl_add_u64 v[24:25], v[32:33], 4, s[8:9]
	v_add_u32_e32 v32, s15, v42
	s_waitcnt vmcnt(0)
	v_fma_f64 v[0:1], -v[50:51], v[20:21], v[0:1]
	v_fma_f64 v[2:3], -v[52:53], v[20:21], v[2:3]
	v_fmac_f64_e32 v[0:1], v[52:53], v[22:23]
	v_fma_f64 v[2:3], -v[50:51], v[22:23], v[2:3]
	global_store_dwordx4 v[28:29], v[0:3], off
	global_load_dwordx4 v[0:3], v[24:25], off
	v_lshl_add_u64 v[20:21], v[32:33], 4, s[8:9]
	v_add_u32_e32 v32, s16, v42
	;; [unrolled: 9-line block ×3, first 2 shown]
	s_waitcnt vmcnt(0)
	v_fma_f64 v[0:1], -v[50:51], v[12:13], v[0:1]
	v_fma_f64 v[2:3], -v[52:53], v[12:13], v[2:3]
	v_fmac_f64_e32 v[0:1], v[52:53], v[14:15]
	v_fma_f64 v[2:3], -v[50:51], v[14:15], v[2:3]
	global_store_dwordx4 v[20:21], v[0:3], off
	global_load_dwordx4 v[0:3], v[16:17], off
	v_lshl_add_u64 v[12:13], v[32:33], 4, s[8:9]
	s_waitcnt vmcnt(0)
	v_fma_f64 v[0:1], -v[50:51], v[8:9], v[0:1]
	v_fma_f64 v[2:3], -v[52:53], v[8:9], v[2:3]
	v_fmac_f64_e32 v[0:1], v[52:53], v[10:11]
	v_fma_f64 v[2:3], -v[50:51], v[10:11], v[2:3]
	global_store_dwordx4 v[16:17], v[0:3], off
	global_load_dwordx4 v[0:3], v[12:13], off
	s_waitcnt vmcnt(0)
	v_fma_f64 v[0:1], -v[50:51], v[4:5], v[0:1]
	v_fma_f64 v[2:3], -v[52:53], v[4:5], v[2:3]
	v_fmac_f64_e32 v[0:1], v[52:53], v[6:7]
	v_fma_f64 v[2:3], -v[50:51], v[6:7], v[2:3]
	global_store_dwordx4 v[12:13], v[0:3], off
                                        ; implicit-def: $vgpr0_vgpr1
.LBB298_27:                             ;   in Loop: Header=BB298_25 Depth=1
	s_or_saveexec_b64 s[2:3], s[2:3]
	v_mov_b32_e32 v4, s18
	s_xor_b64 exec, exec, s[2:3]
	s_cbranch_execz .LBB298_24
; %bb.28:                               ;   in Loop: Header=BB298_25 Depth=1
	v_add_u32_e32 v18, v114, v36
	v_add_u32_e32 v32, s4, v18
	v_lshl_add_u64 v[12:13], v[32:33], 4, s[8:9]
	v_add_u32_e32 v32, s4, v34
	v_lshl_add_u64 v[14:15], v[32:33], 4, s[8:9]
	global_load_dwordx4 v[4:7], v[12:13], off
	global_load_dwordx4 v[8:11], v[14:15], off
	v_add_u32_e32 v32, s5, v18
	v_lshl_add_u64 v[12:13], v[32:33], 4, s[8:9]
	v_add_u32_e32 v32, s5, v34
	v_lshl_add_u64 v[16:17], v[32:33], 4, s[8:9]
	v_add_u32_e32 v32, s12, v18
	s_waitcnt vmcnt(0)
	v_fma_f64 v[8:9], -v[0:1], v[4:5], v[8:9]
	v_fma_f64 v[4:5], -v[2:3], v[4:5], v[10:11]
	v_fmac_f64_e32 v[8:9], v[2:3], v[6:7]
	v_fma_f64 v[10:11], -v[0:1], v[6:7], v[4:5]
	global_store_dwordx4 v[14:15], v[8:11], off
	global_load_dwordx4 v[4:7], v[12:13], off
	s_nop 0
	global_load_dwordx4 v[8:11], v[16:17], off
	v_lshl_add_u64 v[12:13], v[32:33], 4, s[8:9]
	v_add_u32_e32 v32, s12, v34
	v_lshl_add_u64 v[14:15], v[32:33], 4, s[8:9]
	v_add_u32_e32 v32, s13, v18
	s_waitcnt vmcnt(0)
	v_fma_f64 v[8:9], -v[0:1], v[4:5], v[8:9]
	v_fma_f64 v[4:5], -v[2:3], v[4:5], v[10:11]
	v_fmac_f64_e32 v[8:9], v[2:3], v[6:7]
	v_fma_f64 v[10:11], -v[0:1], v[6:7], v[4:5]
	global_store_dwordx4 v[16:17], v[8:11], off
	global_load_dwordx4 v[4:7], v[12:13], off
	s_nop 0
	global_load_dwordx4 v[8:11], v[14:15], off
	;; [unrolled: 13-line block ×6, first 2 shown]
	v_lshl_add_u64 v[12:13], v[32:33], 4, s[8:9]
	v_add_u32_e32 v32, s17, v34
	v_lshl_add_u64 v[16:17], v[32:33], 4, s[8:9]
	s_waitcnt vmcnt(0)
	v_fma_f64 v[8:9], -v[0:1], v[4:5], v[8:9]
	v_fma_f64 v[4:5], -v[2:3], v[4:5], v[10:11]
	v_fmac_f64_e32 v[8:9], v[2:3], v[6:7]
	v_fma_f64 v[10:11], -v[0:1], v[6:7], v[4:5]
	global_store_dwordx4 v[14:15], v[8:11], off
	global_load_dwordx4 v[4:7], v[12:13], off
	s_nop 0
	global_load_dwordx4 v[8:11], v[16:17], off
	s_waitcnt vmcnt(0)
	v_fma_f64 v[8:9], -v[0:1], v[4:5], v[8:9]
	v_fma_f64 v[4:5], -v[2:3], v[4:5], v[10:11]
	v_fmac_f64_e32 v[8:9], v[2:3], v[6:7]
	v_fma_f64 v[10:11], -v[0:1], v[6:7], v[4:5]
	v_mov_b32_e32 v4, s22
	global_store_dwordx4 v[16:17], v[8:11], off
	s_branch .LBB298_24
.LBB298_29:
	s_endpgm
	.section	.rodata,"a",@progbits
	.p2align	6, 0x0
	.amdhsa_kernel _ZN9rocsparseL19gtsv_LBM_rhs_kernelILj256ELj8ELj8E21rocsparse_complex_numIdEEEviiiPKT2_S5_S5_PS3_S5_PKi
		.amdhsa_group_segment_fixed_size 0
		.amdhsa_private_segment_fixed_size 0
		.amdhsa_kernarg_size 64
		.amdhsa_user_sgpr_count 2
		.amdhsa_user_sgpr_dispatch_ptr 0
		.amdhsa_user_sgpr_queue_ptr 0
		.amdhsa_user_sgpr_kernarg_segment_ptr 1
		.amdhsa_user_sgpr_dispatch_id 0
		.amdhsa_user_sgpr_kernarg_preload_length 0
		.amdhsa_user_sgpr_kernarg_preload_offset 0
		.amdhsa_user_sgpr_private_segment_size 0
		.amdhsa_uses_dynamic_stack 0
		.amdhsa_enable_private_segment 0
		.amdhsa_system_sgpr_workgroup_id_x 1
		.amdhsa_system_sgpr_workgroup_id_y 1
		.amdhsa_system_sgpr_workgroup_id_z 0
		.amdhsa_system_sgpr_workgroup_info 0
		.amdhsa_system_vgpr_workitem_id 0
		.amdhsa_next_free_vgpr 156
		.amdhsa_next_free_sgpr 37
		.amdhsa_accum_offset 156
		.amdhsa_reserve_vcc 1
		.amdhsa_float_round_mode_32 0
		.amdhsa_float_round_mode_16_64 0
		.amdhsa_float_denorm_mode_32 3
		.amdhsa_float_denorm_mode_16_64 3
		.amdhsa_dx10_clamp 1
		.amdhsa_ieee_mode 1
		.amdhsa_fp16_overflow 0
		.amdhsa_tg_split 0
		.amdhsa_exception_fp_ieee_invalid_op 0
		.amdhsa_exception_fp_denorm_src 0
		.amdhsa_exception_fp_ieee_div_zero 0
		.amdhsa_exception_fp_ieee_overflow 0
		.amdhsa_exception_fp_ieee_underflow 0
		.amdhsa_exception_fp_ieee_inexact 0
		.amdhsa_exception_int_div_zero 0
	.end_amdhsa_kernel
	.section	.text._ZN9rocsparseL19gtsv_LBM_rhs_kernelILj256ELj8ELj8E21rocsparse_complex_numIdEEEviiiPKT2_S5_S5_PS3_S5_PKi,"axG",@progbits,_ZN9rocsparseL19gtsv_LBM_rhs_kernelILj256ELj8ELj8E21rocsparse_complex_numIdEEEviiiPKT2_S5_S5_PS3_S5_PKi,comdat
.Lfunc_end298:
	.size	_ZN9rocsparseL19gtsv_LBM_rhs_kernelILj256ELj8ELj8E21rocsparse_complex_numIdEEEviiiPKT2_S5_S5_PS3_S5_PKi, .Lfunc_end298-_ZN9rocsparseL19gtsv_LBM_rhs_kernelILj256ELj8ELj8E21rocsparse_complex_numIdEEEviiiPKT2_S5_S5_PS3_S5_PKi
                                        ; -- End function
	.set _ZN9rocsparseL19gtsv_LBM_rhs_kernelILj256ELj8ELj8E21rocsparse_complex_numIdEEEviiiPKT2_S5_S5_PS3_S5_PKi.num_vgpr, 156
	.set _ZN9rocsparseL19gtsv_LBM_rhs_kernelILj256ELj8ELj8E21rocsparse_complex_numIdEEEviiiPKT2_S5_S5_PS3_S5_PKi.num_agpr, 0
	.set _ZN9rocsparseL19gtsv_LBM_rhs_kernelILj256ELj8ELj8E21rocsparse_complex_numIdEEEviiiPKT2_S5_S5_PS3_S5_PKi.numbered_sgpr, 37
	.set _ZN9rocsparseL19gtsv_LBM_rhs_kernelILj256ELj8ELj8E21rocsparse_complex_numIdEEEviiiPKT2_S5_S5_PS3_S5_PKi.num_named_barrier, 0
	.set _ZN9rocsparseL19gtsv_LBM_rhs_kernelILj256ELj8ELj8E21rocsparse_complex_numIdEEEviiiPKT2_S5_S5_PS3_S5_PKi.private_seg_size, 0
	.set _ZN9rocsparseL19gtsv_LBM_rhs_kernelILj256ELj8ELj8E21rocsparse_complex_numIdEEEviiiPKT2_S5_S5_PS3_S5_PKi.uses_vcc, 1
	.set _ZN9rocsparseL19gtsv_LBM_rhs_kernelILj256ELj8ELj8E21rocsparse_complex_numIdEEEviiiPKT2_S5_S5_PS3_S5_PKi.uses_flat_scratch, 0
	.set _ZN9rocsparseL19gtsv_LBM_rhs_kernelILj256ELj8ELj8E21rocsparse_complex_numIdEEEviiiPKT2_S5_S5_PS3_S5_PKi.has_dyn_sized_stack, 0
	.set _ZN9rocsparseL19gtsv_LBM_rhs_kernelILj256ELj8ELj8E21rocsparse_complex_numIdEEEviiiPKT2_S5_S5_PS3_S5_PKi.has_recursion, 0
	.set _ZN9rocsparseL19gtsv_LBM_rhs_kernelILj256ELj8ELj8E21rocsparse_complex_numIdEEEviiiPKT2_S5_S5_PS3_S5_PKi.has_indirect_call, 0
	.section	.AMDGPU.csdata,"",@progbits
; Kernel info:
; codeLenInByte = 7028
; TotalNumSgprs: 43
; NumVgprs: 156
; NumAgprs: 0
; TotalNumVgprs: 156
; ScratchSize: 0
; MemoryBound: 1
; FloatMode: 240
; IeeeMode: 1
; LDSByteSize: 0 bytes/workgroup (compile time only)
; SGPRBlocks: 5
; VGPRBlocks: 19
; NumSGPRsForWavesPerEU: 43
; NumVGPRsForWavesPerEU: 156
; AccumOffset: 156
; Occupancy: 3
; WaveLimiterHint : 0
; COMPUTE_PGM_RSRC2:SCRATCH_EN: 0
; COMPUTE_PGM_RSRC2:USER_SGPR: 2
; COMPUTE_PGM_RSRC2:TRAP_HANDLER: 0
; COMPUTE_PGM_RSRC2:TGID_X_EN: 1
; COMPUTE_PGM_RSRC2:TGID_Y_EN: 1
; COMPUTE_PGM_RSRC2:TGID_Z_EN: 0
; COMPUTE_PGM_RSRC2:TIDIG_COMP_CNT: 0
; COMPUTE_PGM_RSRC3_GFX90A:ACCUM_OFFSET: 38
; COMPUTE_PGM_RSRC3_GFX90A:TG_SPLIT: 0
	.section	.text._ZN9rocsparseL19gtsv_LBM_rhs_kernelILj256ELj8ELj4E21rocsparse_complex_numIdEEEviiiPKT2_S5_S5_PS3_S5_PKi,"axG",@progbits,_ZN9rocsparseL19gtsv_LBM_rhs_kernelILj256ELj8ELj4E21rocsparse_complex_numIdEEEviiiPKT2_S5_S5_PS3_S5_PKi,comdat
	.globl	_ZN9rocsparseL19gtsv_LBM_rhs_kernelILj256ELj8ELj4E21rocsparse_complex_numIdEEEviiiPKT2_S5_S5_PS3_S5_PKi ; -- Begin function _ZN9rocsparseL19gtsv_LBM_rhs_kernelILj256ELj8ELj4E21rocsparse_complex_numIdEEEviiiPKT2_S5_S5_PS3_S5_PKi
	.p2align	8
	.type	_ZN9rocsparseL19gtsv_LBM_rhs_kernelILj256ELj8ELj4E21rocsparse_complex_numIdEEEviiiPKT2_S5_S5_PS3_S5_PKi,@function
_ZN9rocsparseL19gtsv_LBM_rhs_kernelILj256ELj8ELj4E21rocsparse_complex_numIdEEEviiiPKT2_S5_S5_PS3_S5_PKi: ; @_ZN9rocsparseL19gtsv_LBM_rhs_kernelILj256ELj8ELj4E21rocsparse_complex_numIdEEEviiiPKT2_S5_S5_PS3_S5_PKi
; %bb.0:
	s_load_dword s23, s[0:1], 0x0
	v_lshl_or_b32 v28, s2, 8, v0
	s_waitcnt lgkmcnt(0)
	s_lshr_b32 s22, s23, 3
	v_cmp_gt_i32_e32 vcc, s22, v28
	s_and_saveexec_b64 s[4:5], vcc
	s_cbranch_execz .LBB299_29
; %bb.1:
	s_load_dwordx4 s[8:11], s[0:1], 0x28
	s_load_dwordx2 s[6:7], s[0:1], 0x38
	s_cmp_lt_i32 s23, 1
	v_add_u32_e32 v64, s22, v28
	s_mul_i32 s24, s3, s23
	s_cbranch_scc1 .LBB299_21
; %bb.2:
	s_load_dwordx4 s[12:15], s[0:1], 0x10
	s_load_dwordx2 s[16:17], s[0:1], 0x20
	v_ashrrev_i32_e32 v29, 31, v28
	s_lshl_b32 s28, s24, 2
	s_add_i32 s29, s28, s23
	s_waitcnt lgkmcnt(0)
	v_lshl_add_u64 v[0:1], v[28:29], 4, s[14:15]
	global_load_dwordx4 v[0:3], v[0:1], off
	s_add_i32 s30, s29, s23
	s_mul_i32 s25, s22, 7
	s_mul_i32 s26, s22, 6
	s_lshl_b32 s27, s22, 1
	v_add_u32_e32 v65, s22, v64
	s_add_i32 s31, s30, s23
	v_mov_b32_e32 v31, 0
	s_mov_b64 s[18:19], 0
	v_mov_b32_e32 v29, 0
	s_branch .LBB299_5
.LBB299_3:                              ;   in Loop: Header=BB299_5 Depth=1
	s_or_b64 exec, exec, s[4:5]
	v_fmac_f64_e32 v[34:35], v[4:5], v[8:9]
	v_fmac_f64_e32 v[32:33], v[6:7], v[8:9]
	v_mul_f64 v[0:1], v[36:37], -v[32:33]
	v_mul_f64 v[2:3], v[36:37], v[34:35]
	v_fmac_f64_e32 v[0:1], v[34:35], v[10:11]
	v_fmac_f64_e32 v[2:3], v[32:33], v[10:11]
	v_add_f64 v[0:1], v[12:13], -v[0:1]
	v_add_f64 v[2:3], v[14:15], -v[2:3]
	v_mov_b32_e32 v10, s22
.LBB299_4:                              ;   in Loop: Header=BB299_5 Depth=1
	s_or_b64 exec, exec, s[2:3]
	v_add_u32_e32 v29, v10, v29
	v_cmp_le_i32_e32 vcc, s23, v29
	s_or_b64 s[18:19], vcc, s[18:19]
	s_andn2_b64 exec, exec, s[18:19]
	s_cbranch_execz .LBB299_20
.LBB299_5:                              ; =>This Inner Loop Header: Depth=1
	v_add_u32_e32 v24, v29, v28
	v_ashrrev_i32_e32 v25, 31, v24
	v_lshl_add_u64 v[4:5], v[24:25], 4, s[16:17]
	global_load_dwordx4 v[8:11], v[4:5], off
	v_cmp_gt_u32_e64 s[0:1], s25, v29
	v_mov_b64_e32 v[12:13], 0
	v_mov_b64_e32 v[4:5], 0
	;; [unrolled: 1-line block ×3, first 2 shown]
	s_and_saveexec_b64 s[2:3], s[0:1]
	s_cbranch_execz .LBB299_7
; %bb.6:                                ;   in Loop: Header=BB299_5 Depth=1
	v_add_u32_e32 v4, v64, v29
	v_ashrrev_i32_e32 v5, 31, v4
	v_lshl_add_u64 v[4:5], v[4:5], 4, s[12:13]
	global_load_dwordx4 v[4:7], v[4:5], off
.LBB299_7:                              ;   in Loop: Header=BB299_5 Depth=1
	s_or_b64 exec, exec, s[2:3]
	v_mov_b64_e32 v[14:15], 0
	s_and_saveexec_b64 s[2:3], s[0:1]
	s_cbranch_execz .LBB299_9
; %bb.8:                                ;   in Loop: Header=BB299_5 Depth=1
	v_add_u32_e32 v12, v64, v29
	v_ashrrev_i32_e32 v13, 31, v12
	v_lshl_add_u64 v[12:13], v[12:13], 4, s[14:15]
	global_load_dwordx4 v[12:15], v[12:13], off
.LBB299_9:                              ;   in Loop: Header=BB299_5 Depth=1
	s_or_b64 exec, exec, s[2:3]
	v_mov_b64_e32 v[20:21], 0
	v_mov_b64_e32 v[16:17], 0
	;; [unrolled: 1-line block ×3, first 2 shown]
	s_and_saveexec_b64 s[2:3], s[0:1]
	s_cbranch_execz .LBB299_11
; %bb.10:                               ;   in Loop: Header=BB299_5 Depth=1
	v_add_u32_e32 v16, v64, v29
	v_ashrrev_i32_e32 v17, 31, v16
	v_lshl_add_u64 v[16:17], v[16:17], 4, s[16:17]
	global_load_dwordx4 v[16:19], v[16:17], off
.LBB299_11:                             ;   in Loop: Header=BB299_5 Depth=1
	s_or_b64 exec, exec, s[2:3]
	v_cmp_gt_u32_e64 s[2:3], s26, v29
	v_mov_b64_e32 v[22:23], 0
	s_and_saveexec_b64 s[4:5], s[2:3]
	s_cbranch_execz .LBB299_13
; %bb.12:                               ;   in Loop: Header=BB299_5 Depth=1
	v_add_u32_e32 v20, v65, v29
	v_ashrrev_i32_e32 v21, 31, v20
	v_lshl_add_u64 v[20:21], v[20:21], 4, s[12:13]
	global_load_dwordx4 v[20:23], v[20:21], off
.LBB299_13:                             ;   in Loop: Header=BB299_5 Depth=1
	s_or_b64 exec, exec, s[4:5]
	v_lshl_add_u64 v[26:27], v[24:25], 2, s[6:7]
	global_load_dword v25, v[26:27], off
	v_cmp_ne_u32_e32 vcc, s25, v29
	s_waitcnt vmcnt(1)
	v_mul_f64 v[34:35], v[10:11], -v[6:7]
	v_mul_f64 v[32:33], v[10:11], v[4:5]
	v_add_u32_e32 v30, s28, v24
	v_add_u32_e32 v42, s29, v24
	;; [unrolled: 1-line block ×4, first 2 shown]
	s_waitcnt vmcnt(0)
	v_cmp_ne_u32_e64 s[4:5], 1, v25
	s_and_b64 s[4:5], vcc, s[4:5]
	s_and_saveexec_b64 s[20:21], s[4:5]
	s_xor_b64 s[4:5], exec, s[20:21]
	s_cbranch_execz .LBB299_17
; %bb.14:                               ;   in Loop: Header=BB299_5 Depth=1
	v_add_u32_e32 v44, v64, v29
	v_lshl_add_u64 v[40:41], v[30:31], 4, s[8:9]
	v_add_u32_e32 v30, s28, v44
	v_mov_b32_e32 v43, v31
	v_lshl_add_u64 v[48:49], v[42:43], 4, s[8:9]
	v_lshl_add_u64 v[82:83], v[30:31], 4, s[8:9]
	v_add_u32_e32 v30, s29, v44
	global_load_dwordx4 v[24:27], v[40:41], off
	global_load_dwordx4 v[52:55], v[48:49], off
	;; [unrolled: 1-line block ×3, first 2 shown]
	v_lshl_add_u64 v[84:85], v[30:31], 4, s[8:9]
	global_load_dwordx4 v[60:63], v[84:85], off
	v_mov_b32_e32 v39, v31
	v_add_u32_e32 v30, s30, v44
	v_lshl_add_u64 v[86:87], v[38:39], 4, s[8:9]
	v_lshl_add_u64 v[88:89], v[30:31], 4, s[8:9]
	global_load_dwordx4 v[66:69], v[86:87], off
	global_load_dwordx4 v[70:73], v[88:89], off
	v_mov_b32_e32 v37, v31
	v_lshl_add_u64 v[90:91], v[36:37], 4, s[8:9]
	global_load_dwordx4 v[74:77], v[90:91], off
	v_add_u32_e32 v30, s31, v44
	v_lshl_add_u64 v[92:93], v[30:31], 4, s[8:9]
	global_load_dwordx4 v[78:81], v[92:93], off
	v_mul_f64 v[42:43], v[0:1], v[14:15]
	v_mul_f64 v[38:39], v[14:15], -v[2:3]
	v_fmac_f64_e32 v[32:33], v[6:7], v[8:9]
	v_fmac_f64_e32 v[42:43], v[2:3], v[12:13]
	;; [unrolled: 1-line block ×4, first 2 shown]
	v_add_f64 v[32:33], v[42:43], -v[32:33]
	v_add_f64 v[34:35], v[38:39], -v[34:35]
	v_mul_f64 v[36:37], v[32:33], v[32:33]
	v_fmac_f64_e32 v[36:37], v[34:35], v[34:35]
	v_div_scale_f64 v[42:43], s[20:21], v[36:37], v[36:37], 1.0
	v_rcp_f64_e32 v[44:45], v[42:43]
	v_fma_f64 v[38:39], 0, v[32:33], v[34:35]
	v_fma_f64 v[34:35], v[34:35], 0, -v[32:33]
	v_div_scale_f64 v[32:33], vcc, 1.0, v[36:37], 1.0
	v_fma_f64 v[46:47], -v[42:43], v[44:45], 1.0
	v_fmac_f64_e32 v[44:45], v[44:45], v[46:47]
	v_fma_f64 v[46:47], -v[42:43], v[44:45], 1.0
	v_fmac_f64_e32 v[44:45], v[44:45], v[46:47]
	v_mul_f64 v[46:47], v[32:33], v[44:45]
	v_fma_f64 v[32:33], -v[42:43], v[46:47], v[32:33]
	v_div_fmas_f64 v[32:33], v[32:33], v[44:45], v[46:47]
	v_div_fixup_f64 v[36:37], v[32:33], v[36:37], 1.0
	v_mul_f64 v[34:35], v[34:35], v[36:37]
	v_mul_f64 v[32:33], v[38:39], v[36:37]
	s_waitcnt vmcnt(7)
	v_mul_f64 v[36:37], v[34:35], -v[26:27]
	v_mul_f64 v[42:43], v[34:35], v[24:25]
	s_waitcnt vmcnt(6)
	v_mul_f64 v[46:47], v[34:35], v[52:53]
	s_waitcnt vmcnt(5)
	v_mul_f64 v[50:51], v[34:35], v[56:57]
	v_fmac_f64_e32 v[36:37], v[24:25], v[32:33]
	v_fmac_f64_e32 v[42:43], v[26:27], v[32:33]
	v_mul_f64 v[24:25], v[34:35], -v[54:55]
	v_mul_f64 v[38:39], v[34:35], -v[58:59]
	v_fmac_f64_e32 v[46:47], v[54:55], v[32:33]
	v_fmac_f64_e32 v[50:51], v[58:59], v[32:33]
	s_waitcnt vmcnt(4)
	v_mul_f64 v[54:55], v[34:35], v[60:61]
	v_mul_f64 v[26:27], v[42:43], -v[14:15]
	v_mul_f64 v[94:95], v[12:13], v[42:43]
	v_fmac_f64_e32 v[38:39], v[56:57], v[32:33]
	v_mul_f64 v[44:45], v[34:35], -v[62:63]
	v_mul_f64 v[56:57], v[50:51], -v[10:11]
	v_mul_f64 v[58:59], v[8:9], v[50:51]
	v_fmac_f64_e32 v[54:55], v[62:63], v[32:33]
	v_fmac_f64_e32 v[24:25], v[52:53], v[32:33]
	;; [unrolled: 1-line block ×4, first 2 shown]
	v_mul_f64 v[52:53], v[46:47], -v[14:15]
	v_mul_f64 v[96:97], v[12:13], v[46:47]
	v_fmac_f64_e32 v[44:45], v[60:61], v[32:33]
	v_fmac_f64_e32 v[56:57], v[8:9], v[38:39]
	;; [unrolled: 1-line block ×3, first 2 shown]
	v_mul_f64 v[60:61], v[54:55], -v[10:11]
	v_mul_f64 v[62:63], v[8:9], v[54:55]
	v_fmac_f64_e32 v[52:53], v[12:13], v[24:25]
	v_fmac_f64_e32 v[96:97], v[14:15], v[24:25]
	v_add_f64 v[56:57], v[26:27], -v[56:57]
	v_add_f64 v[58:59], v[94:95], -v[58:59]
	v_fmac_f64_e32 v[60:61], v[8:9], v[44:45]
	v_fmac_f64_e32 v[62:63], v[10:11], v[44:45]
	global_store_dwordx4 v[40:41], v[56:59], off
	s_waitcnt vmcnt(4)
	v_mul_f64 v[26:27], v[34:35], -v[68:69]
	s_waitcnt vmcnt(3)
	v_mul_f64 v[40:41], v[34:35], -v[72:73]
	v_add_f64 v[56:57], v[52:53], -v[60:61]
	v_add_f64 v[58:59], v[96:97], -v[62:63]
	global_store_dwordx4 v[48:49], v[56:59], off
	v_mul_f64 v[48:49], v[34:35], v[66:67]
	v_mul_f64 v[52:53], v[34:35], v[70:71]
	v_fmac_f64_e32 v[48:49], v[68:69], v[32:33]
	v_fmac_f64_e32 v[52:53], v[72:73], v[32:33]
	;; [unrolled: 1-line block ×4, first 2 shown]
	v_mul_f64 v[56:57], v[48:49], -v[14:15]
	v_mul_f64 v[58:59], v[12:13], v[48:49]
	v_mul_f64 v[60:61], v[52:53], -v[10:11]
	v_mul_f64 v[62:63], v[8:9], v[52:53]
	v_fmac_f64_e32 v[56:57], v[12:13], v[26:27]
	v_fmac_f64_e32 v[58:59], v[14:15], v[26:27]
	;; [unrolled: 1-line block ×4, first 2 shown]
	v_add_f64 v[56:57], v[56:57], -v[60:61]
	v_add_f64 v[58:59], v[58:59], -v[62:63]
	s_waitcnt vmcnt(3)
	v_mul_f64 v[60:61], v[34:35], v[74:75]
	global_store_dwordx4 v[86:87], v[56:59], off
	v_fmac_f64_e32 v[60:61], v[76:77], v[32:33]
	s_waitcnt vmcnt(3)
	v_mul_f64 v[62:63], v[34:35], v[78:79]
	v_mul_f64 v[56:57], v[34:35], -v[76:77]
	v_fmac_f64_e32 v[56:57], v[74:75], v[32:33]
	v_mul_f64 v[66:67], v[60:61], -v[14:15]
	v_mul_f64 v[58:59], v[34:35], -v[80:81]
	v_fmac_f64_e32 v[62:63], v[80:81], v[32:33]
	v_fmac_f64_e32 v[66:67], v[12:13], v[56:57]
	v_mul_f64 v[12:13], v[12:13], v[60:61]
	v_fmac_f64_e32 v[58:59], v[78:79], v[32:33]
	v_fmac_f64_e32 v[12:13], v[14:15], v[56:57]
	v_mul_f64 v[14:15], v[62:63], -v[10:11]
	v_mul_f64 v[68:69], v[8:9], v[62:63]
	v_fmac_f64_e32 v[14:15], v[8:9], v[58:59]
	v_fmac_f64_e32 v[68:69], v[10:11], v[58:59]
	v_add_f64 v[8:9], v[66:67], -v[14:15]
	v_add_f64 v[10:11], v[12:13], -v[68:69]
	global_store_dwordx4 v[90:91], v[8:11], off
	v_mul_f64 v[12:13], v[50:51], -v[2:3]
	v_mul_f64 v[14:15], v[0:1], v[50:51]
	v_mul_f64 v[8:9], v[6:7], v[42:43]
	v_mul_f64 v[10:11], v[42:43], -v[4:5]
	v_fma_f64 v[8:9], -v[4:5], v[36:37], v[8:9]
	v_fma_f64 v[10:11], -v[6:7], v[36:37], v[10:11]
	v_fmac_f64_e32 v[12:13], v[0:1], v[38:39]
	v_fmac_f64_e32 v[14:15], v[2:3], v[38:39]
	v_add_f64 v[8:9], v[8:9], v[12:13]
	v_add_f64 v[10:11], v[10:11], v[14:15]
	global_store_dwordx4 v[82:83], v[8:11], off
	v_mul_f64 v[12:13], v[54:55], -v[2:3]
	v_mul_f64 v[14:15], v[0:1], v[54:55]
	v_mul_f64 v[8:9], v[6:7], v[46:47]
	v_mul_f64 v[10:11], v[46:47], -v[4:5]
	v_fma_f64 v[8:9], -v[4:5], v[24:25], v[8:9]
	v_fma_f64 v[10:11], -v[6:7], v[24:25], v[10:11]
	v_fmac_f64_e32 v[12:13], v[0:1], v[44:45]
	v_fmac_f64_e32 v[14:15], v[2:3], v[44:45]
	v_add_f64 v[8:9], v[8:9], v[12:13]
	v_add_f64 v[10:11], v[10:11], v[14:15]
	global_store_dwordx4 v[84:85], v[8:11], off
	v_mul_f64 v[14:15], v[0:1], v[52:53]
	v_fmac_f64_e32 v[14:15], v[2:3], v[40:41]
	v_mul_f64 v[10:11], v[48:49], -v[4:5]
	v_mul_f64 v[8:9], v[6:7], v[48:49]
	v_fma_f64 v[12:13], -v[6:7], v[26:27], v[10:11]
	v_mul_f64 v[10:11], v[52:53], -v[2:3]
	v_fma_f64 v[8:9], -v[4:5], v[26:27], v[8:9]
	v_fmac_f64_e32 v[10:11], v[0:1], v[40:41]
	v_add_f64 v[10:11], v[8:9], v[10:11]
	v_add_f64 v[12:13], v[12:13], v[14:15]
	global_store_dwordx4 v[88:89], v[10:13], off
	v_mul_f64 v[14:15], v[62:63], -v[2:3]
	v_mul_f64 v[66:67], v[0:1], v[62:63]
	v_mul_f64 v[10:11], v[6:7], v[60:61]
	v_mul_f64 v[12:13], v[60:61], -v[4:5]
	v_fma_f64 v[10:11], -v[4:5], v[56:57], v[10:11]
	v_fma_f64 v[12:13], -v[6:7], v[56:57], v[12:13]
	v_fmac_f64_e32 v[14:15], v[0:1], v[58:59]
	v_fmac_f64_e32 v[66:67], v[2:3], v[58:59]
	v_add_f64 v[10:11], v[10:11], v[14:15]
	v_add_f64 v[12:13], v[12:13], v[66:67]
	v_mov_b64_e32 v[8:9], 0
	global_store_dwordx4 v[92:93], v[10:13], off
	s_nop 1
	v_mov_b64_e32 v[10:11], 0
	s_and_saveexec_b64 s[20:21], s[2:3]
	s_cbranch_execz .LBB299_16
; %bb.15:                               ;   in Loop: Header=BB299_5 Depth=1
	v_add_u32_e32 v66, v65, v29
	v_add_u32_e32 v30, s28, v66
	v_lshl_add_u64 v[68:69], v[30:31], 4, s[8:9]
	v_add_u32_e32 v30, s29, v66
	global_load_dwordx4 v[8:11], v[68:69], off
	v_lshl_add_u64 v[70:71], v[30:31], 4, s[8:9]
	global_load_dwordx4 v[12:15], v[70:71], off
	v_mul_f64 v[72:73], v[6:7], v[22:23]
	v_mul_f64 v[74:75], v[22:23], -v[4:5]
	v_mul_f64 v[76:77], v[22:23], -v[2:3]
	v_mul_f64 v[78:79], v[0:1], v[22:23]
	v_fma_f64 v[72:73], -v[4:5], v[20:21], v[72:73]
	v_fma_f64 v[74:75], -v[6:7], v[20:21], v[74:75]
	v_fmac_f64_e32 v[76:77], v[0:1], v[20:21]
	v_fmac_f64_e32 v[78:79], v[2:3], v[20:21]
	v_mul_f64 v[4:5], v[74:75], v[42:43]
	v_mul_f64 v[6:7], v[42:43], -v[72:73]
	v_mul_f64 v[42:43], v[50:51], -v[78:79]
	v_mul_f64 v[50:51], v[76:77], v[50:51]
	v_mul_f64 v[80:81], v[74:75], v[46:47]
	v_mul_f64 v[46:47], v[46:47], -v[72:73]
	v_mul_f64 v[82:83], v[54:55], -v[78:79]
	v_mul_f64 v[54:55], v[76:77], v[54:55]
	v_fma_f64 v[86:87], -v[72:73], v[36:37], v[4:5]
	v_fma_f64 v[36:37], -v[74:75], v[36:37], v[6:7]
	v_fmac_f64_e32 v[42:43], v[76:77], v[38:39]
	v_fmac_f64_e32 v[50:51], v[78:79], v[38:39]
	v_fma_f64 v[38:39], -v[72:73], v[24:25], v[80:81]
	v_fma_f64 v[24:25], -v[74:75], v[24:25], v[46:47]
	v_fmac_f64_e32 v[82:83], v[76:77], v[44:45]
	v_fmac_f64_e32 v[54:55], v[78:79], v[44:45]
	v_add_f64 v[42:43], v[86:87], -v[42:43]
	v_add_f64 v[36:37], v[36:37], -v[50:51]
	v_add_u32_e32 v30, s30, v66
	v_add_f64 v[38:39], v[38:39], -v[82:83]
	v_add_f64 v[24:25], v[24:25], -v[54:55]
	v_ashrrev_i32_e32 v67, 31, v66
	v_lshl_add_u64 v[44:45], v[30:31], 4, s[8:9]
	v_add_u32_e32 v30, s31, v66
	v_lshl_add_u64 v[84:85], v[66:67], 4, s[14:15]
	v_lshl_add_u64 v[46:47], v[30:31], 4, s[8:9]
	global_load_dwordx4 v[4:7], v[84:85], off
	v_mul_f64 v[50:51], v[76:77], v[62:63]
	v_fmac_f64_e32 v[50:51], v[78:79], v[58:59]
	s_waitcnt vmcnt(2)
	v_add_f64 v[8:9], v[42:43], v[8:9]
	v_add_f64 v[10:11], v[36:37], v[10:11]
	global_store_dwordx4 v[68:69], v[8:11], off
	v_mul_f64 v[42:43], v[60:61], -v[72:73]
	s_waitcnt vmcnt(2)
	v_add_f64 v[8:9], v[38:39], v[12:13]
	v_add_f64 v[10:11], v[24:25], v[14:15]
	global_load_dwordx4 v[36:39], v[44:45], off
	v_mul_f64 v[24:25], v[74:75], v[60:61]
	global_store_dwordx4 v[70:71], v[8:11], off
	global_load_dwordx4 v[12:15], v[46:47], off
	v_fma_f64 v[24:25], -v[72:73], v[56:57], v[24:25]
	v_mul_f64 v[8:9], v[2:3], -v[22:23]
	v_mul_f64 v[2:3], v[2:3], v[20:21]
	v_fmac_f64_e32 v[8:9], v[20:21], v[0:1]
	v_fmac_f64_e32 v[2:3], v[22:23], v[0:1]
	v_mul_f64 v[0:1], v[74:75], v[48:49]
	v_mul_f64 v[10:11], v[48:49], -v[72:73]
	v_mul_f64 v[20:21], v[52:53], -v[78:79]
	v_mul_f64 v[22:23], v[76:77], v[52:53]
	v_mul_f64 v[52:53], v[18:19], -v[2:3]
	v_mul_f64 v[18:19], v[18:19], v[8:9]
	v_mul_f64 v[48:49], v[62:63], -v[78:79]
	v_fma_f64 v[0:1], -v[72:73], v[26:27], v[0:1]
	v_fma_f64 v[10:11], -v[74:75], v[26:27], v[10:11]
	v_fmac_f64_e32 v[20:21], v[76:77], v[40:41]
	v_fmac_f64_e32 v[22:23], v[78:79], v[40:41]
	;; [unrolled: 1-line block ×4, first 2 shown]
	v_fma_f64 v[26:27], -v[74:75], v[56:57], v[42:43]
	v_fmac_f64_e32 v[48:49], v[76:77], v[58:59]
	v_add_f64 v[0:1], v[0:1], -v[20:21]
	v_add_f64 v[2:3], v[10:11], -v[22:23]
	v_mul_f64 v[10:11], v[34:35], -v[18:19]
	v_mul_f64 v[20:21], v[34:35], v[52:53]
	v_add_f64 v[8:9], v[24:25], -v[48:49]
	v_add_f64 v[16:17], v[26:27], -v[50:51]
	v_fmac_f64_e32 v[10:11], v[52:53], v[32:33]
	v_fmac_f64_e32 v[20:21], v[18:19], v[32:33]
	s_waitcnt vmcnt(4)
	v_add_f64 v[10:11], v[4:5], -v[10:11]
	s_waitcnt vmcnt(2)
	v_add_f64 v[0:1], v[0:1], v[36:37]
	v_add_f64 v[2:3], v[2:3], v[38:39]
	global_store_dwordx4 v[44:45], v[0:3], off
	s_waitcnt vmcnt(1)
	s_nop 0
	v_add_f64 v[0:1], v[8:9], v[12:13]
	v_add_f64 v[2:3], v[16:17], v[14:15]
	v_add_f64 v[8:9], v[6:7], -v[20:21]
	global_store_dwordx4 v[46:47], v[0:3], off
.LBB299_16:                             ;   in Loop: Header=BB299_5 Depth=1
	s_or_b64 exec, exec, s[20:21]
	s_nop 0
	v_mov_b64_e32 v[2:3], v[8:9]
	v_mov_b64_e32 v[0:1], v[10:11]
                                        ; implicit-def: $vgpr4_vgpr5
                                        ; implicit-def: $vgpr12_vgpr13
                                        ; implicit-def: $vgpr8_vgpr9
                                        ; implicit-def: $vgpr34_vgpr35
                                        ; implicit-def: $vgpr32_vgpr33
                                        ; implicit-def: $vgpr42
                                        ; implicit-def: $vgpr38
                                        ; implicit-def: $vgpr36
.LBB299_17:                             ;   in Loop: Header=BB299_5 Depth=1
	s_or_saveexec_b64 s[2:3], s[4:5]
	v_mov_b32_e32 v10, s27
	s_xor_b64 exec, exec, s[2:3]
	s_cbranch_execz .LBB299_4
; %bb.18:                               ;   in Loop: Header=BB299_5 Depth=1
	v_lshl_add_u64 v[52:53], v[30:31], 4, s[8:9]
	v_mov_b32_e32 v43, v31
	v_mov_b32_e32 v39, v31
	;; [unrolled: 1-line block ×3, first 2 shown]
	global_load_dwordx4 v[16:19], v[52:53], off
	v_lshl_add_u64 v[54:55], v[42:43], 4, s[8:9]
	v_lshl_add_u64 v[38:39], v[38:39], 4, s[8:9]
	;; [unrolled: 1-line block ×3, first 2 shown]
	global_load_dwordx4 v[40:43], v[54:55], off
	global_load_dwordx4 v[48:51], v[56:57], off
	;; [unrolled: 1-line block ×3, first 2 shown]
	v_mul_f64 v[10:11], v[2:3], v[2:3]
	v_fmac_f64_e32 v[10:11], v[0:1], v[0:1]
	v_div_scale_f64 v[22:23], s[4:5], v[10:11], v[10:11], 1.0
	v_rcp_f64_e32 v[24:25], v[22:23]
	v_fma_f64 v[20:21], 0, v[2:3], v[0:1]
	v_fma_f64 v[0:1], v[0:1], 0, -v[2:3]
	v_div_scale_f64 v[2:3], vcc, 1.0, v[10:11], 1.0
	v_fma_f64 v[26:27], -v[22:23], v[24:25], 1.0
	v_fmac_f64_e32 v[24:25], v[24:25], v[26:27]
	v_fma_f64 v[26:27], -v[22:23], v[24:25], 1.0
	v_fmac_f64_e32 v[24:25], v[24:25], v[26:27]
	v_mul_f64 v[26:27], v[2:3], v[24:25]
	v_fma_f64 v[2:3], -v[22:23], v[26:27], v[2:3]
	v_div_fmas_f64 v[2:3], v[2:3], v[24:25], v[26:27]
	v_div_fixup_f64 v[2:3], v[2:3], v[10:11], 1.0
	v_mul_f64 v[36:37], v[0:1], v[2:3]
	v_mul_f64 v[10:11], v[20:21], v[2:3]
	s_waitcnt vmcnt(3)
	v_mul_f64 v[24:25], v[36:37], -v[18:19]
	v_mul_f64 v[26:27], v[36:37], v[16:17]
	v_fmac_f64_e32 v[24:25], v[16:17], v[10:11]
	v_fmac_f64_e32 v[26:27], v[18:19], v[10:11]
	s_waitcnt vmcnt(2)
	v_mul_f64 v[20:21], v[36:37], -v[42:43]
	v_mul_f64 v[22:23], v[36:37], v[40:41]
	s_waitcnt vmcnt(0)
	v_mul_f64 v[16:17], v[36:37], -v[46:47]
	v_mul_f64 v[18:19], v[36:37], v[44:45]
	v_mul_f64 v[0:1], v[36:37], -v[50:51]
	v_mul_f64 v[2:3], v[36:37], v[48:49]
	v_fmac_f64_e32 v[20:21], v[40:41], v[10:11]
	v_fmac_f64_e32 v[22:23], v[42:43], v[10:11]
	;; [unrolled: 1-line block ×6, first 2 shown]
	global_store_dwordx4 v[52:53], v[24:27], off
	global_store_dwordx4 v[54:55], v[20:23], off
	;; [unrolled: 1-line block ×4, first 2 shown]
	s_and_saveexec_b64 s[4:5], s[0:1]
	s_cbranch_execz .LBB299_3
; %bb.19:                               ;   in Loop: Header=BB299_5 Depth=1
	v_add_u32_e32 v52, v64, v29
	v_add_u32_e32 v30, s28, v52
	v_lshl_add_u64 v[46:47], v[30:31], 4, s[8:9]
	v_add_u32_e32 v30, s29, v52
	global_load_dwordx4 v[38:41], v[46:47], off
	v_lshl_add_u64 v[48:49], v[30:31], 4, s[8:9]
	global_load_dwordx4 v[42:45], v[48:49], off
	v_add_u32_e32 v30, s30, v52
	v_lshl_add_u64 v[50:51], v[30:31], 4, s[8:9]
	v_add_u32_e32 v30, s31, v52
	v_lshl_add_u64 v[52:53], v[30:31], 4, s[8:9]
	s_waitcnt vmcnt(1)
	v_fma_f64 v[38:39], -v[4:5], v[24:25], v[38:39]
	v_fma_f64 v[24:25], -v[6:7], v[24:25], v[40:41]
	v_fmac_f64_e32 v[38:39], v[6:7], v[26:27]
	v_fma_f64 v[40:41], -v[4:5], v[26:27], v[24:25]
	s_waitcnt vmcnt(0)
	v_fma_f64 v[24:25], -v[4:5], v[20:21], v[42:43]
	v_fma_f64 v[20:21], -v[6:7], v[20:21], v[44:45]
	global_store_dwordx4 v[46:47], v[38:41], off
	v_fmac_f64_e32 v[24:25], v[6:7], v[22:23]
	v_fma_f64 v[26:27], -v[4:5], v[22:23], v[20:21]
	global_load_dwordx4 v[38:41], v[50:51], off
	s_nop 0
	global_store_dwordx4 v[48:49], v[24:27], off
	global_load_dwordx4 v[20:23], v[52:53], off
	s_waitcnt vmcnt(2)
	v_fma_f64 v[24:25], -v[4:5], v[16:17], v[38:39]
	v_fma_f64 v[16:17], -v[6:7], v[16:17], v[40:41]
	;; [unrolled: 1-line block ×3, first 2 shown]
	s_waitcnt vmcnt(0)
	v_fma_f64 v[16:17], -v[4:5], v[0:1], v[20:21]
	v_fma_f64 v[0:1], -v[6:7], v[0:1], v[22:23]
	v_fmac_f64_e32 v[24:25], v[6:7], v[18:19]
	v_fmac_f64_e32 v[16:17], v[6:7], v[2:3]
	v_fma_f64 v[18:19], -v[4:5], v[2:3], v[0:1]
	global_store_dwordx4 v[50:51], v[24:27], off
	global_store_dwordx4 v[52:53], v[16:19], off
	s_branch .LBB299_3
.LBB299_20:
	s_or_b64 exec, exec, s[18:19]
	s_branch .LBB299_22
.LBB299_21:
	v_mov_b32_e32 v29, 0
.LBB299_22:
	v_subrev_u32_e32 v2, s22, v29
	v_add_u32_e32 v0, v2, v28
	v_ashrrev_i32_e32 v1, 31, v0
	s_waitcnt lgkmcnt(0)
	v_lshl_add_u64 v[0:1], v[0:1], 2, s[6:7]
	buffer_wbl2 sc1
	s_waitcnt vmcnt(0)
	buffer_inv sc1
	global_load_dword v0, v[0:1], off
	s_waitcnt vmcnt(0)
	v_mul_lo_u32 v0, v0, s22
	v_sub_u32_e32 v8, v2, v0
	v_cmp_lt_i32_e32 vcc, -1, v8
	s_and_b64 exec, exec, vcc
	s_cbranch_execz .LBB299_29
; %bb.23:
	s_lshl_b32 s4, s24, 2
	s_add_i32 s5, s4, s23
	s_add_i32 s12, s5, s23
	;; [unrolled: 1-line block ×3, first 2 shown]
	s_lshl_b32 s14, s22, 1
	s_mov_b64 s[0:1], 0
	v_mov_b32_e32 v5, 0
	s_branch .LBB299_25
.LBB299_24:                             ;   in Loop: Header=BB299_25 Depth=1
	s_or_b64 exec, exec, s[2:3]
	v_sub_u32_e32 v8, v8, v4
	v_cmp_gt_i32_e32 vcc, 0, v8
	s_or_b64 s[0:1], vcc, s[0:1]
	s_andn2_b64 exec, exec, s[0:1]
	s_cbranch_execz .LBB299_29
.LBB299_25:                             ; =>This Inner Loop Header: Depth=1
	v_add_u32_e32 v6, v8, v28
	v_ashrrev_i32_e32 v7, 31, v6
	s_waitcnt vmcnt(0)
	v_lshl_add_u64 v[0:1], v[6:7], 2, s[6:7]
	global_load_dword v4, v[0:1], off
	v_lshl_add_u64 v[0:1], v[6:7], 4, s[10:11]
	global_load_dwordx4 v[0:3], v[0:1], off
	s_waitcnt vmcnt(1)
	v_cmp_ne_u32_e32 vcc, 1, v4
	s_and_saveexec_b64 s[2:3], vcc
	s_xor_b64 s[2:3], exec, s[2:3]
	s_cbranch_execz .LBB299_27
; %bb.26:                               ;   in Loop: Header=BB299_25 Depth=1
	v_add_u32_e32 v7, v64, v8
	v_add_u32_e32 v4, s4, v7
	v_lshl_add_u64 v[26:27], v[4:5], 4, s[8:9]
	v_add_u32_e32 v4, s5, v7
	v_lshl_add_u64 v[34:35], v[4:5], 4, s[8:9]
	;; [unrolled: 2-line block ×5, first 2 shown]
	global_load_dwordx4 v[10:13], v[40:41], off
	global_load_dwordx4 v[14:17], v[26:27], off
	;; [unrolled: 1-line block ×5, first 2 shown]
	v_add_u32_e32 v4, s5, v6
	v_lshl_add_u64 v[26:27], v[4:5], 4, s[8:9]
	v_add_u32_e32 v4, s12, v6
	v_lshl_add_u64 v[34:35], v[4:5], 4, s[8:9]
	v_add_u32_e32 v4, s13, v6
	v_lshl_add_u64 v[6:7], v[4:5], 4, s[8:9]
	v_subrev_u32_e32 v4, s22, v8
	s_waitcnt vmcnt(3)
	v_fma_f64 v[10:11], -v[0:1], v[14:15], v[10:11]
	v_fma_f64 v[12:13], -v[2:3], v[14:15], v[12:13]
	v_fmac_f64_e32 v[10:11], v[2:3], v[16:17]
	v_fma_f64 v[12:13], -v[0:1], v[16:17], v[12:13]
	global_store_dwordx4 v[40:41], v[10:13], off
	global_load_dwordx4 v[10:13], v[26:27], off
	s_waitcnt vmcnt(0)
	v_fma_f64 v[10:11], -v[0:1], v[18:19], v[10:11]
	v_fma_f64 v[12:13], -v[2:3], v[18:19], v[12:13]
	v_fmac_f64_e32 v[10:11], v[2:3], v[20:21]
	v_fma_f64 v[12:13], -v[0:1], v[20:21], v[12:13]
	global_store_dwordx4 v[26:27], v[10:13], off
	global_load_dwordx4 v[10:13], v[34:35], off
	v_add_u32_e32 v26, v4, v28
	v_ashrrev_i32_e32 v27, 31, v26
	v_add_u32_e32 v4, s4, v26
	v_lshl_add_u64 v[38:39], v[4:5], 4, s[8:9]
	v_add_u32_e32 v4, s5, v26
	s_waitcnt vmcnt(0)
	v_fma_f64 v[10:11], -v[0:1], v[22:23], v[10:11]
	v_fma_f64 v[12:13], -v[2:3], v[22:23], v[12:13]
	v_fmac_f64_e32 v[10:11], v[2:3], v[24:25]
	v_fma_f64 v[12:13], -v[0:1], v[24:25], v[12:13]
	global_store_dwordx4 v[34:35], v[10:13], off
	global_load_dwordx4 v[10:13], v[6:7], off
	v_lshl_add_u64 v[34:35], v[26:27], 4, s[10:11]
	global_load_dwordx4 v[34:37], v[34:35], off
	s_waitcnt vmcnt(1)
	v_fma_f64 v[10:11], -v[0:1], v[30:31], v[10:11]
	v_fma_f64 v[12:13], -v[2:3], v[30:31], v[12:13]
	v_fmac_f64_e32 v[10:11], v[2:3], v[32:33]
	v_fma_f64 v[12:13], -v[0:1], v[32:33], v[12:13]
	global_store_dwordx4 v[6:7], v[10:13], off
	global_load_dwordx4 v[0:3], v[38:39], off
	v_lshl_add_u64 v[6:7], v[4:5], 4, s[8:9]
	v_add_u32_e32 v4, s12, v26
	v_lshl_add_u64 v[10:11], v[4:5], 4, s[8:9]
	v_add_u32_e32 v4, s13, v26
	s_waitcnt vmcnt(0)
	v_fma_f64 v[0:1], -v[34:35], v[14:15], v[0:1]
	v_fma_f64 v[2:3], -v[36:37], v[14:15], v[2:3]
	v_fmac_f64_e32 v[0:1], v[36:37], v[16:17]
	v_fma_f64 v[2:3], -v[34:35], v[16:17], v[2:3]
	global_store_dwordx4 v[38:39], v[0:3], off
	global_load_dwordx4 v[0:3], v[6:7], off
	s_waitcnt vmcnt(0)
	v_fma_f64 v[0:1], -v[34:35], v[18:19], v[0:1]
	v_fma_f64 v[2:3], -v[36:37], v[18:19], v[2:3]
	v_fmac_f64_e32 v[0:1], v[36:37], v[20:21]
	v_fma_f64 v[2:3], -v[34:35], v[20:21], v[2:3]
	global_store_dwordx4 v[6:7], v[0:3], off
	global_load_dwordx4 v[0:3], v[10:11], off
	v_lshl_add_u64 v[6:7], v[4:5], 4, s[8:9]
	s_waitcnt vmcnt(0)
	v_fma_f64 v[0:1], -v[34:35], v[22:23], v[0:1]
	v_fma_f64 v[2:3], -v[36:37], v[22:23], v[2:3]
	v_fmac_f64_e32 v[0:1], v[36:37], v[24:25]
	v_fma_f64 v[2:3], -v[34:35], v[24:25], v[2:3]
	global_store_dwordx4 v[10:11], v[0:3], off
	global_load_dwordx4 v[0:3], v[6:7], off
	s_waitcnt vmcnt(0)
	v_fma_f64 v[0:1], -v[34:35], v[30:31], v[0:1]
	v_fma_f64 v[2:3], -v[36:37], v[30:31], v[2:3]
	v_fmac_f64_e32 v[0:1], v[36:37], v[32:33]
	v_fma_f64 v[2:3], -v[34:35], v[32:33], v[2:3]
	global_store_dwordx4 v[6:7], v[0:3], off
                                        ; implicit-def: $vgpr6
                                        ; implicit-def: $vgpr0_vgpr1
.LBB299_27:                             ;   in Loop: Header=BB299_25 Depth=1
	s_or_saveexec_b64 s[2:3], s[2:3]
	v_mov_b32_e32 v4, s14
	s_xor_b64 exec, exec, s[2:3]
	s_cbranch_execz .LBB299_24
; %bb.28:                               ;   in Loop: Header=BB299_25 Depth=1
	v_add_u32_e32 v7, v64, v8
	v_add_u32_e32 v4, s4, v7
	v_lshl_add_u64 v[18:19], v[4:5], 4, s[8:9]
	v_add_u32_e32 v4, s4, v6
	v_lshl_add_u64 v[20:21], v[4:5], 4, s[8:9]
	global_load_dwordx4 v[10:13], v[18:19], off
	global_load_dwordx4 v[14:17], v[20:21], off
	v_add_u32_e32 v4, s5, v7
	v_lshl_add_u64 v[18:19], v[4:5], 4, s[8:9]
	v_add_u32_e32 v4, s5, v6
	v_lshl_add_u64 v[22:23], v[4:5], 4, s[8:9]
	v_add_u32_e32 v4, s12, v7
	s_waitcnt vmcnt(0)
	v_fma_f64 v[14:15], -v[0:1], v[10:11], v[14:15]
	v_fma_f64 v[10:11], -v[2:3], v[10:11], v[16:17]
	v_fmac_f64_e32 v[14:15], v[2:3], v[12:13]
	v_fma_f64 v[16:17], -v[0:1], v[12:13], v[10:11]
	global_store_dwordx4 v[20:21], v[14:17], off
	global_load_dwordx4 v[10:13], v[18:19], off
	s_nop 0
	global_load_dwordx4 v[14:17], v[22:23], off
	v_lshl_add_u64 v[18:19], v[4:5], 4, s[8:9]
	v_add_u32_e32 v4, s12, v6
	v_lshl_add_u64 v[20:21], v[4:5], 4, s[8:9]
	v_add_u32_e32 v4, s13, v7
	s_waitcnt vmcnt(0)
	v_fma_f64 v[14:15], -v[0:1], v[10:11], v[14:15]
	v_fma_f64 v[10:11], -v[2:3], v[10:11], v[16:17]
	v_fmac_f64_e32 v[14:15], v[2:3], v[12:13]
	v_fma_f64 v[16:17], -v[0:1], v[12:13], v[10:11]
	global_store_dwordx4 v[22:23], v[14:17], off
	global_load_dwordx4 v[10:13], v[18:19], off
	s_nop 0
	global_load_dwordx4 v[14:17], v[20:21], off
	v_lshl_add_u64 v[18:19], v[4:5], 4, s[8:9]
	v_add_u32_e32 v4, s13, v6
	v_lshl_add_u64 v[6:7], v[4:5], 4, s[8:9]
	v_mov_b32_e32 v4, s22
	s_waitcnt vmcnt(0)
	v_fma_f64 v[14:15], -v[0:1], v[10:11], v[14:15]
	v_fma_f64 v[10:11], -v[2:3], v[10:11], v[16:17]
	v_fmac_f64_e32 v[14:15], v[2:3], v[12:13]
	v_fma_f64 v[16:17], -v[0:1], v[12:13], v[10:11]
	global_store_dwordx4 v[20:21], v[14:17], off
	global_load_dwordx4 v[10:13], v[18:19], off
	s_nop 0
	global_load_dwordx4 v[14:17], v[6:7], off
	s_waitcnt vmcnt(0)
	v_fma_f64 v[14:15], -v[0:1], v[10:11], v[14:15]
	v_fma_f64 v[10:11], -v[2:3], v[10:11], v[16:17]
	v_fmac_f64_e32 v[14:15], v[2:3], v[12:13]
	v_fma_f64 v[16:17], -v[0:1], v[12:13], v[10:11]
	global_store_dwordx4 v[6:7], v[14:17], off
	s_branch .LBB299_24
.LBB299_29:
	s_endpgm
	.section	.rodata,"a",@progbits
	.p2align	6, 0x0
	.amdhsa_kernel _ZN9rocsparseL19gtsv_LBM_rhs_kernelILj256ELj8ELj4E21rocsparse_complex_numIdEEEviiiPKT2_S5_S5_PS3_S5_PKi
		.amdhsa_group_segment_fixed_size 0
		.amdhsa_private_segment_fixed_size 0
		.amdhsa_kernarg_size 64
		.amdhsa_user_sgpr_count 2
		.amdhsa_user_sgpr_dispatch_ptr 0
		.amdhsa_user_sgpr_queue_ptr 0
		.amdhsa_user_sgpr_kernarg_segment_ptr 1
		.amdhsa_user_sgpr_dispatch_id 0
		.amdhsa_user_sgpr_kernarg_preload_length 0
		.amdhsa_user_sgpr_kernarg_preload_offset 0
		.amdhsa_user_sgpr_private_segment_size 0
		.amdhsa_uses_dynamic_stack 0
		.amdhsa_enable_private_segment 0
		.amdhsa_system_sgpr_workgroup_id_x 1
		.amdhsa_system_sgpr_workgroup_id_y 1
		.amdhsa_system_sgpr_workgroup_id_z 0
		.amdhsa_system_sgpr_workgroup_info 0
		.amdhsa_system_vgpr_workitem_id 0
		.amdhsa_next_free_vgpr 98
		.amdhsa_next_free_sgpr 32
		.amdhsa_accum_offset 100
		.amdhsa_reserve_vcc 1
		.amdhsa_float_round_mode_32 0
		.amdhsa_float_round_mode_16_64 0
		.amdhsa_float_denorm_mode_32 3
		.amdhsa_float_denorm_mode_16_64 3
		.amdhsa_dx10_clamp 1
		.amdhsa_ieee_mode 1
		.amdhsa_fp16_overflow 0
		.amdhsa_tg_split 0
		.amdhsa_exception_fp_ieee_invalid_op 0
		.amdhsa_exception_fp_denorm_src 0
		.amdhsa_exception_fp_ieee_div_zero 0
		.amdhsa_exception_fp_ieee_overflow 0
		.amdhsa_exception_fp_ieee_underflow 0
		.amdhsa_exception_fp_ieee_inexact 0
		.amdhsa_exception_int_div_zero 0
	.end_amdhsa_kernel
	.section	.text._ZN9rocsparseL19gtsv_LBM_rhs_kernelILj256ELj8ELj4E21rocsparse_complex_numIdEEEviiiPKT2_S5_S5_PS3_S5_PKi,"axG",@progbits,_ZN9rocsparseL19gtsv_LBM_rhs_kernelILj256ELj8ELj4E21rocsparse_complex_numIdEEEviiiPKT2_S5_S5_PS3_S5_PKi,comdat
.Lfunc_end299:
	.size	_ZN9rocsparseL19gtsv_LBM_rhs_kernelILj256ELj8ELj4E21rocsparse_complex_numIdEEEviiiPKT2_S5_S5_PS3_S5_PKi, .Lfunc_end299-_ZN9rocsparseL19gtsv_LBM_rhs_kernelILj256ELj8ELj4E21rocsparse_complex_numIdEEEviiiPKT2_S5_S5_PS3_S5_PKi
                                        ; -- End function
	.set _ZN9rocsparseL19gtsv_LBM_rhs_kernelILj256ELj8ELj4E21rocsparse_complex_numIdEEEviiiPKT2_S5_S5_PS3_S5_PKi.num_vgpr, 98
	.set _ZN9rocsparseL19gtsv_LBM_rhs_kernelILj256ELj8ELj4E21rocsparse_complex_numIdEEEviiiPKT2_S5_S5_PS3_S5_PKi.num_agpr, 0
	.set _ZN9rocsparseL19gtsv_LBM_rhs_kernelILj256ELj8ELj4E21rocsparse_complex_numIdEEEviiiPKT2_S5_S5_PS3_S5_PKi.numbered_sgpr, 32
	.set _ZN9rocsparseL19gtsv_LBM_rhs_kernelILj256ELj8ELj4E21rocsparse_complex_numIdEEEviiiPKT2_S5_S5_PS3_S5_PKi.num_named_barrier, 0
	.set _ZN9rocsparseL19gtsv_LBM_rhs_kernelILj256ELj8ELj4E21rocsparse_complex_numIdEEEviiiPKT2_S5_S5_PS3_S5_PKi.private_seg_size, 0
	.set _ZN9rocsparseL19gtsv_LBM_rhs_kernelILj256ELj8ELj4E21rocsparse_complex_numIdEEEviiiPKT2_S5_S5_PS3_S5_PKi.uses_vcc, 1
	.set _ZN9rocsparseL19gtsv_LBM_rhs_kernelILj256ELj8ELj4E21rocsparse_complex_numIdEEEviiiPKT2_S5_S5_PS3_S5_PKi.uses_flat_scratch, 0
	.set _ZN9rocsparseL19gtsv_LBM_rhs_kernelILj256ELj8ELj4E21rocsparse_complex_numIdEEEviiiPKT2_S5_S5_PS3_S5_PKi.has_dyn_sized_stack, 0
	.set _ZN9rocsparseL19gtsv_LBM_rhs_kernelILj256ELj8ELj4E21rocsparse_complex_numIdEEEviiiPKT2_S5_S5_PS3_S5_PKi.has_recursion, 0
	.set _ZN9rocsparseL19gtsv_LBM_rhs_kernelILj256ELj8ELj4E21rocsparse_complex_numIdEEEviiiPKT2_S5_S5_PS3_S5_PKi.has_indirect_call, 0
	.section	.AMDGPU.csdata,"",@progbits
; Kernel info:
; codeLenInByte = 4168
; TotalNumSgprs: 38
; NumVgprs: 98
; NumAgprs: 0
; TotalNumVgprs: 98
; ScratchSize: 0
; MemoryBound: 1
; FloatMode: 240
; IeeeMode: 1
; LDSByteSize: 0 bytes/workgroup (compile time only)
; SGPRBlocks: 4
; VGPRBlocks: 12
; NumSGPRsForWavesPerEU: 38
; NumVGPRsForWavesPerEU: 98
; AccumOffset: 100
; Occupancy: 4
; WaveLimiterHint : 0
; COMPUTE_PGM_RSRC2:SCRATCH_EN: 0
; COMPUTE_PGM_RSRC2:USER_SGPR: 2
; COMPUTE_PGM_RSRC2:TRAP_HANDLER: 0
; COMPUTE_PGM_RSRC2:TGID_X_EN: 1
; COMPUTE_PGM_RSRC2:TGID_Y_EN: 1
; COMPUTE_PGM_RSRC2:TGID_Z_EN: 0
; COMPUTE_PGM_RSRC2:TIDIG_COMP_CNT: 0
; COMPUTE_PGM_RSRC3_GFX90A:ACCUM_OFFSET: 24
; COMPUTE_PGM_RSRC3_GFX90A:TG_SPLIT: 0
	.section	.text._ZN9rocsparseL19gtsv_LBM_rhs_kernelILj256ELj8ELj2E21rocsparse_complex_numIdEEEviiiPKT2_S5_S5_PS3_S5_PKi,"axG",@progbits,_ZN9rocsparseL19gtsv_LBM_rhs_kernelILj256ELj8ELj2E21rocsparse_complex_numIdEEEviiiPKT2_S5_S5_PS3_S5_PKi,comdat
	.globl	_ZN9rocsparseL19gtsv_LBM_rhs_kernelILj256ELj8ELj2E21rocsparse_complex_numIdEEEviiiPKT2_S5_S5_PS3_S5_PKi ; -- Begin function _ZN9rocsparseL19gtsv_LBM_rhs_kernelILj256ELj8ELj2E21rocsparse_complex_numIdEEEviiiPKT2_S5_S5_PS3_S5_PKi
	.p2align	8
	.type	_ZN9rocsparseL19gtsv_LBM_rhs_kernelILj256ELj8ELj2E21rocsparse_complex_numIdEEEviiiPKT2_S5_S5_PS3_S5_PKi,@function
_ZN9rocsparseL19gtsv_LBM_rhs_kernelILj256ELj8ELj2E21rocsparse_complex_numIdEEEviiiPKT2_S5_S5_PS3_S5_PKi: ; @_ZN9rocsparseL19gtsv_LBM_rhs_kernelILj256ELj8ELj2E21rocsparse_complex_numIdEEEviiiPKT2_S5_S5_PS3_S5_PKi
; %bb.0:
	s_load_dword s23, s[0:1], 0x0
	v_lshl_or_b32 v24, s2, 8, v0
	s_waitcnt lgkmcnt(0)
	s_lshr_b32 s22, s23, 3
	v_cmp_gt_i32_e32 vcc, s22, v24
	s_and_saveexec_b64 s[4:5], vcc
	s_cbranch_execz .LBB300_29
; %bb.1:
	s_load_dwordx4 s[8:11], s[0:1], 0x28
	s_load_dwordx2 s[6:7], s[0:1], 0x38
	s_cmp_lt_i32 s23, 1
	v_add_u32_e32 v58, s22, v24
	s_mul_i32 s24, s3, s23
	s_cbranch_scc1 .LBB300_21
; %bb.2:
	s_load_dwordx4 s[12:15], s[0:1], 0x10
	s_load_dwordx2 s[16:17], s[0:1], 0x20
	v_ashrrev_i32_e32 v25, 31, v24
	s_lshl_b32 s28, s24, 1
	s_mul_i32 s25, s22, 7
	s_waitcnt lgkmcnt(0)
	v_lshl_add_u64 v[0:1], v[24:25], 4, s[14:15]
	global_load_dwordx4 v[4:7], v[0:1], off
	s_mul_i32 s26, s22, 6
	s_lshl_b32 s27, s22, 1
	v_add_u32_e32 v59, s22, v58
	s_add_i32 s29, s28, s23
	v_mov_b32_e32 v27, 0
	s_mov_b64 s[18:19], 0
	v_mov_b32_e32 v25, 0
	s_branch .LBB300_5
.LBB300_3:                              ;   in Loop: Header=BB300_5 Depth=1
	s_or_b64 exec, exec, s[4:5]
	v_fmac_f64_e32 v[30:31], v[0:1], v[8:9]
	v_fmac_f64_e32 v[28:29], v[2:3], v[8:9]
	v_mul_f64 v[0:1], v[20:21], -v[28:29]
	v_mul_f64 v[2:3], v[20:21], v[30:31]
	v_fmac_f64_e32 v[0:1], v[30:31], v[10:11]
	v_fmac_f64_e32 v[2:3], v[28:29], v[10:11]
	v_add_f64 v[4:5], v[12:13], -v[0:1]
	v_add_f64 v[6:7], v[14:15], -v[2:3]
	v_mov_b32_e32 v10, s22
.LBB300_4:                              ;   in Loop: Header=BB300_5 Depth=1
	s_or_b64 exec, exec, s[2:3]
	v_add_u32_e32 v25, v10, v25
	v_cmp_le_i32_e32 vcc, s23, v25
	s_or_b64 s[18:19], vcc, s[18:19]
	s_andn2_b64 exec, exec, s[18:19]
	s_cbranch_execz .LBB300_20
.LBB300_5:                              ; =>This Inner Loop Header: Depth=1
	v_add_u32_e32 v32, v25, v24
	v_ashrrev_i32_e32 v33, 31, v32
	v_lshl_add_u64 v[0:1], v[32:33], 4, s[16:17]
	global_load_dwordx4 v[8:11], v[0:1], off
	v_cmp_gt_u32_e64 s[0:1], s25, v25
	v_mov_b64_e32 v[12:13], 0
	v_mov_b64_e32 v[0:1], 0
	;; [unrolled: 1-line block ×3, first 2 shown]
	s_and_saveexec_b64 s[2:3], s[0:1]
	s_cbranch_execz .LBB300_7
; %bb.6:                                ;   in Loop: Header=BB300_5 Depth=1
	v_add_u32_e32 v0, v58, v25
	v_ashrrev_i32_e32 v1, 31, v0
	v_lshl_add_u64 v[0:1], v[0:1], 4, s[12:13]
	global_load_dwordx4 v[0:3], v[0:1], off
.LBB300_7:                              ;   in Loop: Header=BB300_5 Depth=1
	s_or_b64 exec, exec, s[2:3]
	v_mov_b64_e32 v[14:15], 0
	s_and_saveexec_b64 s[2:3], s[0:1]
	s_cbranch_execz .LBB300_9
; %bb.8:                                ;   in Loop: Header=BB300_5 Depth=1
	v_add_u32_e32 v12, v58, v25
	v_ashrrev_i32_e32 v13, 31, v12
	v_lshl_add_u64 v[12:13], v[12:13], 4, s[14:15]
	global_load_dwordx4 v[12:15], v[12:13], off
.LBB300_9:                              ;   in Loop: Header=BB300_5 Depth=1
	s_or_b64 exec, exec, s[2:3]
	v_mov_b64_e32 v[20:21], 0
	v_mov_b64_e32 v[16:17], 0
	;; [unrolled: 1-line block ×3, first 2 shown]
	s_and_saveexec_b64 s[2:3], s[0:1]
	s_cbranch_execz .LBB300_11
; %bb.10:                               ;   in Loop: Header=BB300_5 Depth=1
	v_add_u32_e32 v16, v58, v25
	v_ashrrev_i32_e32 v17, 31, v16
	v_lshl_add_u64 v[16:17], v[16:17], 4, s[16:17]
	global_load_dwordx4 v[16:19], v[16:17], off
.LBB300_11:                             ;   in Loop: Header=BB300_5 Depth=1
	s_or_b64 exec, exec, s[2:3]
	v_cmp_gt_u32_e64 s[2:3], s26, v25
	v_mov_b64_e32 v[22:23], 0
	s_and_saveexec_b64 s[4:5], s[2:3]
	s_cbranch_execz .LBB300_13
; %bb.12:                               ;   in Loop: Header=BB300_5 Depth=1
	v_add_u32_e32 v20, v59, v25
	v_ashrrev_i32_e32 v21, 31, v20
	v_lshl_add_u64 v[20:21], v[20:21], 4, s[12:13]
	global_load_dwordx4 v[20:23], v[20:21], off
.LBB300_13:                             ;   in Loop: Header=BB300_5 Depth=1
	s_or_b64 exec, exec, s[4:5]
	v_lshl_add_u64 v[28:29], v[32:33], 2, s[6:7]
	global_load_dword v33, v[28:29], off
	v_cmp_ne_u32_e32 vcc, s25, v25
	s_waitcnt vmcnt(1)
	v_mul_f64 v[30:31], v[10:11], -v[2:3]
	v_mul_f64 v[28:29], v[10:11], v[0:1]
	v_add_u32_e32 v26, s28, v32
	v_add_u32_e32 v32, s29, v32
	s_waitcnt vmcnt(0)
	v_cmp_ne_u32_e64 s[4:5], 1, v33
	s_and_b64 s[4:5], vcc, s[4:5]
	s_and_saveexec_b64 s[20:21], s[4:5]
	s_xor_b64 s[4:5], exec, s[20:21]
	s_cbranch_execz .LBB300_17
; %bb.14:                               ;   in Loop: Header=BB300_5 Depth=1
	v_mov_b32_e32 v33, v27
	v_lshl_add_u64 v[38:39], v[26:27], 4, s[8:9]
	v_lshl_add_u64 v[34:35], v[32:33], 4, s[8:9]
	v_add_u32_e32 v32, v58, v25
	global_load_dwordx4 v[42:45], v[38:39], off
	v_add_u32_e32 v26, s28, v32
	global_load_dwordx4 v[52:55], v[34:35], off
	v_lshl_add_u64 v[36:37], v[26:27], 4, s[8:9]
	global_load_dwordx4 v[60:63], v[36:37], off
	v_add_u32_e32 v26, s29, v32
	v_lshl_add_u64 v[32:33], v[26:27], 4, s[8:9]
	global_load_dwordx4 v[64:67], v[32:33], off
	v_mul_f64 v[46:47], v[4:5], v[14:15]
	v_mul_f64 v[40:41], v[14:15], -v[6:7]
	v_fmac_f64_e32 v[28:29], v[2:3], v[8:9]
	v_fmac_f64_e32 v[46:47], v[6:7], v[12:13]
	;; [unrolled: 1-line block ×4, first 2 shown]
	v_add_f64 v[28:29], v[46:47], -v[28:29]
	v_add_f64 v[30:31], v[40:41], -v[30:31]
	v_mul_f64 v[40:41], v[28:29], v[28:29]
	v_fmac_f64_e32 v[40:41], v[30:31], v[30:31]
	v_div_scale_f64 v[48:49], s[20:21], v[40:41], v[40:41], 1.0
	v_rcp_f64_e32 v[50:51], v[48:49]
	v_fma_f64 v[46:47], 0, v[28:29], v[30:31]
	v_fma_f64 v[30:31], v[30:31], 0, -v[28:29]
	v_div_scale_f64 v[28:29], vcc, 1.0, v[40:41], 1.0
	v_fma_f64 v[68:69], -v[48:49], v[50:51], 1.0
	v_fmac_f64_e32 v[50:51], v[50:51], v[68:69]
	v_fma_f64 v[68:69], -v[48:49], v[50:51], 1.0
	v_fmac_f64_e32 v[50:51], v[50:51], v[68:69]
	v_mul_f64 v[68:69], v[28:29], v[50:51]
	v_fma_f64 v[28:29], -v[48:49], v[68:69], v[28:29]
	v_div_fmas_f64 v[28:29], v[28:29], v[50:51], v[68:69]
	v_div_fixup_f64 v[40:41], v[28:29], v[40:41], 1.0
	v_mul_f64 v[30:31], v[30:31], v[40:41]
	v_mul_f64 v[28:29], v[46:47], v[40:41]
	v_mov_b64_e32 v[56:57], 0
	s_waitcnt vmcnt(3)
	v_mul_f64 v[40:41], v[30:31], -v[44:45]
	v_mul_f64 v[48:49], v[30:31], v[42:43]
	v_fmac_f64_e32 v[40:41], v[42:43], v[28:29]
	s_waitcnt vmcnt(2)
	v_mul_f64 v[42:43], v[30:31], -v[54:55]
	v_mul_f64 v[50:51], v[30:31], v[52:53]
	v_fmac_f64_e32 v[48:49], v[44:45], v[28:29]
	v_fmac_f64_e32 v[42:43], v[52:53], v[28:29]
	;; [unrolled: 1-line block ×3, first 2 shown]
	s_waitcnt vmcnt(1)
	v_mul_f64 v[44:45], v[30:31], -v[62:63]
	v_mul_f64 v[52:53], v[30:31], v[60:61]
	v_mul_f64 v[68:69], v[48:49], -v[14:15]
	v_fmac_f64_e32 v[44:45], v[60:61], v[28:29]
	v_fmac_f64_e32 v[52:53], v[62:63], v[28:29]
	v_mul_f64 v[60:61], v[50:51], -v[14:15]
	v_mul_f64 v[70:71], v[12:13], v[48:49]
	s_waitcnt vmcnt(0)
	v_mul_f64 v[54:55], v[30:31], v[64:65]
	v_fmac_f64_e32 v[68:69], v[12:13], v[40:41]
	v_mul_f64 v[62:63], v[12:13], v[50:51]
	v_fmac_f64_e32 v[60:61], v[12:13], v[42:43]
	v_mul_f64 v[12:13], v[52:53], -v[10:11]
	v_mul_f64 v[46:47], v[30:31], -v[66:67]
	v_fmac_f64_e32 v[70:71], v[14:15], v[40:41]
	v_fmac_f64_e32 v[54:55], v[66:67], v[28:29]
	;; [unrolled: 1-line block ×3, first 2 shown]
	v_mul_f64 v[14:15], v[8:9], v[52:53]
	v_fmac_f64_e32 v[12:13], v[8:9], v[44:45]
	v_mul_f64 v[72:73], v[2:3], v[48:49]
	v_mul_f64 v[74:75], v[48:49], -v[0:1]
	v_fmac_f64_e32 v[46:47], v[64:65], v[28:29]
	v_mul_f64 v[64:65], v[52:53], -v[6:7]
	v_mul_f64 v[66:67], v[4:5], v[52:53]
	v_fmac_f64_e32 v[14:15], v[10:11], v[44:45]
	v_mul_f64 v[76:77], v[54:55], -v[10:11]
	v_add_f64 v[12:13], v[68:69], -v[12:13]
	v_mul_f64 v[68:69], v[8:9], v[54:55]
	v_fma_f64 v[72:73], -v[0:1], v[40:41], v[72:73]
	v_fma_f64 v[74:75], -v[2:3], v[40:41], v[74:75]
	v_add_f64 v[14:15], v[70:71], -v[14:15]
	v_fmac_f64_e32 v[64:65], v[4:5], v[44:45]
	v_fmac_f64_e32 v[66:67], v[6:7], v[44:45]
	;; [unrolled: 1-line block ×4, first 2 shown]
	v_add_f64 v[8:9], v[72:73], v[64:65]
	v_add_f64 v[10:11], v[74:75], v[66:67]
	global_store_dwordx4 v[38:39], v[12:15], off
	s_nop 1
	v_add_f64 v[12:13], v[60:61], -v[76:77]
	v_add_f64 v[14:15], v[62:63], -v[68:69]
	global_store_dwordx4 v[34:35], v[12:15], off
	global_store_dwordx4 v[36:37], v[8:11], off
	s_nop 0
	v_mul_f64 v[12:13], v[54:55], -v[6:7]
	v_mul_f64 v[8:9], v[2:3], v[50:51]
	v_mul_f64 v[10:11], v[50:51], -v[0:1]
	v_mul_f64 v[14:15], v[4:5], v[54:55]
	v_fma_f64 v[8:9], -v[0:1], v[42:43], v[8:9]
	v_fma_f64 v[10:11], -v[2:3], v[42:43], v[10:11]
	v_fmac_f64_e32 v[12:13], v[4:5], v[46:47]
	v_fmac_f64_e32 v[14:15], v[6:7], v[46:47]
	v_add_f64 v[8:9], v[8:9], v[12:13]
	v_add_f64 v[10:11], v[10:11], v[14:15]
	global_store_dwordx4 v[32:33], v[8:11], off
	s_nop 1
	v_mov_b64_e32 v[8:9], 0
	s_and_saveexec_b64 s[20:21], s[2:3]
	s_cbranch_execz .LBB300_16
; %bb.15:                               ;   in Loop: Header=BB300_5 Depth=1
	v_add_u32_e32 v12, v59, v25
	v_add_u32_e32 v26, s28, v12
	v_lshl_add_u64 v[36:37], v[26:27], 4, s[8:9]
	v_add_u32_e32 v26, s29, v12
	v_ashrrev_i32_e32 v13, 31, v12
	global_load_dwordx4 v[8:11], v[36:37], off
	v_lshl_add_u64 v[12:13], v[12:13], 4, s[14:15]
	v_lshl_add_u64 v[38:39], v[26:27], 4, s[8:9]
	global_load_dwordx4 v[12:15], v[12:13], off
	v_mul_f64 v[56:57], v[2:3], v[22:23]
	global_load_dwordx4 v[32:35], v[38:39], off
	v_mul_f64 v[60:61], v[22:23], -v[0:1]
	v_mul_f64 v[62:63], v[22:23], -v[6:7]
	v_mul_f64 v[64:65], v[4:5], v[22:23]
	v_mul_f64 v[66:67], v[6:7], -v[22:23]
	v_mul_f64 v[68:69], v[6:7], v[20:21]
	v_fma_f64 v[0:1], -v[0:1], v[20:21], v[56:57]
	v_fma_f64 v[2:3], -v[2:3], v[20:21], v[60:61]
	v_fmac_f64_e32 v[62:63], v[4:5], v[20:21]
	v_fmac_f64_e32 v[64:65], v[6:7], v[20:21]
	;; [unrolled: 1-line block ×4, first 2 shown]
	v_mul_f64 v[4:5], v[2:3], v[48:49]
	v_mul_f64 v[6:7], v[48:49], -v[0:1]
	v_mul_f64 v[20:21], v[52:53], -v[64:65]
	v_mul_f64 v[22:23], v[62:63], v[52:53]
	v_mul_f64 v[56:57], v[18:19], -v[68:69]
	v_mul_f64 v[18:19], v[18:19], v[66:67]
	v_mul_f64 v[48:49], v[2:3], v[50:51]
	v_mul_f64 v[50:51], v[50:51], -v[0:1]
	v_mul_f64 v[52:53], v[54:55], -v[64:65]
	v_mul_f64 v[54:55], v[62:63], v[54:55]
	v_fma_f64 v[4:5], -v[0:1], v[40:41], v[4:5]
	v_fma_f64 v[6:7], -v[2:3], v[40:41], v[6:7]
	v_fmac_f64_e32 v[20:21], v[62:63], v[44:45]
	v_fmac_f64_e32 v[22:23], v[64:65], v[44:45]
	;; [unrolled: 1-line block ×4, first 2 shown]
	v_fma_f64 v[0:1], -v[0:1], v[42:43], v[48:49]
	v_fma_f64 v[2:3], -v[2:3], v[42:43], v[50:51]
	v_fmac_f64_e32 v[52:53], v[62:63], v[46:47]
	v_fmac_f64_e32 v[54:55], v[64:65], v[46:47]
	v_add_f64 v[4:5], v[4:5], -v[20:21]
	v_add_f64 v[6:7], v[6:7], -v[22:23]
	v_mul_f64 v[22:23], v[30:31], -v[18:19]
	v_mul_f64 v[30:31], v[30:31], v[56:57]
	v_add_f64 v[16:17], v[0:1], -v[52:53]
	v_add_f64 v[20:21], v[2:3], -v[54:55]
	v_fmac_f64_e32 v[22:23], v[56:57], v[28:29]
	v_fmac_f64_e32 v[30:31], v[18:19], v[28:29]
	s_waitcnt vmcnt(2)
	v_add_f64 v[0:1], v[4:5], v[8:9]
	v_add_f64 v[2:3], v[6:7], v[10:11]
	global_store_dwordx4 v[36:37], v[0:3], off
	s_waitcnt vmcnt(2)
	v_add_f64 v[8:9], v[12:13], -v[22:23]
	v_add_f64 v[56:57], v[14:15], -v[30:31]
	s_waitcnt vmcnt(1)
	v_add_f64 v[0:1], v[16:17], v[32:33]
	v_add_f64 v[2:3], v[20:21], v[34:35]
	global_store_dwordx4 v[38:39], v[0:3], off
.LBB300_16:                             ;   in Loop: Header=BB300_5 Depth=1
	s_or_b64 exec, exec, s[20:21]
	v_mov_b64_e32 v[6:7], v[56:57]
	v_mov_b64_e32 v[4:5], v[8:9]
                                        ; implicit-def: $vgpr0_vgpr1
                                        ; implicit-def: $vgpr12_vgpr13
                                        ; implicit-def: $vgpr8_vgpr9
                                        ; implicit-def: $vgpr30_vgpr31
                                        ; implicit-def: $vgpr28_vgpr29
                                        ; implicit-def: $vgpr32
.LBB300_17:                             ;   in Loop: Header=BB300_5 Depth=1
	s_or_saveexec_b64 s[2:3], s[4:5]
	v_mov_b32_e32 v10, s27
	s_xor_b64 exec, exec, s[2:3]
	s_cbranch_execz .LBB300_4
; %bb.18:                               ;   in Loop: Header=BB300_5 Depth=1
	v_mov_b32_e32 v33, v27
	v_lshl_add_u64 v[22:23], v[26:27], 4, s[8:9]
	v_lshl_add_u64 v[32:33], v[32:33], 4, s[8:9]
	global_load_dwordx4 v[34:37], v[22:23], off
	global_load_dwordx4 v[38:41], v[32:33], off
	v_mul_f64 v[10:11], v[6:7], v[6:7]
	v_fmac_f64_e32 v[10:11], v[4:5], v[4:5]
	v_div_scale_f64 v[18:19], s[4:5], v[10:11], v[10:11], 1.0
	v_rcp_f64_e32 v[20:21], v[18:19]
	v_fma_f64 v[16:17], 0, v[6:7], v[4:5]
	v_fma_f64 v[4:5], v[4:5], 0, -v[6:7]
	v_div_scale_f64 v[6:7], vcc, 1.0, v[10:11], 1.0
	v_fma_f64 v[42:43], -v[18:19], v[20:21], 1.0
	v_fmac_f64_e32 v[20:21], v[20:21], v[42:43]
	v_fma_f64 v[42:43], -v[18:19], v[20:21], 1.0
	v_fmac_f64_e32 v[20:21], v[20:21], v[42:43]
	v_mul_f64 v[42:43], v[6:7], v[20:21]
	v_fma_f64 v[6:7], -v[18:19], v[42:43], v[6:7]
	v_div_fmas_f64 v[6:7], v[6:7], v[20:21], v[42:43]
	v_div_fixup_f64 v[6:7], v[6:7], v[10:11], 1.0
	v_mul_f64 v[20:21], v[4:5], v[6:7]
	v_mul_f64 v[10:11], v[16:17], v[6:7]
	s_waitcnt vmcnt(1)
	v_mul_f64 v[16:17], v[20:21], -v[36:37]
	v_mul_f64 v[18:19], v[20:21], v[34:35]
	s_waitcnt vmcnt(0)
	v_mul_f64 v[4:5], v[20:21], -v[40:41]
	v_mul_f64 v[6:7], v[20:21], v[38:39]
	v_fmac_f64_e32 v[16:17], v[34:35], v[10:11]
	v_fmac_f64_e32 v[18:19], v[36:37], v[10:11]
	;; [unrolled: 1-line block ×4, first 2 shown]
	global_store_dwordx4 v[22:23], v[16:19], off
	global_store_dwordx4 v[32:33], v[4:7], off
	s_and_saveexec_b64 s[4:5], s[0:1]
	s_cbranch_execz .LBB300_3
; %bb.19:                               ;   in Loop: Header=BB300_5 Depth=1
	v_add_u32_e32 v36, v58, v25
	v_add_u32_e32 v26, s28, v36
	v_lshl_add_u64 v[22:23], v[26:27], 4, s[8:9]
	v_add_u32_e32 v26, s29, v36
	global_load_dwordx4 v[32:35], v[22:23], off
	v_lshl_add_u64 v[40:41], v[26:27], 4, s[8:9]
	global_load_dwordx4 v[36:39], v[40:41], off
	s_waitcnt vmcnt(1)
	v_fma_f64 v[32:33], -v[0:1], v[16:17], v[32:33]
	v_fma_f64 v[16:17], -v[2:3], v[16:17], v[34:35]
	;; [unrolled: 1-line block ×3, first 2 shown]
	s_waitcnt vmcnt(0)
	v_fma_f64 v[16:17], -v[0:1], v[4:5], v[36:37]
	v_fma_f64 v[4:5], -v[2:3], v[4:5], v[38:39]
	v_fmac_f64_e32 v[32:33], v[2:3], v[18:19]
	v_fmac_f64_e32 v[16:17], v[2:3], v[6:7]
	v_fma_f64 v[18:19], -v[0:1], v[6:7], v[4:5]
	global_store_dwordx4 v[22:23], v[32:35], off
	global_store_dwordx4 v[40:41], v[16:19], off
	s_branch .LBB300_3
.LBB300_20:
	s_or_b64 exec, exec, s[18:19]
	s_branch .LBB300_22
.LBB300_21:
	v_mov_b32_e32 v25, 0
.LBB300_22:
	v_subrev_u32_e32 v2, s22, v25
	v_add_u32_e32 v0, v2, v24
	v_ashrrev_i32_e32 v1, 31, v0
	s_waitcnt lgkmcnt(0)
	v_lshl_add_u64 v[0:1], v[0:1], 2, s[6:7]
	buffer_wbl2 sc1
	s_waitcnt vmcnt(0)
	buffer_inv sc1
	global_load_dword v0, v[0:1], off
	s_waitcnt vmcnt(0)
	v_mul_lo_u32 v0, v0, s22
	v_sub_u32_e32 v8, v2, v0
	v_cmp_lt_i32_e32 vcc, -1, v8
	s_and_b64 exec, exec, vcc
	s_cbranch_execz .LBB300_29
; %bb.23:
	s_lshl_b32 s4, s24, 1
	s_add_i32 s5, s4, s23
	s_lshl_b32 s12, s22, 1
	s_mov_b64 s[0:1], 0
	v_mov_b32_e32 v5, 0
	s_branch .LBB300_25
.LBB300_24:                             ;   in Loop: Header=BB300_25 Depth=1
	s_or_b64 exec, exec, s[2:3]
	v_sub_u32_e32 v8, v8, v4
	v_cmp_gt_i32_e32 vcc, 0, v8
	s_or_b64 s[0:1], vcc, s[0:1]
	s_andn2_b64 exec, exec, s[0:1]
	s_cbranch_execz .LBB300_29
.LBB300_25:                             ; =>This Inner Loop Header: Depth=1
	v_add_u32_e32 v6, v8, v24
	v_ashrrev_i32_e32 v7, 31, v6
	s_waitcnt vmcnt(0)
	v_lshl_add_u64 v[0:1], v[6:7], 2, s[6:7]
	global_load_dword v4, v[0:1], off
	v_lshl_add_u64 v[0:1], v[6:7], 4, s[10:11]
	global_load_dwordx4 v[0:3], v[0:1], off
	s_waitcnt vmcnt(1)
	v_cmp_ne_u32_e32 vcc, 1, v4
	s_and_saveexec_b64 s[2:3], vcc
	s_xor_b64 s[2:3], exec, s[2:3]
	s_cbranch_execz .LBB300_27
; %bb.26:                               ;   in Loop: Header=BB300_25 Depth=1
	v_add_u32_e32 v7, v58, v8
	v_add_u32_e32 v4, s4, v7
	v_lshl_add_u64 v[22:23], v[4:5], 4, s[8:9]
	v_add_u32_e32 v4, s5, v7
	v_lshl_add_u64 v[26:27], v[4:5], 4, s[8:9]
	v_add_u32_e32 v4, s4, v6
	v_lshl_add_u64 v[28:29], v[4:5], 4, s[8:9]
	global_load_dwordx4 v[10:13], v[28:29], off
	global_load_dwordx4 v[14:17], v[22:23], off
	;; [unrolled: 1-line block ×3, first 2 shown]
	v_add_u32_e32 v4, s5, v6
	v_lshl_add_u64 v[6:7], v[4:5], 4, s[8:9]
	v_subrev_u32_e32 v4, s22, v8
	v_add_u32_e32 v22, v4, v24
	v_ashrrev_i32_e32 v23, 31, v22
	v_add_u32_e32 v4, s4, v22
	v_lshl_add_u64 v[26:27], v[22:23], 4, s[10:11]
	v_lshl_add_u64 v[30:31], v[4:5], 4, s[8:9]
	v_add_u32_e32 v4, s5, v22
	s_waitcnt vmcnt(1)
	v_fma_f64 v[10:11], -v[0:1], v[14:15], v[10:11]
	v_fma_f64 v[12:13], -v[2:3], v[14:15], v[12:13]
	v_fmac_f64_e32 v[10:11], v[2:3], v[16:17]
	v_fma_f64 v[12:13], -v[0:1], v[16:17], v[12:13]
	global_store_dwordx4 v[28:29], v[10:13], off
	global_load_dwordx4 v[10:13], v[6:7], off
	s_nop 0
	global_load_dwordx4 v[26:29], v[26:27], off
	s_waitcnt vmcnt(1)
	v_fma_f64 v[10:11], -v[0:1], v[18:19], v[10:11]
	v_fma_f64 v[12:13], -v[2:3], v[18:19], v[12:13]
	v_fmac_f64_e32 v[10:11], v[2:3], v[20:21]
	v_fma_f64 v[12:13], -v[0:1], v[20:21], v[12:13]
	global_store_dwordx4 v[6:7], v[10:13], off
	global_load_dwordx4 v[0:3], v[30:31], off
	v_lshl_add_u64 v[6:7], v[4:5], 4, s[8:9]
	s_waitcnt vmcnt(0)
	v_fma_f64 v[0:1], -v[26:27], v[14:15], v[0:1]
	v_fma_f64 v[2:3], -v[28:29], v[14:15], v[2:3]
	v_fmac_f64_e32 v[0:1], v[28:29], v[16:17]
	v_fma_f64 v[2:3], -v[26:27], v[16:17], v[2:3]
	global_store_dwordx4 v[30:31], v[0:3], off
	global_load_dwordx4 v[0:3], v[6:7], off
	s_waitcnt vmcnt(0)
	v_fma_f64 v[0:1], -v[26:27], v[18:19], v[0:1]
	v_fma_f64 v[2:3], -v[28:29], v[18:19], v[2:3]
	v_fmac_f64_e32 v[0:1], v[28:29], v[20:21]
	v_fma_f64 v[2:3], -v[26:27], v[20:21], v[2:3]
	global_store_dwordx4 v[6:7], v[0:3], off
                                        ; implicit-def: $vgpr6
                                        ; implicit-def: $vgpr0_vgpr1
.LBB300_27:                             ;   in Loop: Header=BB300_25 Depth=1
	s_or_saveexec_b64 s[2:3], s[2:3]
	v_mov_b32_e32 v4, s12
	s_xor_b64 exec, exec, s[2:3]
	s_cbranch_execz .LBB300_24
; %bb.28:                               ;   in Loop: Header=BB300_25 Depth=1
	v_add_u32_e32 v7, v58, v8
	v_add_u32_e32 v4, s4, v7
	v_lshl_add_u64 v[18:19], v[4:5], 4, s[8:9]
	v_add_u32_e32 v4, s4, v6
	v_lshl_add_u64 v[20:21], v[4:5], 4, s[8:9]
	global_load_dwordx4 v[10:13], v[18:19], off
	global_load_dwordx4 v[14:17], v[20:21], off
	v_add_u32_e32 v4, s5, v7
	v_lshl_add_u64 v[18:19], v[4:5], 4, s[8:9]
	v_add_u32_e32 v4, s5, v6
	v_lshl_add_u64 v[6:7], v[4:5], 4, s[8:9]
	v_mov_b32_e32 v4, s22
	s_waitcnt vmcnt(0)
	v_fma_f64 v[14:15], -v[0:1], v[10:11], v[14:15]
	v_fma_f64 v[10:11], -v[2:3], v[10:11], v[16:17]
	v_fmac_f64_e32 v[14:15], v[2:3], v[12:13]
	v_fma_f64 v[16:17], -v[0:1], v[12:13], v[10:11]
	global_store_dwordx4 v[20:21], v[14:17], off
	global_load_dwordx4 v[10:13], v[18:19], off
	s_nop 0
	global_load_dwordx4 v[14:17], v[6:7], off
	s_waitcnt vmcnt(0)
	v_fma_f64 v[14:15], -v[0:1], v[10:11], v[14:15]
	v_fma_f64 v[10:11], -v[2:3], v[10:11], v[16:17]
	v_fmac_f64_e32 v[14:15], v[2:3], v[12:13]
	v_fma_f64 v[16:17], -v[0:1], v[12:13], v[10:11]
	global_store_dwordx4 v[6:7], v[14:17], off
	s_branch .LBB300_24
.LBB300_29:
	s_endpgm
	.section	.rodata,"a",@progbits
	.p2align	6, 0x0
	.amdhsa_kernel _ZN9rocsparseL19gtsv_LBM_rhs_kernelILj256ELj8ELj2E21rocsparse_complex_numIdEEEviiiPKT2_S5_S5_PS3_S5_PKi
		.amdhsa_group_segment_fixed_size 0
		.amdhsa_private_segment_fixed_size 0
		.amdhsa_kernarg_size 64
		.amdhsa_user_sgpr_count 2
		.amdhsa_user_sgpr_dispatch_ptr 0
		.amdhsa_user_sgpr_queue_ptr 0
		.amdhsa_user_sgpr_kernarg_segment_ptr 1
		.amdhsa_user_sgpr_dispatch_id 0
		.amdhsa_user_sgpr_kernarg_preload_length 0
		.amdhsa_user_sgpr_kernarg_preload_offset 0
		.amdhsa_user_sgpr_private_segment_size 0
		.amdhsa_uses_dynamic_stack 0
		.amdhsa_enable_private_segment 0
		.amdhsa_system_sgpr_workgroup_id_x 1
		.amdhsa_system_sgpr_workgroup_id_y 1
		.amdhsa_system_sgpr_workgroup_id_z 0
		.amdhsa_system_sgpr_workgroup_info 0
		.amdhsa_system_vgpr_workitem_id 0
		.amdhsa_next_free_vgpr 78
		.amdhsa_next_free_sgpr 30
		.amdhsa_accum_offset 80
		.amdhsa_reserve_vcc 1
		.amdhsa_float_round_mode_32 0
		.amdhsa_float_round_mode_16_64 0
		.amdhsa_float_denorm_mode_32 3
		.amdhsa_float_denorm_mode_16_64 3
		.amdhsa_dx10_clamp 1
		.amdhsa_ieee_mode 1
		.amdhsa_fp16_overflow 0
		.amdhsa_tg_split 0
		.amdhsa_exception_fp_ieee_invalid_op 0
		.amdhsa_exception_fp_denorm_src 0
		.amdhsa_exception_fp_ieee_div_zero 0
		.amdhsa_exception_fp_ieee_overflow 0
		.amdhsa_exception_fp_ieee_underflow 0
		.amdhsa_exception_fp_ieee_inexact 0
		.amdhsa_exception_int_div_zero 0
	.end_amdhsa_kernel
	.section	.text._ZN9rocsparseL19gtsv_LBM_rhs_kernelILj256ELj8ELj2E21rocsparse_complex_numIdEEEviiiPKT2_S5_S5_PS3_S5_PKi,"axG",@progbits,_ZN9rocsparseL19gtsv_LBM_rhs_kernelILj256ELj8ELj2E21rocsparse_complex_numIdEEEviiiPKT2_S5_S5_PS3_S5_PKi,comdat
.Lfunc_end300:
	.size	_ZN9rocsparseL19gtsv_LBM_rhs_kernelILj256ELj8ELj2E21rocsparse_complex_numIdEEEviiiPKT2_S5_S5_PS3_S5_PKi, .Lfunc_end300-_ZN9rocsparseL19gtsv_LBM_rhs_kernelILj256ELj8ELj2E21rocsparse_complex_numIdEEEviiiPKT2_S5_S5_PS3_S5_PKi
                                        ; -- End function
	.set _ZN9rocsparseL19gtsv_LBM_rhs_kernelILj256ELj8ELj2E21rocsparse_complex_numIdEEEviiiPKT2_S5_S5_PS3_S5_PKi.num_vgpr, 78
	.set _ZN9rocsparseL19gtsv_LBM_rhs_kernelILj256ELj8ELj2E21rocsparse_complex_numIdEEEviiiPKT2_S5_S5_PS3_S5_PKi.num_agpr, 0
	.set _ZN9rocsparseL19gtsv_LBM_rhs_kernelILj256ELj8ELj2E21rocsparse_complex_numIdEEEviiiPKT2_S5_S5_PS3_S5_PKi.numbered_sgpr, 30
	.set _ZN9rocsparseL19gtsv_LBM_rhs_kernelILj256ELj8ELj2E21rocsparse_complex_numIdEEEviiiPKT2_S5_S5_PS3_S5_PKi.num_named_barrier, 0
	.set _ZN9rocsparseL19gtsv_LBM_rhs_kernelILj256ELj8ELj2E21rocsparse_complex_numIdEEEviiiPKT2_S5_S5_PS3_S5_PKi.private_seg_size, 0
	.set _ZN9rocsparseL19gtsv_LBM_rhs_kernelILj256ELj8ELj2E21rocsparse_complex_numIdEEEviiiPKT2_S5_S5_PS3_S5_PKi.uses_vcc, 1
	.set _ZN9rocsparseL19gtsv_LBM_rhs_kernelILj256ELj8ELj2E21rocsparse_complex_numIdEEEviiiPKT2_S5_S5_PS3_S5_PKi.uses_flat_scratch, 0
	.set _ZN9rocsparseL19gtsv_LBM_rhs_kernelILj256ELj8ELj2E21rocsparse_complex_numIdEEEviiiPKT2_S5_S5_PS3_S5_PKi.has_dyn_sized_stack, 0
	.set _ZN9rocsparseL19gtsv_LBM_rhs_kernelILj256ELj8ELj2E21rocsparse_complex_numIdEEEviiiPKT2_S5_S5_PS3_S5_PKi.has_recursion, 0
	.set _ZN9rocsparseL19gtsv_LBM_rhs_kernelILj256ELj8ELj2E21rocsparse_complex_numIdEEEviiiPKT2_S5_S5_PS3_S5_PKi.has_indirect_call, 0
	.section	.AMDGPU.csdata,"",@progbits
; Kernel info:
; codeLenInByte = 2732
; TotalNumSgprs: 36
; NumVgprs: 78
; NumAgprs: 0
; TotalNumVgprs: 78
; ScratchSize: 0
; MemoryBound: 1
; FloatMode: 240
; IeeeMode: 1
; LDSByteSize: 0 bytes/workgroup (compile time only)
; SGPRBlocks: 4
; VGPRBlocks: 9
; NumSGPRsForWavesPerEU: 36
; NumVGPRsForWavesPerEU: 78
; AccumOffset: 80
; Occupancy: 6
; WaveLimiterHint : 0
; COMPUTE_PGM_RSRC2:SCRATCH_EN: 0
; COMPUTE_PGM_RSRC2:USER_SGPR: 2
; COMPUTE_PGM_RSRC2:TRAP_HANDLER: 0
; COMPUTE_PGM_RSRC2:TGID_X_EN: 1
; COMPUTE_PGM_RSRC2:TGID_Y_EN: 1
; COMPUTE_PGM_RSRC2:TGID_Z_EN: 0
; COMPUTE_PGM_RSRC2:TIDIG_COMP_CNT: 0
; COMPUTE_PGM_RSRC3_GFX90A:ACCUM_OFFSET: 19
; COMPUTE_PGM_RSRC3_GFX90A:TG_SPLIT: 0
	.section	.text._ZN9rocsparseL19gtsv_LBM_rhs_kernelILj256ELj8ELj1E21rocsparse_complex_numIdEEEviiiPKT2_S5_S5_PS3_S5_PKi,"axG",@progbits,_ZN9rocsparseL19gtsv_LBM_rhs_kernelILj256ELj8ELj1E21rocsparse_complex_numIdEEEviiiPKT2_S5_S5_PS3_S5_PKi,comdat
	.globl	_ZN9rocsparseL19gtsv_LBM_rhs_kernelILj256ELj8ELj1E21rocsparse_complex_numIdEEEviiiPKT2_S5_S5_PS3_S5_PKi ; -- Begin function _ZN9rocsparseL19gtsv_LBM_rhs_kernelILj256ELj8ELj1E21rocsparse_complex_numIdEEEviiiPKT2_S5_S5_PS3_S5_PKi
	.p2align	8
	.type	_ZN9rocsparseL19gtsv_LBM_rhs_kernelILj256ELj8ELj1E21rocsparse_complex_numIdEEEviiiPKT2_S5_S5_PS3_S5_PKi,@function
_ZN9rocsparseL19gtsv_LBM_rhs_kernelILj256ELj8ELj1E21rocsparse_complex_numIdEEEviiiPKT2_S5_S5_PS3_S5_PKi: ; @_ZN9rocsparseL19gtsv_LBM_rhs_kernelILj256ELj8ELj1E21rocsparse_complex_numIdEEEviiiPKT2_S5_S5_PS3_S5_PKi
; %bb.0:
	s_load_dword s24, s[0:1], 0x0
	v_lshl_or_b32 v24, s2, 8, v0
	s_waitcnt lgkmcnt(0)
	s_lshr_b32 s22, s24, 3
	v_cmp_gt_i32_e32 vcc, s22, v24
	s_and_saveexec_b64 s[4:5], vcc
	s_cbranch_execz .LBB301_29
; %bb.1:
	s_load_dwordx4 s[8:11], s[0:1], 0x28
	s_load_dwordx2 s[6:7], s[0:1], 0x38
	s_cmp_lt_i32 s24, 1
	s_mul_i32 s23, s24, s3
	s_cbranch_scc1 .LBB301_21
; %bb.2:
	s_load_dwordx4 s[12:15], s[0:1], 0x10
	s_load_dwordx2 s[16:17], s[0:1], 0x20
	v_ashrrev_i32_e32 v25, 31, v24
	v_add_u32_e32 v42, s22, v24
	s_mul_i32 s25, s22, 7
	s_waitcnt lgkmcnt(0)
	v_lshl_add_u64 v[0:1], v[24:25], 4, s[14:15]
	global_load_dwordx4 v[0:3], v[0:1], off
	s_mul_i32 s26, s22, 6
	s_lshl_b32 s27, s22, 1
	v_add_u32_e32 v43, s22, v42
	v_add_u32_e32 v44, s23, v42
	v_mov_b32_e32 v27, 0
	s_mov_b64 s[18:19], 0
	v_mov_b32_e32 v25, 0
	s_branch .LBB301_5
.LBB301_3:                              ;   in Loop: Header=BB301_5 Depth=1
	s_or_b64 exec, exec, s[4:5]
	v_fmac_f64_e32 v[30:31], v[4:5], v[8:9]
	v_fmac_f64_e32 v[28:29], v[6:7], v[8:9]
	v_mul_f64 v[0:1], v[16:17], -v[28:29]
	v_mul_f64 v[2:3], v[16:17], v[30:31]
	v_fmac_f64_e32 v[0:1], v[30:31], v[10:11]
	v_fmac_f64_e32 v[2:3], v[28:29], v[10:11]
	v_add_f64 v[0:1], v[12:13], -v[0:1]
	v_add_f64 v[2:3], v[14:15], -v[2:3]
	v_mov_b32_e32 v10, s22
.LBB301_4:                              ;   in Loop: Header=BB301_5 Depth=1
	s_or_b64 exec, exec, s[2:3]
	v_add_u32_e32 v25, v10, v25
	v_cmp_le_i32_e32 vcc, s24, v25
	s_or_b64 s[18:19], vcc, s[18:19]
	s_andn2_b64 exec, exec, s[18:19]
	s_cbranch_execz .LBB301_20
.LBB301_5:                              ; =>This Inner Loop Header: Depth=1
	v_add_u32_e32 v32, v25, v24
	v_ashrrev_i32_e32 v33, 31, v32
	v_lshl_add_u64 v[4:5], v[32:33], 4, s[16:17]
	global_load_dwordx4 v[8:11], v[4:5], off
	v_cmp_gt_u32_e64 s[0:1], s25, v25
	v_mov_b64_e32 v[12:13], 0
	v_add_u32_e32 v22, v42, v25
	v_mov_b64_e32 v[4:5], 0
	v_mov_b64_e32 v[6:7], 0
	s_and_saveexec_b64 s[2:3], s[0:1]
	s_cbranch_execz .LBB301_7
; %bb.6:                                ;   in Loop: Header=BB301_5 Depth=1
	v_ashrrev_i32_e32 v23, 31, v22
	v_lshl_add_u64 v[4:5], v[22:23], 4, s[12:13]
	global_load_dwordx4 v[4:7], v[4:5], off
.LBB301_7:                              ;   in Loop: Header=BB301_5 Depth=1
	s_or_b64 exec, exec, s[2:3]
	v_mov_b64_e32 v[14:15], 0
	s_and_saveexec_b64 s[2:3], s[0:1]
	s_cbranch_execz .LBB301_9
; %bb.8:                                ;   in Loop: Header=BB301_5 Depth=1
	v_ashrrev_i32_e32 v23, 31, v22
	v_lshl_add_u64 v[12:13], v[22:23], 4, s[14:15]
	global_load_dwordx4 v[12:15], v[12:13], off
.LBB301_9:                              ;   in Loop: Header=BB301_5 Depth=1
	s_or_b64 exec, exec, s[2:3]
	v_mov_b64_e32 v[20:21], 0
	v_mov_b64_e32 v[16:17], 0
	;; [unrolled: 1-line block ×3, first 2 shown]
	s_and_saveexec_b64 s[2:3], s[0:1]
	s_cbranch_execz .LBB301_11
; %bb.10:                               ;   in Loop: Header=BB301_5 Depth=1
	v_ashrrev_i32_e32 v23, 31, v22
	v_lshl_add_u64 v[16:17], v[22:23], 4, s[16:17]
	global_load_dwordx4 v[16:19], v[16:17], off
.LBB301_11:                             ;   in Loop: Header=BB301_5 Depth=1
	s_or_b64 exec, exec, s[2:3]
	v_cmp_gt_u32_e64 s[2:3], s26, v25
	v_mov_b64_e32 v[22:23], 0
	s_and_saveexec_b64 s[4:5], s[2:3]
	s_cbranch_execz .LBB301_13
; %bb.12:                               ;   in Loop: Header=BB301_5 Depth=1
	v_add_u32_e32 v20, v43, v25
	v_ashrrev_i32_e32 v21, 31, v20
	v_lshl_add_u64 v[20:21], v[20:21], 4, s[12:13]
	global_load_dwordx4 v[20:23], v[20:21], off
.LBB301_13:                             ;   in Loop: Header=BB301_5 Depth=1
	s_or_b64 exec, exec, s[4:5]
	v_lshl_add_u64 v[28:29], v[32:33], 2, s[6:7]
	global_load_dword v26, v[28:29], off
	v_cmp_ne_u32_e32 vcc, s25, v25
	s_waitcnt vmcnt(1)
	v_mul_f64 v[30:31], v[10:11], -v[6:7]
	v_mul_f64 v[28:29], v[10:11], v[4:5]
	s_waitcnt vmcnt(0)
	v_cmp_ne_u32_e64 s[4:5], 1, v26
	s_and_b64 s[4:5], vcc, s[4:5]
	v_add_u32_e32 v26, s23, v32
	s_and_saveexec_b64 s[20:21], s[4:5]
	s_xor_b64 s[4:5], exec, s[20:21]
	s_cbranch_execz .LBB301_17
; %bb.14:                               ;   in Loop: Header=BB301_5 Depth=1
	v_lshl_add_u64 v[54:55], v[26:27], 4, s[8:9]
	v_add_u32_e32 v26, v44, v25
	global_load_dwordx4 v[46:49], v[54:55], off
	v_lshl_add_u64 v[56:57], v[26:27], 4, s[8:9]
	global_load_dwordx4 v[50:53], v[56:57], off
	v_mul_f64 v[34:35], v[0:1], v[14:15]
	v_mul_f64 v[32:33], v[14:15], -v[2:3]
	v_fmac_f64_e32 v[28:29], v[6:7], v[8:9]
	v_fmac_f64_e32 v[34:35], v[2:3], v[12:13]
	;; [unrolled: 1-line block ×4, first 2 shown]
	v_add_f64 v[28:29], v[34:35], -v[28:29]
	v_add_f64 v[30:31], v[32:33], -v[30:31]
	v_mul_f64 v[32:33], v[28:29], v[28:29]
	v_fmac_f64_e32 v[32:33], v[30:31], v[30:31]
	v_div_scale_f64 v[36:37], s[20:21], v[32:33], v[32:33], 1.0
	v_rcp_f64_e32 v[38:39], v[36:37]
	v_fma_f64 v[34:35], 0, v[28:29], v[30:31]
	v_fma_f64 v[30:31], v[30:31], 0, -v[28:29]
	v_div_scale_f64 v[28:29], vcc, 1.0, v[32:33], 1.0
	v_fma_f64 v[58:59], -v[36:37], v[38:39], 1.0
	v_fmac_f64_e32 v[38:39], v[38:39], v[58:59]
	v_fma_f64 v[58:59], -v[36:37], v[38:39], 1.0
	v_fmac_f64_e32 v[38:39], v[38:39], v[58:59]
	v_mul_f64 v[58:59], v[28:29], v[38:39]
	v_fma_f64 v[28:29], -v[36:37], v[58:59], v[28:29]
	v_div_fmas_f64 v[28:29], v[28:29], v[38:39], v[58:59]
	v_div_fixup_f64 v[32:33], v[28:29], v[32:33], 1.0
	v_mul_f64 v[30:31], v[30:31], v[32:33]
	v_mul_f64 v[28:29], v[34:35], v[32:33]
	v_mov_b64_e32 v[40:41], 0
	s_waitcnt vmcnt(1)
	v_mul_f64 v[36:37], v[30:31], v[46:47]
	v_mul_f64 v[32:33], v[30:31], -v[48:49]
	v_fmac_f64_e32 v[36:37], v[48:49], v[28:29]
	s_waitcnt vmcnt(0)
	v_mul_f64 v[38:39], v[30:31], v[50:51]
	v_fmac_f64_e32 v[32:33], v[46:47], v[28:29]
	v_mul_f64 v[34:35], v[30:31], -v[52:53]
	v_fmac_f64_e32 v[38:39], v[52:53], v[28:29]
	v_mul_f64 v[46:47], v[36:37], -v[14:15]
	v_mul_f64 v[48:49], v[12:13], v[36:37]
	v_fmac_f64_e32 v[34:35], v[50:51], v[28:29]
	v_fmac_f64_e32 v[46:47], v[12:13], v[32:33]
	;; [unrolled: 1-line block ×3, first 2 shown]
	v_mul_f64 v[12:13], v[38:39], -v[10:11]
	v_mul_f64 v[14:15], v[8:9], v[38:39]
	v_mul_f64 v[50:51], v[6:7], v[36:37]
	v_mul_f64 v[52:53], v[36:37], -v[4:5]
	v_mul_f64 v[58:59], v[38:39], -v[2:3]
	v_mul_f64 v[60:61], v[0:1], v[38:39]
	v_fmac_f64_e32 v[12:13], v[8:9], v[34:35]
	v_fmac_f64_e32 v[14:15], v[10:11], v[34:35]
	v_fma_f64 v[50:51], -v[4:5], v[32:33], v[50:51]
	v_fma_f64 v[52:53], -v[6:7], v[32:33], v[52:53]
	v_fmac_f64_e32 v[58:59], v[0:1], v[34:35]
	v_fmac_f64_e32 v[60:61], v[2:3], v[34:35]
	v_add_f64 v[8:9], v[46:47], -v[12:13]
	v_add_f64 v[10:11], v[48:49], -v[14:15]
	v_add_f64 v[12:13], v[50:51], v[58:59]
	v_add_f64 v[14:15], v[52:53], v[60:61]
	global_store_dwordx4 v[54:55], v[8:11], off
	global_store_dwordx4 v[56:57], v[12:15], off
	s_nop 0
	v_mov_b64_e32 v[8:9], 0
	s_and_saveexec_b64 s[20:21], s[2:3]
	s_cbranch_execz .LBB301_16
; %bb.15:                               ;   in Loop: Header=BB301_5 Depth=1
	v_add_u32_e32 v12, v43, v25
	v_add_u32_e32 v26, s23, v12
	v_lshl_add_u64 v[40:41], v[26:27], 4, s[8:9]
	v_ashrrev_i32_e32 v13, 31, v12
	global_load_dwordx4 v[8:11], v[40:41], off
	v_lshl_add_u64 v[12:13], v[12:13], 4, s[14:15]
	global_load_dwordx4 v[12:15], v[12:13], off
	v_mul_f64 v[46:47], v[6:7], v[22:23]
	v_mul_f64 v[48:49], v[22:23], -v[4:5]
	v_mul_f64 v[50:51], v[22:23], -v[2:3]
	v_mul_f64 v[52:53], v[0:1], v[22:23]
	v_mul_f64 v[54:55], v[2:3], -v[22:23]
	v_mul_f64 v[56:57], v[2:3], v[20:21]
	v_fma_f64 v[4:5], -v[4:5], v[20:21], v[46:47]
	v_fma_f64 v[6:7], -v[6:7], v[20:21], v[48:49]
	v_fmac_f64_e32 v[50:51], v[0:1], v[20:21]
	v_fmac_f64_e32 v[52:53], v[2:3], v[20:21]
	;; [unrolled: 1-line block ×4, first 2 shown]
	v_mul_f64 v[0:1], v[6:7], v[36:37]
	v_mul_f64 v[2:3], v[36:37], -v[4:5]
	v_mul_f64 v[20:21], v[38:39], -v[52:53]
	v_mul_f64 v[22:23], v[50:51], v[38:39]
	v_mul_f64 v[36:37], v[18:19], -v[56:57]
	v_mul_f64 v[18:19], v[18:19], v[54:55]
	v_fma_f64 v[0:1], -v[4:5], v[32:33], v[0:1]
	v_fma_f64 v[2:3], -v[6:7], v[32:33], v[2:3]
	v_fmac_f64_e32 v[20:21], v[50:51], v[34:35]
	v_fmac_f64_e32 v[22:23], v[52:53], v[34:35]
	;; [unrolled: 1-line block ×4, first 2 shown]
	v_add_f64 v[0:1], v[0:1], -v[20:21]
	v_add_f64 v[2:3], v[2:3], -v[22:23]
	v_mul_f64 v[4:5], v[30:31], -v[18:19]
	v_mul_f64 v[6:7], v[30:31], v[36:37]
	v_fmac_f64_e32 v[4:5], v[36:37], v[28:29]
	v_fmac_f64_e32 v[6:7], v[18:19], v[28:29]
	s_waitcnt vmcnt(1)
	v_add_f64 v[0:1], v[0:1], v[8:9]
	v_add_f64 v[2:3], v[2:3], v[10:11]
	s_waitcnt vmcnt(0)
	v_add_f64 v[8:9], v[12:13], -v[4:5]
	global_store_dwordx4 v[40:41], v[0:3], off
	v_add_f64 v[40:41], v[14:15], -v[6:7]
.LBB301_16:                             ;   in Loop: Header=BB301_5 Depth=1
	s_or_b64 exec, exec, s[20:21]
	v_mov_b64_e32 v[2:3], v[40:41]
	v_mov_b64_e32 v[0:1], v[8:9]
                                        ; implicit-def: $vgpr4_vgpr5
                                        ; implicit-def: $vgpr12_vgpr13
                                        ; implicit-def: $vgpr8_vgpr9
                                        ; implicit-def: $vgpr30_vgpr31
                                        ; implicit-def: $vgpr28_vgpr29
.LBB301_17:                             ;   in Loop: Header=BB301_5 Depth=1
	s_or_saveexec_b64 s[2:3], s[4:5]
	v_mov_b32_e32 v10, s27
	s_xor_b64 exec, exec, s[2:3]
	s_cbranch_execz .LBB301_4
; %bb.18:                               ;   in Loop: Header=BB301_5 Depth=1
	v_lshl_add_u64 v[22:23], v[26:27], 4, s[8:9]
	global_load_dwordx4 v[18:21], v[22:23], off
	v_mul_f64 v[10:11], v[2:3], v[2:3]
	v_fmac_f64_e32 v[10:11], v[0:1], v[0:1]
	v_div_scale_f64 v[32:33], s[4:5], v[10:11], v[10:11], 1.0
	v_rcp_f64_e32 v[34:35], v[32:33]
	v_fma_f64 v[16:17], 0, v[2:3], v[0:1]
	v_fma_f64 v[0:1], v[0:1], 0, -v[2:3]
	v_div_scale_f64 v[2:3], vcc, 1.0, v[10:11], 1.0
	v_fma_f64 v[36:37], -v[32:33], v[34:35], 1.0
	v_fmac_f64_e32 v[34:35], v[34:35], v[36:37]
	v_fma_f64 v[36:37], -v[32:33], v[34:35], 1.0
	v_fmac_f64_e32 v[34:35], v[34:35], v[36:37]
	v_mul_f64 v[36:37], v[2:3], v[34:35]
	v_fma_f64 v[2:3], -v[32:33], v[36:37], v[2:3]
	v_div_fmas_f64 v[2:3], v[2:3], v[34:35], v[36:37]
	v_div_fixup_f64 v[2:3], v[2:3], v[10:11], 1.0
	v_mul_f64 v[10:11], v[16:17], v[2:3]
	v_mul_f64 v[16:17], v[0:1], v[2:3]
	s_waitcnt vmcnt(0)
	v_mul_f64 v[0:1], v[16:17], -v[20:21]
	v_mul_f64 v[2:3], v[16:17], v[18:19]
	v_fmac_f64_e32 v[0:1], v[18:19], v[10:11]
	v_fmac_f64_e32 v[2:3], v[20:21], v[10:11]
	global_store_dwordx4 v[22:23], v[0:3], off
	s_and_saveexec_b64 s[4:5], s[0:1]
	s_cbranch_execz .LBB301_3
; %bb.19:                               ;   in Loop: Header=BB301_5 Depth=1
	v_add_u32_e32 v26, v44, v25
	v_lshl_add_u64 v[22:23], v[26:27], 4, s[8:9]
	global_load_dwordx4 v[18:21], v[22:23], off
	s_waitcnt vmcnt(0)
	v_fma_f64 v[18:19], -v[4:5], v[0:1], v[18:19]
	v_fma_f64 v[0:1], -v[6:7], v[0:1], v[20:21]
	v_fmac_f64_e32 v[18:19], v[6:7], v[2:3]
	v_fma_f64 v[20:21], -v[4:5], v[2:3], v[0:1]
	global_store_dwordx4 v[22:23], v[18:21], off
	s_branch .LBB301_3
.LBB301_20:
	s_or_b64 exec, exec, s[18:19]
	s_branch .LBB301_22
.LBB301_21:
	v_mov_b32_e32 v25, 0
.LBB301_22:
	v_subrev_u32_e32 v2, s22, v25
	v_add_u32_e32 v0, v2, v24
	v_ashrrev_i32_e32 v1, 31, v0
	s_waitcnt lgkmcnt(0)
	v_lshl_add_u64 v[0:1], v[0:1], 2, s[6:7]
	buffer_wbl2 sc1
	s_waitcnt vmcnt(0)
	buffer_inv sc1
	global_load_dword v0, v[0:1], off
	s_waitcnt vmcnt(0)
	v_mul_lo_u32 v0, v0, s22
	v_sub_u32_e32 v8, v2, v0
	v_cmp_lt_i32_e32 vcc, -1, v8
	s_and_b64 exec, exec, vcc
	s_cbranch_execz .LBB301_29
; %bb.23:
	s_add_i32 s0, s23, s22
	v_add_u32_e32 v9, s0, v24
	s_lshl_b32 s4, s22, 1
	s_mov_b64 s[0:1], 0
	v_mov_b32_e32 v5, 0
	s_branch .LBB301_25
.LBB301_24:                             ;   in Loop: Header=BB301_25 Depth=1
	s_or_b64 exec, exec, s[2:3]
	v_sub_u32_e32 v8, v8, v4
	v_cmp_gt_i32_e32 vcc, 0, v8
	s_or_b64 s[0:1], vcc, s[0:1]
	s_andn2_b64 exec, exec, s[0:1]
	s_cbranch_execz .LBB301_29
.LBB301_25:                             ; =>This Inner Loop Header: Depth=1
	v_add_u32_e32 v6, v8, v24
	v_ashrrev_i32_e32 v7, 31, v6
	s_waitcnt vmcnt(0)
	v_lshl_add_u64 v[0:1], v[6:7], 2, s[6:7]
	global_load_dword v4, v[0:1], off
	v_lshl_add_u64 v[0:1], v[6:7], 4, s[10:11]
	global_load_dwordx4 v[0:3], v[0:1], off
	s_waitcnt vmcnt(1)
	v_cmp_ne_u32_e32 vcc, 1, v4
	s_and_saveexec_b64 s[2:3], vcc
	s_xor_b64 s[2:3], exec, s[2:3]
	s_cbranch_execz .LBB301_27
; %bb.26:                               ;   in Loop: Header=BB301_25 Depth=1
	v_add_u32_e32 v4, v9, v8
	v_lshl_add_u64 v[18:19], v[4:5], 4, s[8:9]
	v_add_u32_e32 v4, s23, v6
	v_lshl_add_u64 v[6:7], v[4:5], 4, s[8:9]
	global_load_dwordx4 v[10:13], v[18:19], off
	global_load_dwordx4 v[14:17], v[6:7], off
	v_subrev_u32_e32 v4, s22, v8
	v_add_u32_e32 v18, v4, v24
	v_ashrrev_i32_e32 v19, 31, v18
	v_add_u32_e32 v4, s23, v18
	v_lshl_add_u64 v[18:19], v[18:19], 4, s[10:11]
	v_lshl_add_u64 v[22:23], v[4:5], 4, s[8:9]
	global_load_dwordx4 v[18:21], v[18:19], off
	s_waitcnt vmcnt(1)
	v_fma_f64 v[14:15], -v[0:1], v[10:11], v[14:15]
	v_fma_f64 v[16:17], -v[2:3], v[10:11], v[16:17]
	v_fmac_f64_e32 v[14:15], v[2:3], v[12:13]
	v_fma_f64 v[16:17], -v[0:1], v[12:13], v[16:17]
	global_store_dwordx4 v[6:7], v[14:17], off
	global_load_dwordx4 v[0:3], v[22:23], off
                                        ; implicit-def: $vgpr6
	s_waitcnt vmcnt(0)
	v_fma_f64 v[0:1], -v[18:19], v[10:11], v[0:1]
	v_fma_f64 v[2:3], -v[20:21], v[10:11], v[2:3]
	v_fmac_f64_e32 v[0:1], v[20:21], v[12:13]
	v_fma_f64 v[2:3], -v[18:19], v[12:13], v[2:3]
	global_store_dwordx4 v[22:23], v[0:3], off
                                        ; implicit-def: $vgpr0_vgpr1
.LBB301_27:                             ;   in Loop: Header=BB301_25 Depth=1
	s_or_saveexec_b64 s[2:3], s[2:3]
	v_mov_b32_e32 v4, s4
	s_xor_b64 exec, exec, s[2:3]
	s_cbranch_execz .LBB301_24
; %bb.28:                               ;   in Loop: Header=BB301_25 Depth=1
	v_add_u32_e32 v4, v9, v8
	v_lshl_add_u64 v[18:19], v[4:5], 4, s[8:9]
	v_add_u32_e32 v4, s23, v6
	v_lshl_add_u64 v[6:7], v[4:5], 4, s[8:9]
	global_load_dwordx4 v[10:13], v[18:19], off
	global_load_dwordx4 v[14:17], v[6:7], off
	v_mov_b32_e32 v4, s22
	s_waitcnt vmcnt(0)
	v_fma_f64 v[14:15], -v[0:1], v[10:11], v[14:15]
	v_fma_f64 v[10:11], -v[2:3], v[10:11], v[16:17]
	v_fmac_f64_e32 v[14:15], v[2:3], v[12:13]
	v_fma_f64 v[16:17], -v[0:1], v[12:13], v[10:11]
	global_store_dwordx4 v[6:7], v[14:17], off
	s_branch .LBB301_24
.LBB301_29:
	s_endpgm
	.section	.rodata,"a",@progbits
	.p2align	6, 0x0
	.amdhsa_kernel _ZN9rocsparseL19gtsv_LBM_rhs_kernelILj256ELj8ELj1E21rocsparse_complex_numIdEEEviiiPKT2_S5_S5_PS3_S5_PKi
		.amdhsa_group_segment_fixed_size 0
		.amdhsa_private_segment_fixed_size 0
		.amdhsa_kernarg_size 64
		.amdhsa_user_sgpr_count 2
		.amdhsa_user_sgpr_dispatch_ptr 0
		.amdhsa_user_sgpr_queue_ptr 0
		.amdhsa_user_sgpr_kernarg_segment_ptr 1
		.amdhsa_user_sgpr_dispatch_id 0
		.amdhsa_user_sgpr_kernarg_preload_length 0
		.amdhsa_user_sgpr_kernarg_preload_offset 0
		.amdhsa_user_sgpr_private_segment_size 0
		.amdhsa_uses_dynamic_stack 0
		.amdhsa_enable_private_segment 0
		.amdhsa_system_sgpr_workgroup_id_x 1
		.amdhsa_system_sgpr_workgroup_id_y 1
		.amdhsa_system_sgpr_workgroup_id_z 0
		.amdhsa_system_sgpr_workgroup_info 0
		.amdhsa_system_vgpr_workitem_id 0
		.amdhsa_next_free_vgpr 62
		.amdhsa_next_free_sgpr 28
		.amdhsa_accum_offset 64
		.amdhsa_reserve_vcc 1
		.amdhsa_float_round_mode_32 0
		.amdhsa_float_round_mode_16_64 0
		.amdhsa_float_denorm_mode_32 3
		.amdhsa_float_denorm_mode_16_64 3
		.amdhsa_dx10_clamp 1
		.amdhsa_ieee_mode 1
		.amdhsa_fp16_overflow 0
		.amdhsa_tg_split 0
		.amdhsa_exception_fp_ieee_invalid_op 0
		.amdhsa_exception_fp_denorm_src 0
		.amdhsa_exception_fp_ieee_div_zero 0
		.amdhsa_exception_fp_ieee_overflow 0
		.amdhsa_exception_fp_ieee_underflow 0
		.amdhsa_exception_fp_ieee_inexact 0
		.amdhsa_exception_int_div_zero 0
	.end_amdhsa_kernel
	.section	.text._ZN9rocsparseL19gtsv_LBM_rhs_kernelILj256ELj8ELj1E21rocsparse_complex_numIdEEEviiiPKT2_S5_S5_PS3_S5_PKi,"axG",@progbits,_ZN9rocsparseL19gtsv_LBM_rhs_kernelILj256ELj8ELj1E21rocsparse_complex_numIdEEEviiiPKT2_S5_S5_PS3_S5_PKi,comdat
.Lfunc_end301:
	.size	_ZN9rocsparseL19gtsv_LBM_rhs_kernelILj256ELj8ELj1E21rocsparse_complex_numIdEEEviiiPKT2_S5_S5_PS3_S5_PKi, .Lfunc_end301-_ZN9rocsparseL19gtsv_LBM_rhs_kernelILj256ELj8ELj1E21rocsparse_complex_numIdEEEviiiPKT2_S5_S5_PS3_S5_PKi
                                        ; -- End function
	.set _ZN9rocsparseL19gtsv_LBM_rhs_kernelILj256ELj8ELj1E21rocsparse_complex_numIdEEEviiiPKT2_S5_S5_PS3_S5_PKi.num_vgpr, 62
	.set _ZN9rocsparseL19gtsv_LBM_rhs_kernelILj256ELj8ELj1E21rocsparse_complex_numIdEEEviiiPKT2_S5_S5_PS3_S5_PKi.num_agpr, 0
	.set _ZN9rocsparseL19gtsv_LBM_rhs_kernelILj256ELj8ELj1E21rocsparse_complex_numIdEEEviiiPKT2_S5_S5_PS3_S5_PKi.numbered_sgpr, 28
	.set _ZN9rocsparseL19gtsv_LBM_rhs_kernelILj256ELj8ELj1E21rocsparse_complex_numIdEEEviiiPKT2_S5_S5_PS3_S5_PKi.num_named_barrier, 0
	.set _ZN9rocsparseL19gtsv_LBM_rhs_kernelILj256ELj8ELj1E21rocsparse_complex_numIdEEEviiiPKT2_S5_S5_PS3_S5_PKi.private_seg_size, 0
	.set _ZN9rocsparseL19gtsv_LBM_rhs_kernelILj256ELj8ELj1E21rocsparse_complex_numIdEEEviiiPKT2_S5_S5_PS3_S5_PKi.uses_vcc, 1
	.set _ZN9rocsparseL19gtsv_LBM_rhs_kernelILj256ELj8ELj1E21rocsparse_complex_numIdEEEviiiPKT2_S5_S5_PS3_S5_PKi.uses_flat_scratch, 0
	.set _ZN9rocsparseL19gtsv_LBM_rhs_kernelILj256ELj8ELj1E21rocsparse_complex_numIdEEEviiiPKT2_S5_S5_PS3_S5_PKi.has_dyn_sized_stack, 0
	.set _ZN9rocsparseL19gtsv_LBM_rhs_kernelILj256ELj8ELj1E21rocsparse_complex_numIdEEEviiiPKT2_S5_S5_PS3_S5_PKi.has_recursion, 0
	.set _ZN9rocsparseL19gtsv_LBM_rhs_kernelILj256ELj8ELj1E21rocsparse_complex_numIdEEEviiiPKT2_S5_S5_PS3_S5_PKi.has_indirect_call, 0
	.section	.AMDGPU.csdata,"",@progbits
; Kernel info:
; codeLenInByte = 1980
; TotalNumSgprs: 34
; NumVgprs: 62
; NumAgprs: 0
; TotalNumVgprs: 62
; ScratchSize: 0
; MemoryBound: 1
; FloatMode: 240
; IeeeMode: 1
; LDSByteSize: 0 bytes/workgroup (compile time only)
; SGPRBlocks: 4
; VGPRBlocks: 7
; NumSGPRsForWavesPerEU: 34
; NumVGPRsForWavesPerEU: 62
; AccumOffset: 64
; Occupancy: 8
; WaveLimiterHint : 0
; COMPUTE_PGM_RSRC2:SCRATCH_EN: 0
; COMPUTE_PGM_RSRC2:USER_SGPR: 2
; COMPUTE_PGM_RSRC2:TRAP_HANDLER: 0
; COMPUTE_PGM_RSRC2:TGID_X_EN: 1
; COMPUTE_PGM_RSRC2:TGID_Y_EN: 1
; COMPUTE_PGM_RSRC2:TGID_Z_EN: 0
; COMPUTE_PGM_RSRC2:TIDIG_COMP_CNT: 0
; COMPUTE_PGM_RSRC3_GFX90A:ACCUM_OFFSET: 15
; COMPUTE_PGM_RSRC3_GFX90A:TG_SPLIT: 0
	.section	.text._ZN9rocsparseL29gtsv_spike_block_level_kernelILj256ELj8E21rocsparse_complex_numIdEEEviiiPT1_PKS3_S6_S4_S4_S4_S4_S4_,"axG",@progbits,_ZN9rocsparseL29gtsv_spike_block_level_kernelILj256ELj8E21rocsparse_complex_numIdEEEviiiPT1_PKS3_S6_S4_S4_S4_S4_S4_,comdat
	.globl	_ZN9rocsparseL29gtsv_spike_block_level_kernelILj256ELj8E21rocsparse_complex_numIdEEEviiiPT1_PKS3_S6_S4_S4_S4_S4_S4_ ; -- Begin function _ZN9rocsparseL29gtsv_spike_block_level_kernelILj256ELj8E21rocsparse_complex_numIdEEEviiiPT1_PKS3_S6_S4_S4_S4_S4_S4_
	.p2align	8
	.type	_ZN9rocsparseL29gtsv_spike_block_level_kernelILj256ELj8E21rocsparse_complex_numIdEEEviiiPT1_PKS3_S6_S4_S4_S4_S4_S4_,@function
_ZN9rocsparseL29gtsv_spike_block_level_kernelILj256ELj8E21rocsparse_complex_numIdEEEviiiPT1_PKS3_S6_S4_S4_S4_S4_S4_: ; @_ZN9rocsparseL29gtsv_spike_block_level_kernelILj256ELj8E21rocsparse_complex_numIdEEEviiiPT1_PKS3_S6_S4_S4_S4_S4_S4_
; %bb.0:
	s_load_dword s12, s[0:1], 0x0
	s_load_dwordx2 s[8:9], s[0:1], 0x18
	v_lshl_or_b32 v6, s2, 8, v0
	v_mov_b64_e32 v[2:3], 0
	v_mov_b64_e32 v[12:13], 0
	s_waitcnt lgkmcnt(0)
	s_lshr_b32 s20, s12, 3
	v_cmp_gt_i32_e64 s[4:5], s20, v6
	v_mov_b64_e32 v[14:15], 0
	s_and_saveexec_b64 s[6:7], s[4:5]
	s_cbranch_execz .LBB302_2
; %bb.1:
	v_ashrrev_i32_e32 v7, 31, v6
	v_lshl_add_u64 v[4:5], v[6:7], 4, s[8:9]
	global_load_dwordx4 v[12:15], v[4:5], off
.LBB302_2:
	s_or_b64 exec, exec, s[6:7]
	s_load_dwordx2 s[6:7], s[0:1], 0x20
	v_lshlrev_b32_e32 v1, 4, v0
	v_or_b32_e32 v10, 0x2000, v1
	v_mov_b64_e32 v[4:5], 0
	s_waitcnt vmcnt(0)
	ds_write_b128 v1, v[12:15] offset:8192
	s_and_saveexec_b64 s[10:11], s[4:5]
	s_cbranch_execz .LBB302_4
; %bb.3:
	v_mad_u64_u32 v[2:3], s[14:15], s20, 7, v[6:7]
	v_mov_b32_e32 v3, 0
	v_lshl_add_u64 v[2:3], v[2:3], 4, s[8:9]
	global_load_dwordx4 v[2:5], v[2:3], off
.LBB302_4:
	s_or_b64 exec, exec, s[10:11]
	s_waitcnt vmcnt(0)
	ds_write_b128 v10, v[2:5] offset:4096
	v_mov_b64_e32 v[2:3], 0
	v_mov_b64_e32 v[12:13], 0
	;; [unrolled: 1-line block ×3, first 2 shown]
	s_and_saveexec_b64 s[8:9], s[4:5]
	s_cbranch_execz .LBB302_6
; %bb.5:
	v_ashrrev_i32_e32 v7, 31, v6
	s_waitcnt lgkmcnt(0)
	v_lshl_add_u64 v[4:5], v[6:7], 4, s[6:7]
	global_load_dwordx4 v[12:15], v[4:5], off
.LBB302_6:
	s_or_b64 exec, exec, s[8:9]
	s_load_dwordx2 s[16:17], s[0:1], 0x10
	v_mov_b64_e32 v[4:5], 0
	s_waitcnt vmcnt(0)
	ds_write_b128 v1, v[12:15]
	s_and_saveexec_b64 s[8:9], s[4:5]
	s_cbranch_execz .LBB302_8
; %bb.7:
	v_mad_u64_u32 v[2:3], s[10:11], s20, 7, v[6:7]
	v_mov_b32_e32 v3, 0
	s_waitcnt lgkmcnt(0)
	v_lshl_add_u64 v[2:3], v[2:3], 4, s[6:7]
	global_load_dwordx4 v[2:5], v[2:3], off
.LBB302_8:
	s_or_b64 exec, exec, s[8:9]
	s_mul_i32 s14, s12, s3
	s_waitcnt vmcnt(0)
	ds_write_b128 v1, v[2:5] offset:4096
	v_mov_b64_e32 v[2:3], 0
	v_add_u32_e32 v8, s14, v6
	v_mov_b64_e32 v[12:13], 0
	v_mov_b64_e32 v[14:15], 0
	s_waitcnt lgkmcnt(0)
	s_and_saveexec_b64 s[6:7], s[4:5]
	s_cbranch_execz .LBB302_10
; %bb.9:
	v_ashrrev_i32_e32 v9, 31, v8
	v_lshl_add_u64 v[4:5], v[8:9], 4, s[16:17]
	global_load_dwordx4 v[12:15], v[4:5], off
.LBB302_10:
	s_or_b64 exec, exec, s[6:7]
	s_load_dwordx2 s[6:7], s[0:1], 0x48
	s_load_dwordx4 s[8:11], s[0:1], 0x38
	v_or_b32_e32 v9, 0x4000, v1
	s_mul_i32 s21, s20, 7
	v_mov_b64_e32 v[4:5], 0
	s_waitcnt vmcnt(0)
	ds_write_b128 v1, v[12:15] offset:16384
	s_and_saveexec_b64 s[12:13], s[4:5]
	s_cbranch_execz .LBB302_12
; %bb.11:
	s_mul_i32 s15, s20, 7
	s_add_i32 s15, s15, s14
	v_add_u32_e32 v2, s15, v6
	v_mov_b32_e32 v3, 0
	v_lshl_add_u64 v[2:3], v[2:3], 4, s[16:17]
	global_load_dwordx4 v[2:5], v[2:3], off
.LBB302_12:
	s_or_b64 exec, exec, s[12:13]
	s_load_dwordx4 s[12:15], s[0:1], 0x28
	v_add_u32_e32 v13, 0x1000, v10
	v_or_b32_e32 v12, 0x1000, v1
	v_add_u32_e32 v11, 0x1000, v9
	s_mov_b32 s22, 2
	s_waitcnt vmcnt(0)
	ds_write_b128 v9, v[2:5] offset:4096
	s_waitcnt lgkmcnt(0)
	s_barrier
	s_branch .LBB302_14
.LBB302_13:                             ;   in Loop: Header=BB302_14 Depth=1
	s_or_b64 exec, exec, s[18:19]
	s_lshl_b32 s18, s22, 1
	s_cmpk_lt_u32 s22, 0x81
	s_mov_b32 s22, s18
	s_waitcnt lgkmcnt(0)
	s_barrier
	s_cbranch_scc0 .LBB302_16
.LBB302_14:                             ; =>This Inner Loop Header: Depth=1
	s_ff1_i32_b32 s18, s22
	s_lshr_b32 s18, 0x100, s18
	v_cmp_gt_u32_e32 vcc, s18, v0
	s_and_saveexec_b64 s[18:19], vcc
	s_cbranch_execz .LBB302_13
; %bb.15:                               ;   in Loop: Header=BB302_14 Depth=1
	v_mul_lo_u32 v7, s22, v0
	s_lshr_b32 s23, s22, 1
	v_add_u32_e32 v46, s23, v7
	v_lshlrev_b32_e32 v47, 4, v46
	ds_read_b128 v[14:17], v47 offset:8192
	ds_read_b128 v[2:5], v47 offset:4080
	ds_read_b128 v[18:21], v47
	ds_read_b128 v[22:25], v47 offset:12272
	v_lshlrev_b32_e32 v7, 4, v7
	v_add_lshl_u32 v46, v46, s23, 4
	s_waitcnt lgkmcnt(2)
	v_mul_f64 v[28:29], v[4:5], v[14:15]
	v_mul_f64 v[26:27], v[4:5], -v[16:17]
	v_fmac_f64_e32 v[28:29], v[16:17], v[2:3]
	v_fmac_f64_e32 v[26:27], v[14:15], v[2:3]
	v_add_f64 v[36:37], -v[28:29], 0
	v_add_f64 v[34:35], -v[26:27], 1.0
	v_mul_f64 v[26:27], v[36:37], v[36:37]
	v_fmac_f64_e32 v[26:27], v[34:35], v[34:35]
	v_div_scale_f64 v[28:29], s[24:25], v[26:27], v[26:27], 1.0
	v_rcp_f64_e32 v[30:31], v[28:29]
	v_fma_f64 v[40:41], 0, v[36:37], v[34:35]
	v_fma_f64 v[34:35], v[34:35], 0, -v[36:37]
	v_fma_f64 v[32:33], -v[28:29], v[30:31], 1.0
	v_fmac_f64_e32 v[30:31], v[30:31], v[32:33]
	v_fma_f64 v[32:33], -v[28:29], v[30:31], 1.0
	v_fmac_f64_e32 v[30:31], v[30:31], v[32:33]
	v_div_scale_f64 v[32:33], vcc, 1.0, v[26:27], 1.0
	v_mul_f64 v[38:39], v[32:33], v[30:31]
	v_fma_f64 v[28:29], -v[28:29], v[38:39], v[32:33]
	s_nop 1
	v_div_fmas_f64 v[28:29], v[28:29], v[30:31], v[38:39]
	v_div_fixup_f64 v[38:39], v[28:29], v[26:27], 1.0
	ds_read_b128 v[26:29], v47 offset:20464
	ds_read_b128 v[30:33], v47 offset:16384
	v_mul_f64 v[44:45], v[34:35], v[38:39]
	v_mul_f64 v[42:43], v[40:41], v[38:39]
	s_waitcnt lgkmcnt(0)
	v_mul_f64 v[34:35], v[32:33], -v[4:5]
	v_mul_f64 v[36:37], v[2:3], v[32:33]
	v_fmac_f64_e32 v[34:35], v[2:3], v[30:31]
	v_fmac_f64_e32 v[36:37], v[4:5], v[30:31]
	v_add_f64 v[38:39], v[26:27], -v[34:35]
	v_add_f64 v[40:41], v[28:29], -v[36:37]
	v_mul_f64 v[34:35], v[44:45], -v[40:41]
	v_mul_f64 v[36:37], v[44:45], v[38:39]
	v_fmac_f64_e32 v[34:35], v[38:39], v[42:43]
	v_fmac_f64_e32 v[36:37], v[40:41], v[42:43]
	ds_write_b128 v47, v[34:37] offset:20464
	v_mul_f64 v[34:35], v[16:17], -v[28:29]
	v_fmac_f64_e32 v[34:35], v[26:27], v[14:15]
	v_mul_f64 v[26:27], v[16:17], v[26:27]
	v_fmac_f64_e32 v[26:27], v[28:29], v[14:15]
	v_add_f64 v[28:29], v[30:31], -v[34:35]
	v_add_f64 v[30:31], v[32:33], -v[26:27]
	v_mul_f64 v[26:27], v[44:45], -v[30:31]
	v_fmac_f64_e32 v[26:27], v[28:29], v[42:43]
	v_mul_f64 v[28:29], v[28:29], v[44:45]
	v_mul_f64 v[38:39], v[16:17], -v[24:25]
	v_mul_f64 v[16:17], v[16:17], v[22:23]
	v_fmac_f64_e32 v[28:29], v[30:31], v[42:43]
	ds_read_b128 v[30:33], v7
	v_fmac_f64_e32 v[16:17], v[24:25], v[14:15]
	v_fmac_f64_e32 v[38:39], v[22:23], v[14:15]
	v_mul_f64 v[14:15], v[44:45], v[16:17]
	v_mul_f64 v[16:17], v[16:17], -v[42:43]
	v_fma_f64 v[14:15], -v[42:43], v[38:39], v[14:15]
	v_fma_f64 v[16:17], -v[44:45], v[38:39], v[16:17]
	v_mul_f64 v[38:39], v[24:25], -v[44:45]
	v_mul_f64 v[40:41], v[42:43], v[24:25]
	v_fmac_f64_e32 v[38:39], v[42:43], v[22:23]
	v_fmac_f64_e32 v[40:41], v[44:45], v[22:23]
	ds_read_b128 v[34:37], v46 offset:12272
	ds_write_b128 v47, v[14:17] offset:8192
	ds_write_b128 v47, v[38:41] offset:12272
	ds_read_b128 v[22:25], v7 offset:8192
	s_waitcnt lgkmcnt(4)
	v_mul_f64 v[38:39], v[28:29], -v[32:33]
	v_fmac_f64_e32 v[38:39], v[30:31], v[26:27]
	v_mul_f64 v[30:31], v[28:29], v[30:31]
	v_mul_f64 v[40:41], v[2:3], v[20:21]
	ds_write_b128 v47, v[26:29] offset:16384
	v_fmac_f64_e32 v[30:31], v[32:33], v[26:27]
	v_mul_f64 v[32:33], v[20:21], -v[4:5]
	v_fmac_f64_e32 v[40:41], v[4:5], v[18:19]
	ds_read_b128 v[26:29], v7 offset:16384
	v_fmac_f64_e32 v[32:33], v[2:3], v[18:19]
	v_mul_f64 v[2:3], v[44:45], v[40:41]
	v_mul_f64 v[4:5], v[40:41], -v[42:43]
	v_fma_f64 v[2:3], -v[42:43], v[32:33], v[2:3]
	v_fma_f64 v[4:5], -v[44:45], v[32:33], v[4:5]
	ds_write_b128 v47, v[2:5] offset:4080
	v_mul_f64 v[2:3], v[20:21], -v[44:45]
	v_mul_f64 v[4:5], v[42:43], v[20:21]
	v_fmac_f64_e32 v[2:3], v[42:43], v[18:19]
	v_fmac_f64_e32 v[4:5], v[44:45], v[18:19]
	ds_write_b128 v47, v[2:5]
	ds_read_b128 v[18:21], v7
	s_waitcnt lgkmcnt(3)
	v_add_f64 v[26:27], v[26:27], -v[38:39]
	v_add_f64 v[28:29], v[28:29], -v[30:31]
	ds_write_b128 v7, v[26:29] offset:16384
	ds_read_b128 v[26:29], v47 offset:20464
	s_waitcnt lgkmcnt(2)
	v_mul_f64 v[30:31], v[4:5], v[20:21]
	v_mul_f64 v[4:5], v[4:5], -v[18:19]
	v_fma_f64 v[30:31], -v[18:19], v[2:3], v[30:31]
	v_fma_f64 v[32:33], -v[20:21], v[2:3], v[4:5]
	ds_write_b128 v7, v[30:33]
	s_waitcnt lgkmcnt(1)
	v_mul_f64 v[30:31], v[28:29], -v[36:37]
	v_fmac_f64_e32 v[30:31], v[34:35], v[26:27]
	v_mul_f64 v[32:33], v[28:29], v[34:35]
	v_mul_f64 v[34:35], v[16:17], -v[20:21]
	v_mul_f64 v[16:17], v[16:17], v[18:19]
	v_fmac_f64_e32 v[34:35], v[18:19], v[14:15]
	v_fmac_f64_e32 v[16:17], v[20:21], v[14:15]
	ds_read_b128 v[2:5], v46 offset:4080
	v_fmac_f64_e32 v[32:33], v[36:37], v[26:27]
	ds_read_b128 v[26:29], v46 offset:20464
	v_add_f64 v[14:15], v[22:23], -v[34:35]
	v_add_f64 v[16:17], v[24:25], -v[16:17]
	ds_write_b128 v7, v[14:17] offset:8192
	ds_read_b128 v[14:17], v46 offset:12272
	ds_read_b128 v[18:21], v47 offset:4080
	s_waitcnt lgkmcnt(3)
	v_add_f64 v[22:23], v[26:27], -v[30:31]
	v_add_f64 v[24:25], v[28:29], -v[32:33]
	ds_write_b128 v46, v[22:25] offset:20464
	ds_read_b128 v[22:25], v47 offset:12272
	s_waitcnt lgkmcnt(2)
	v_mul_f64 v[26:27], v[16:17], -v[20:21]
	v_fmac_f64_e32 v[26:27], v[18:19], v[14:15]
	v_mul_f64 v[18:19], v[16:17], v[18:19]
	v_fmac_f64_e32 v[18:19], v[20:21], v[14:15]
	v_add_f64 v[2:3], v[2:3], -v[26:27]
	v_add_f64 v[4:5], v[4:5], -v[18:19]
	ds_write_b128 v46, v[2:5] offset:4080
	s_waitcnt lgkmcnt(1)
	v_mul_f64 v[2:3], v[16:17], v[24:25]
	v_mul_f64 v[4:5], v[24:25], -v[14:15]
	v_fma_f64 v[2:3], -v[14:15], v[22:23], v[2:3]
	v_fma_f64 v[4:5], -v[16:17], v[22:23], v[4:5]
	ds_write_b128 v46, v[2:5] offset:12272
	s_branch .LBB302_13
.LBB302_16:
	s_and_saveexec_b64 s[18:19], s[4:5]
	s_cbranch_execnz .LBB302_19
; %bb.17:
	s_or_b64 exec, exec, s[18:19]
	v_cmp_eq_u32_e32 vcc, 0, v0
	s_and_saveexec_b64 s[4:5], vcc
	s_cbranch_execnz .LBB302_23
.LBB302_18:
	s_endpgm
.LBB302_19:
	s_cmp_eq_u32 s3, 0
	s_cbranch_scc1 .LBB302_27
; %bb.20:
	s_mul_i32 s20, s20, 7
	s_cbranch_execnz .LBB302_22
.LBB302_21:
	ds_read2_b64 v[2:5], v10 offset1:1
	ds_read2_b64 v[14:17], v13 offset1:1
	v_ashrrev_i32_e32 v7, 31, v6
	v_lshlrev_b64 v[22:23], 4, v[6:7]
	v_lshl_add_u64 v[18:19], s[12:13], 0, v[22:23]
	s_waitcnt lgkmcnt(1)
	global_store_dwordx4 v[18:19], v[2:5], off
	ds_read2_b64 v[18:21], v12 offset1:1
	v_lshl_add_u64 v[12:13], s[14:15], 0, v[22:23]
	v_add_u32_e32 v2, s21, v6
	v_mov_b32_e32 v3, 0
	v_lshlrev_b64 v[6:7], 4, v[2:3]
	ds_read2_b64 v[2:5], v1 offset1:1
	v_lshl_add_u64 v[24:25], s[12:13], 0, v[6:7]
	s_mov_b32 s20, s21
	s_waitcnt lgkmcnt(2)
	global_store_dwordx4 v[24:25], v[14:17], off
	s_waitcnt lgkmcnt(0)
	global_store_dwordx4 v[12:13], v[2:5], off
	s_nop 1
	v_lshl_add_u64 v[2:3], s[14:15], 0, v[6:7]
	global_store_dwordx4 v[2:3], v[18:21], off
.LBB302_22:
	ds_read2_b64 v[2:5], v9 offset1:1
	ds_read2_b64 v[10:13], v11 offset1:1
	v_ashrrev_i32_e32 v9, 31, v8
	v_add_u32_e32 v6, s20, v8
	v_lshl_add_u64 v[8:9], v[8:9], 4, s[16:17]
	v_mov_b32_e32 v7, 0
	s_waitcnt lgkmcnt(1)
	global_store_dwordx4 v[8:9], v[2:5], off
	s_nop 1
	v_lshl_add_u64 v[2:3], v[6:7], 4, s[16:17]
	s_waitcnt lgkmcnt(0)
	global_store_dwordx4 v[2:3], v[10:13], off
	s_or_b64 exec, exec, s[18:19]
	v_cmp_eq_u32_e32 vcc, 0, v0
	s_and_saveexec_b64 s[4:5], vcc
	s_cbranch_execz .LBB302_18
.LBB302_23:
	s_cmp_eq_u32 s3, 0
	s_cbranch_scc1 .LBB302_28
; %bb.24:
	s_load_dword s12, s[0:1], 0x50
	s_cbranch_execnz .LBB302_26
.LBB302_25:
	v_mov_b32_e32 v8, 0
	ds_read_b128 v[0:3], v8 offset:8192
	ds_read_b128 v[4:7], v8 offset:16368
	s_waitcnt lgkmcnt(0)
	s_load_dword s12, s[0:1], 0x50
	s_mov_b32 s4, s3
	s_ashr_i32 s3, s2, 31
	s_lshl_b64 s[14:15], s[2:3], 4
	s_add_u32 s0, s10, s14
	s_addc_u32 s1, s11, s15
	global_store_dwordx4 v8, v[0:3], s[0:1]
	s_waitcnt lgkmcnt(0)
	s_add_i32 s0, s12, s2
	s_mov_b32 s1, 0
	s_lshl_b64 s[0:1], s[0:1], 4
	s_mov_b32 s3, s4
	s_add_u32 s4, s10, s0
	s_addc_u32 s5, s11, s1
	ds_read_b128 v[0:3], v8
	global_store_dwordx4 v8, v[4:7], s[4:5]
	ds_read_b128 v[4:7], v8 offset:8176
	s_add_u32 s4, s6, s14
	s_addc_u32 s5, s7, s15
	s_add_u32 s0, s6, s0
	s_addc_u32 s1, s7, s1
	s_waitcnt lgkmcnt(1)
	global_store_dwordx4 v8, v[0:3], s[4:5]
	s_waitcnt lgkmcnt(0)
	global_store_dwordx4 v8, v[4:7], s[0:1]
.LBB302_26:
	s_waitcnt lgkmcnt(0)
	s_mul_i32 s0, s12, s3
	s_lshl_b32 s0, s0, 1
	s_add_i32 s0, s0, s2
	s_mov_b32 s1, 0
	v_mov_b32_e32 v8, 0
	s_lshl_b64 s[2:3], s[0:1], 4
	ds_read_b128 v[0:3], v8 offset:16384
	ds_read_b128 v[4:7], v8 offset:24560
	s_add_u32 s2, s8, s2
	s_addc_u32 s3, s9, s3
	s_add_i32 s0, s0, s12
	s_lshl_b64 s[0:1], s[0:1], 4
	s_add_u32 s0, s8, s0
	s_addc_u32 s1, s9, s1
	s_waitcnt lgkmcnt(1)
	global_store_dwordx4 v8, v[0:3], s[2:3]
	s_waitcnt lgkmcnt(0)
	global_store_dwordx4 v8, v[4:7], s[0:1]
	s_endpgm
.LBB302_27:
                                        ; implicit-def: $sgpr20
	s_branch .LBB302_21
.LBB302_28:
                                        ; implicit-def: $sgpr12
	s_branch .LBB302_25
	.section	.rodata,"a",@progbits
	.p2align	6, 0x0
	.amdhsa_kernel _ZN9rocsparseL29gtsv_spike_block_level_kernelILj256ELj8E21rocsparse_complex_numIdEEEviiiPT1_PKS3_S6_S4_S4_S4_S4_S4_
		.amdhsa_group_segment_fixed_size 24576
		.amdhsa_private_segment_fixed_size 0
		.amdhsa_kernarg_size 336
		.amdhsa_user_sgpr_count 2
		.amdhsa_user_sgpr_dispatch_ptr 0
		.amdhsa_user_sgpr_queue_ptr 0
		.amdhsa_user_sgpr_kernarg_segment_ptr 1
		.amdhsa_user_sgpr_dispatch_id 0
		.amdhsa_user_sgpr_kernarg_preload_length 0
		.amdhsa_user_sgpr_kernarg_preload_offset 0
		.amdhsa_user_sgpr_private_segment_size 0
		.amdhsa_uses_dynamic_stack 0
		.amdhsa_enable_private_segment 0
		.amdhsa_system_sgpr_workgroup_id_x 1
		.amdhsa_system_sgpr_workgroup_id_y 1
		.amdhsa_system_sgpr_workgroup_id_z 0
		.amdhsa_system_sgpr_workgroup_info 0
		.amdhsa_system_vgpr_workitem_id 0
		.amdhsa_next_free_vgpr 73
		.amdhsa_next_free_sgpr 91
		.amdhsa_accum_offset 48
		.amdhsa_reserve_vcc 1
		.amdhsa_float_round_mode_32 0
		.amdhsa_float_round_mode_16_64 0
		.amdhsa_float_denorm_mode_32 3
		.amdhsa_float_denorm_mode_16_64 3
		.amdhsa_dx10_clamp 1
		.amdhsa_ieee_mode 1
		.amdhsa_fp16_overflow 0
		.amdhsa_tg_split 0
		.amdhsa_exception_fp_ieee_invalid_op 0
		.amdhsa_exception_fp_denorm_src 0
		.amdhsa_exception_fp_ieee_div_zero 0
		.amdhsa_exception_fp_ieee_overflow 0
		.amdhsa_exception_fp_ieee_underflow 0
		.amdhsa_exception_fp_ieee_inexact 0
		.amdhsa_exception_int_div_zero 0
	.end_amdhsa_kernel
	.section	.text._ZN9rocsparseL29gtsv_spike_block_level_kernelILj256ELj8E21rocsparse_complex_numIdEEEviiiPT1_PKS3_S6_S4_S4_S4_S4_S4_,"axG",@progbits,_ZN9rocsparseL29gtsv_spike_block_level_kernelILj256ELj8E21rocsparse_complex_numIdEEEviiiPT1_PKS3_S6_S4_S4_S4_S4_S4_,comdat
.Lfunc_end302:
	.size	_ZN9rocsparseL29gtsv_spike_block_level_kernelILj256ELj8E21rocsparse_complex_numIdEEEviiiPT1_PKS3_S6_S4_S4_S4_S4_S4_, .Lfunc_end302-_ZN9rocsparseL29gtsv_spike_block_level_kernelILj256ELj8E21rocsparse_complex_numIdEEEviiiPT1_PKS3_S6_S4_S4_S4_S4_S4_
                                        ; -- End function
	.set _ZN9rocsparseL29gtsv_spike_block_level_kernelILj256ELj8E21rocsparse_complex_numIdEEEviiiPT1_PKS3_S6_S4_S4_S4_S4_S4_.num_vgpr, 48
	.set _ZN9rocsparseL29gtsv_spike_block_level_kernelILj256ELj8E21rocsparse_complex_numIdEEEviiiPT1_PKS3_S6_S4_S4_S4_S4_S4_.num_agpr, 0
	.set _ZN9rocsparseL29gtsv_spike_block_level_kernelILj256ELj8E21rocsparse_complex_numIdEEEviiiPT1_PKS3_S6_S4_S4_S4_S4_S4_.numbered_sgpr, 26
	.set _ZN9rocsparseL29gtsv_spike_block_level_kernelILj256ELj8E21rocsparse_complex_numIdEEEviiiPT1_PKS3_S6_S4_S4_S4_S4_S4_.num_named_barrier, 0
	.set _ZN9rocsparseL29gtsv_spike_block_level_kernelILj256ELj8E21rocsparse_complex_numIdEEEviiiPT1_PKS3_S6_S4_S4_S4_S4_S4_.private_seg_size, 0
	.set _ZN9rocsparseL29gtsv_spike_block_level_kernelILj256ELj8E21rocsparse_complex_numIdEEEviiiPT1_PKS3_S6_S4_S4_S4_S4_S4_.uses_vcc, 1
	.set _ZN9rocsparseL29gtsv_spike_block_level_kernelILj256ELj8E21rocsparse_complex_numIdEEEviiiPT1_PKS3_S6_S4_S4_S4_S4_S4_.uses_flat_scratch, 0
	.set _ZN9rocsparseL29gtsv_spike_block_level_kernelILj256ELj8E21rocsparse_complex_numIdEEEviiiPT1_PKS3_S6_S4_S4_S4_S4_S4_.has_dyn_sized_stack, 0
	.set _ZN9rocsparseL29gtsv_spike_block_level_kernelILj256ELj8E21rocsparse_complex_numIdEEEviiiPT1_PKS3_S6_S4_S4_S4_S4_S4_.has_recursion, 0
	.set _ZN9rocsparseL29gtsv_spike_block_level_kernelILj256ELj8E21rocsparse_complex_numIdEEEviiiPT1_PKS3_S6_S4_S4_S4_S4_S4_.has_indirect_call, 0
	.section	.AMDGPU.csdata,"",@progbits
; Kernel info:
; codeLenInByte = 2088
; TotalNumSgprs: 32
; NumVgprs: 48
; NumAgprs: 0
; TotalNumVgprs: 48
; ScratchSize: 0
; MemoryBound: 1
; FloatMode: 240
; IeeeMode: 1
; LDSByteSize: 24576 bytes/workgroup (compile time only)
; SGPRBlocks: 12
; VGPRBlocks: 9
; NumSGPRsForWavesPerEU: 97
; NumVGPRsForWavesPerEU: 73
; AccumOffset: 48
; Occupancy: 6
; WaveLimiterHint : 0
; COMPUTE_PGM_RSRC2:SCRATCH_EN: 0
; COMPUTE_PGM_RSRC2:USER_SGPR: 2
; COMPUTE_PGM_RSRC2:TRAP_HANDLER: 0
; COMPUTE_PGM_RSRC2:TGID_X_EN: 1
; COMPUTE_PGM_RSRC2:TGID_Y_EN: 1
; COMPUTE_PGM_RSRC2:TGID_Z_EN: 0
; COMPUTE_PGM_RSRC2:TIDIG_COMP_CNT: 0
; COMPUTE_PGM_RSRC3_GFX90A:ACCUM_OFFSET: 11
; COMPUTE_PGM_RSRC3_GFX90A:TG_SPLIT: 0
	.section	.text._ZN9rocsparseL33gtsv_solve_spike_propagate_kernelILj256ELj8E21rocsparse_complex_numIdEEEviiiPT1_PKS3_S6_S6_,"axG",@progbits,_ZN9rocsparseL33gtsv_solve_spike_propagate_kernelILj256ELj8E21rocsparse_complex_numIdEEEviiiPT1_PKS3_S6_S6_,comdat
	.globl	_ZN9rocsparseL33gtsv_solve_spike_propagate_kernelILj256ELj8E21rocsparse_complex_numIdEEEviiiPT1_PKS3_S6_S6_ ; -- Begin function _ZN9rocsparseL33gtsv_solve_spike_propagate_kernelILj256ELj8E21rocsparse_complex_numIdEEEviiiPT1_PKS3_S6_S6_
	.p2align	8
	.type	_ZN9rocsparseL33gtsv_solve_spike_propagate_kernelILj256ELj8E21rocsparse_complex_numIdEEEviiiPT1_PKS3_S6_S6_,@function
_ZN9rocsparseL33gtsv_solve_spike_propagate_kernelILj256ELj8E21rocsparse_complex_numIdEEEviiiPT1_PKS3_S6_S6_: ; @_ZN9rocsparseL33gtsv_solve_spike_propagate_kernelILj256ELj8E21rocsparse_complex_numIdEEEviiiPT1_PKS3_S6_S6_
; %bb.0:
	s_load_dword s8, s[0:1], 0x0
	v_lshl_or_b32 v2, s2, 8, v0
	v_lshlrev_b32_e32 v4, 4, v0
	s_waitcnt lgkmcnt(0)
	s_lshr_b32 s20, s8, 3
	v_cmp_gt_i32_e32 vcc, s20, v2
	v_cmp_le_i32_e64 s[4:5], s20, v2
	s_and_saveexec_b64 s[6:7], s[4:5]
	s_xor_b64 s[6:7], exec, s[6:7]
; %bb.1:
	v_mov_b32_e32 v6, 0
	v_mov_b32_e32 v7, v6
	;; [unrolled: 1-line block ×4, first 2 shown]
	ds_write_b128 v4, v[6:9] offset:16416
; %bb.2:
	s_or_saveexec_b64 s[6:7], s[6:7]
	v_mov_b64_e32 v[6:7], 0
	v_ashrrev_i32_e32 v3, 31, v2
	v_mov_b64_e32 v[8:9], 0
	s_xor_b64 exec, exec, s[6:7]
	s_cbranch_execz .LBB303_4
; %bb.3:
	s_load_dwordx2 s[10:11], s[0:1], 0x18
	v_mad_u64_u32 v[6:7], s[12:13], s20, 7, v[2:3]
	v_mov_b32_e32 v7, 0
	s_waitcnt lgkmcnt(0)
	v_lshl_add_u64 v[14:15], v[2:3], 4, s[10:11]
	v_lshl_add_u64 v[16:17], v[6:7], 4, s[10:11]
	global_load_dwordx4 v[10:13], v[14:15], off
	global_load_dwordx4 v[6:9], v[16:17], off
	s_waitcnt vmcnt(1)
	ds_write_b128 v4, v[10:13] offset:16416
.LBB303_4:
	s_or_b64 exec, exec, s[6:7]
	s_waitcnt vmcnt(0)
	ds_write_b128 v4, v[6:9] offset:20512
	s_and_saveexec_b64 s[6:7], s[4:5]
	s_xor_b64 s[4:5], exec, s[6:7]
; %bb.5:
	v_mov_b32_e32 v6, 0
	v_mov_b32_e32 v7, v6
	;; [unrolled: 1-line block ×4, first 2 shown]
	ds_write_b128 v4, v[6:9] offset:8224
; %bb.6:
	s_or_saveexec_b64 s[4:5], s[4:5]
	s_load_dwordx2 s[6:7], s[0:1], 0x10
	v_mov_b64_e32 v[8:9], 0
	v_mov_b64_e32 v[10:11], 0
	;; [unrolled: 1-line block ×3, first 2 shown]
	s_xor_b64 exec, exec, s[4:5]
	s_cbranch_execz .LBB303_8
; %bb.7:
	s_load_dwordx2 s[10:11], s[0:1], 0x20
	v_mad_u64_u32 v[6:7], s[12:13], s20, 7, v[2:3]
	v_mov_b32_e32 v7, 0
	s_waitcnt lgkmcnt(0)
	v_lshl_add_u64 v[18:19], v[2:3], 4, s[10:11]
	v_lshl_add_u64 v[6:7], v[6:7], 4, s[10:11]
	global_load_dwordx4 v[14:17], v[18:19], off
	global_load_dwordx4 v[10:13], v[6:7], off
	s_waitcnt vmcnt(1)
	ds_write_b128 v4, v[14:17] offset:8224
.LBB303_8:
	s_or_b64 exec, exec, s[4:5]
	s_mul_i32 s8, s8, s3
	v_mov_b64_e32 v[6:7], 0
	s_waitcnt vmcnt(0)
	ds_write_b128 v4, v[10:13] offset:12320
	s_and_saveexec_b64 s[4:5], vcc
	s_cbranch_execz .LBB303_10
; %bb.9:
	s_mul_i32 s9, s20, 7
	s_add_i32 s9, s9, s8
	v_add_u32_e32 v6, s9, v2
	v_mov_b32_e32 v7, 0
	s_waitcnt lgkmcnt(0)
	v_lshl_add_u64 v[6:7], v[6:7], 4, s[6:7]
	global_load_dwordx4 v[6:9], v[6:7], off
.LBB303_10:
	s_or_b64 exec, exec, s[4:5]
	s_waitcnt vmcnt(0)
	ds_write_b128 v4, v[6:9] offset:16
	v_mov_b64_e32 v[8:9], 0
	v_add_u32_e32 v2, s8, v2
	v_mov_b64_e32 v[6:7], 0
	s_and_saveexec_b64 s[4:5], vcc
	s_cbranch_execz .LBB303_12
; %bb.11:
	v_ashrrev_i32_e32 v3, 31, v2
	s_waitcnt lgkmcnt(0)
	v_lshl_add_u64 v[6:7], v[2:3], 4, s[6:7]
	global_load_dwordx4 v[6:9], v[6:7], off
.LBB303_12:
	s_or_b64 exec, exec, s[4:5]
	v_cmp_eq_u32_e64 s[4:5], 0, v0
	s_waitcnt vmcnt(0)
	ds_write_b128 v4, v[6:9] offset:4112
	s_waitcnt lgkmcnt(0)
	s_barrier
	s_and_saveexec_b64 s[16:17], s[4:5]
	s_cbranch_execz .LBB303_18
; %bb.13:
	s_load_dword s21, s[0:1], 0x30
	s_load_dwordx2 s[18:19], s[0:1], 0x28
	s_cmp_lt_i32 s2, 1
	s_mov_b64 s[10:11], 0
	s_mov_b64 s[14:15], 0
	s_waitcnt lgkmcnt(0)
	s_mul_i32 s3, s3, s21
	s_mov_b64 s[12:13], 0
	s_cbranch_scc1 .LBB303_15
; %bb.14:
	s_lshl_b32 s0, s3, 1
	s_add_i32 s1, s2, s21
	s_add_i32 s0, s1, s0
	s_add_i32 s0, s0, -1
	s_mov_b32 s1, 0
	s_lshl_b64 s[0:1], s[0:1], 4
	s_add_u32 s0, s18, s0
	s_addc_u32 s1, s19, s1
	s_load_dwordx4 s[12:15], s[0:1], 0x0
.LBB303_15:
	s_add_i32 s0, s21, -1
	s_waitcnt lgkmcnt(0)
	v_mov_b32_e32 v6, s12
	v_mov_b32_e32 v7, s13
	v_mov_b32_e32 v8, s14
	v_mov_b32_e32 v9, s15
	v_mov_b32_e32 v1, 0
	s_cmp_ge_u32 s2, s0
	s_mov_b64 s[8:9], 0
	ds_write_b128 v1, v[6:9]
	s_cbranch_scc1 .LBB303_17
; %bb.16:
	s_lshl_b32 s0, s3, 1
	s_add_i32 s0, s2, s0
	s_add_i32 s0, s0, 1
	s_mov_b32 s1, 0
	s_lshl_b64 s[0:1], s[0:1], 4
	s_add_u32 s0, s18, s0
	s_addc_u32 s1, s19, s1
	s_load_dwordx4 s[8:11], s[0:1], 0x0
.LBB303_17:
	s_lshl_b32 s0, s3, 1
	s_add_i32 s0, s0, s2
	s_mov_b32 s1, 0
	s_lshl_b64 s[2:3], s[0:1], 4
	s_add_u32 s2, s18, s2
	s_addc_u32 s3, s19, s3
	s_add_i32 s0, s0, s21
	s_lshl_b64 s[0:1], s[0:1], 4
	s_add_u32 s0, s18, s0
	s_addc_u32 s1, s19, s1
	global_load_dwordx4 v[6:9], v1, s[2:3]
	global_load_dwordx4 v[10:13], v1, s[0:1]
	s_waitcnt lgkmcnt(0)
	v_mov_b32_e32 v14, s8
	v_mov_b32_e32 v15, s9
	v_mov_b32_e32 v16, s10
	v_mov_b32_e32 v17, s11
	ds_write_b128 v1, v[14:17] offset:8208
	s_waitcnt vmcnt(1)
	ds_write_b128 v1, v[6:9] offset:4112
	s_waitcnt vmcnt(0)
	ds_write_b128 v1, v[10:13] offset:4096
.LBB303_18:
	s_or_b64 exec, exec, s[16:17]
	v_add_u32_e32 v1, 16, v4
	v_add_u32_e32 v3, 0x1010, v4
	s_waitcnt lgkmcnt(0)
	s_barrier
	s_and_saveexec_b64 s[0:1], s[4:5]
	s_cbranch_execz .LBB303_20
; %bb.19:
	v_mov_b32_e32 v34, 0
	ds_read_b128 v[4:7], v34 offset:8208
	ds_read_b128 v[8:11], v34 offset:14352
	;; [unrolled: 1-line block ×5, first 2 shown]
	ds_read_b128 v[24:27], v34
	ds_read_b128 v[28:31], v34 offset:22544
	s_waitcnt lgkmcnt(5)
	v_mul_f64 v[32:33], v[6:7], -v[10:11]
	v_fmac_f64_e32 v[32:33], v[8:9], v[4:5]
	v_mul_f64 v[8:9], v[6:7], v[8:9]
	v_fmac_f64_e32 v[8:9], v[10:11], v[4:5]
	s_waitcnt lgkmcnt(4)
	v_add_f64 v[12:13], v[12:13], -v[32:33]
	s_waitcnt lgkmcnt(0)
	v_mul_f64 v[32:33], v[26:27], -v[30:31]
	v_add_f64 v[14:15], v[14:15], -v[8:9]
	ds_read_b128 v[8:11], v34 offset:18464
	v_fmac_f64_e32 v[32:33], v[28:29], v[24:25]
	v_mul_f64 v[28:29], v[26:27], v[28:29]
	v_fmac_f64_e32 v[28:29], v[30:31], v[24:25]
	v_add_f64 v[12:13], v[12:13], -v[32:33]
	v_add_f64 v[14:15], v[14:15], -v[28:29]
	ds_write_b128 v34, v[12:15] offset:2048
	v_mul_f64 v[12:13], v[6:7], -v[18:19]
	v_fmac_f64_e32 v[12:13], v[16:17], v[4:5]
	v_mul_f64 v[6:7], v[6:7], v[16:17]
	v_fmac_f64_e32 v[6:7], v[18:19], v[4:5]
	v_add_f64 v[4:5], v[20:21], -v[12:13]
	s_waitcnt lgkmcnt(1)
	v_mul_f64 v[12:13], v[26:27], -v[10:11]
	v_fmac_f64_e32 v[12:13], v[8:9], v[24:25]
	v_mul_f64 v[8:9], v[26:27], v[8:9]
	v_add_f64 v[6:7], v[22:23], -v[6:7]
	v_fmac_f64_e32 v[8:9], v[10:11], v[24:25]
	v_add_f64 v[4:5], v[4:5], -v[12:13]
	v_add_f64 v[6:7], v[6:7], -v[8:9]
	ds_write_b128 v34, v[4:7] offset:6160
.LBB303_20:
	s_or_b64 exec, exec, s[0:1]
	v_cmp_gt_u32_e64 s[0:1], 2, v0
	s_waitcnt lgkmcnt(0)
	s_barrier
	s_and_saveexec_b64 s[2:3], s[0:1]
	s_cbranch_execz .LBB303_22
; %bb.21:
	v_lshlrev_b32_e32 v34, 11, v0
	ds_read_b128 v[4:7], v34 offset:6160
	ds_read_b128 v[8:11], v34 offset:13328
	ds_read_b128 v[12:15], v34 offset:1024
	ds_read_b128 v[16:19], v34 offset:9248
	ds_read_b128 v[20:23], v34 offset:5136
	ds_read_b128 v[24:27], v34
	ds_read_b128 v[28:31], v34 offset:21520
	s_waitcnt lgkmcnt(5)
	v_mul_f64 v[32:33], v[6:7], -v[10:11]
	v_fmac_f64_e32 v[32:33], v[8:9], v[4:5]
	v_mul_f64 v[8:9], v[6:7], v[8:9]
	v_fmac_f64_e32 v[8:9], v[10:11], v[4:5]
	s_waitcnt lgkmcnt(4)
	v_add_f64 v[12:13], v[12:13], -v[32:33]
	s_waitcnt lgkmcnt(0)
	v_mul_f64 v[32:33], v[26:27], -v[30:31]
	v_add_f64 v[14:15], v[14:15], -v[8:9]
	ds_read_b128 v[8:11], v34 offset:17440
	v_fmac_f64_e32 v[32:33], v[28:29], v[24:25]
	v_mul_f64 v[28:29], v[26:27], v[28:29]
	v_fmac_f64_e32 v[28:29], v[30:31], v[24:25]
	v_add_f64 v[12:13], v[12:13], -v[32:33]
	v_add_f64 v[14:15], v[14:15], -v[28:29]
	ds_write_b128 v34, v[12:15] offset:1024
	v_mul_f64 v[12:13], v[6:7], -v[18:19]
	v_fmac_f64_e32 v[12:13], v[16:17], v[4:5]
	v_mul_f64 v[6:7], v[6:7], v[16:17]
	v_fmac_f64_e32 v[6:7], v[18:19], v[4:5]
	v_add_f64 v[4:5], v[20:21], -v[12:13]
	s_waitcnt lgkmcnt(1)
	v_mul_f64 v[12:13], v[26:27], -v[10:11]
	v_fmac_f64_e32 v[12:13], v[8:9], v[24:25]
	v_mul_f64 v[8:9], v[26:27], v[8:9]
	v_add_f64 v[6:7], v[22:23], -v[6:7]
	v_fmac_f64_e32 v[8:9], v[10:11], v[24:25]
	v_add_f64 v[4:5], v[4:5], -v[12:13]
	v_add_f64 v[6:7], v[6:7], -v[8:9]
	ds_write_b128 v34, v[4:7] offset:5136
.LBB303_22:
	s_or_b64 exec, exec, s[2:3]
	v_cmp_gt_u32_e64 s[0:1], 4, v0
	s_waitcnt lgkmcnt(0)
	s_barrier
	s_and_saveexec_b64 s[2:3], s[0:1]
	s_cbranch_execz .LBB303_24
; %bb.23:
	v_lshlrev_b32_e32 v34, 10, v0
	ds_read_b128 v[4:7], v34 offset:5136
	ds_read_b128 v[8:11], v34 offset:12816
	ds_read_b128 v[12:15], v34 offset:512
	ds_read_b128 v[16:19], v34 offset:8736
	ds_read_b128 v[20:23], v34 offset:4624
	ds_read_b128 v[24:27], v34
	ds_read_b128 v[28:31], v34 offset:21008
	s_waitcnt lgkmcnt(5)
	v_mul_f64 v[32:33], v[6:7], -v[10:11]
	v_fmac_f64_e32 v[32:33], v[8:9], v[4:5]
	v_mul_f64 v[8:9], v[6:7], v[8:9]
	v_fmac_f64_e32 v[8:9], v[10:11], v[4:5]
	s_waitcnt lgkmcnt(4)
	v_add_f64 v[12:13], v[12:13], -v[32:33]
	s_waitcnt lgkmcnt(0)
	v_mul_f64 v[32:33], v[26:27], -v[30:31]
	v_add_f64 v[14:15], v[14:15], -v[8:9]
	ds_read_b128 v[8:11], v34 offset:16928
	v_fmac_f64_e32 v[32:33], v[28:29], v[24:25]
	v_mul_f64 v[28:29], v[26:27], v[28:29]
	v_fmac_f64_e32 v[28:29], v[30:31], v[24:25]
	v_add_f64 v[12:13], v[12:13], -v[32:33]
	v_add_f64 v[14:15], v[14:15], -v[28:29]
	ds_write_b128 v34, v[12:15] offset:512
	v_mul_f64 v[12:13], v[6:7], -v[18:19]
	v_fmac_f64_e32 v[12:13], v[16:17], v[4:5]
	v_mul_f64 v[6:7], v[6:7], v[16:17]
	v_fmac_f64_e32 v[6:7], v[18:19], v[4:5]
	v_add_f64 v[4:5], v[20:21], -v[12:13]
	s_waitcnt lgkmcnt(1)
	v_mul_f64 v[12:13], v[26:27], -v[10:11]
	v_fmac_f64_e32 v[12:13], v[8:9], v[24:25]
	v_mul_f64 v[8:9], v[26:27], v[8:9]
	v_add_f64 v[6:7], v[22:23], -v[6:7]
	v_fmac_f64_e32 v[8:9], v[10:11], v[24:25]
	v_add_f64 v[4:5], v[4:5], -v[12:13]
	v_add_f64 v[6:7], v[6:7], -v[8:9]
	ds_write_b128 v34, v[4:7] offset:4624
.LBB303_24:
	;; [unrolled: 47-line block ×5, first 2 shown]
	s_or_b64 exec, exec, s[2:3]
	v_cmp_gt_u32_e64 s[0:1], 64, v0
	s_waitcnt lgkmcnt(0)
	s_barrier
	s_and_saveexec_b64 s[2:3], s[0:1]
	s_cbranch_execz .LBB303_32
; %bb.31:
	v_lshlrev_b32_e32 v34, 6, v0
	ds_read_b128 v[4:7], v34 offset:4176
	ds_read_b128 v[8:11], v34 offset:12336
	;; [unrolled: 1-line block ×4, first 2 shown]
	ds_read_b128 v[20:23], v34
	ds_read_b128 v[24:27], v34 offset:32
	ds_read_b128 v[28:31], v34 offset:20528
	s_waitcnt lgkmcnt(5)
	v_mul_f64 v[32:33], v[6:7], -v[10:11]
	v_fmac_f64_e32 v[32:33], v[8:9], v[4:5]
	v_mul_f64 v[8:9], v[6:7], v[8:9]
	v_fmac_f64_e32 v[8:9], v[10:11], v[4:5]
	s_waitcnt lgkmcnt(1)
	v_add_f64 v[24:25], v[24:25], -v[32:33]
	v_add_f64 v[26:27], v[26:27], -v[8:9]
	ds_read_b128 v[8:11], v34 offset:16448
	s_waitcnt lgkmcnt(1)
	v_mul_f64 v[32:33], v[22:23], -v[30:31]
	v_fmac_f64_e32 v[32:33], v[28:29], v[20:21]
	v_mul_f64 v[28:29], v[22:23], v[28:29]
	v_fmac_f64_e32 v[28:29], v[30:31], v[20:21]
	v_add_f64 v[24:25], v[24:25], -v[32:33]
	v_add_f64 v[26:27], v[26:27], -v[28:29]
	ds_write_b128 v34, v[24:27] offset:32
	v_mul_f64 v[24:25], v[6:7], -v[14:15]
	v_fmac_f64_e32 v[24:25], v[12:13], v[4:5]
	v_mul_f64 v[6:7], v[6:7], v[12:13]
	s_waitcnt lgkmcnt(1)
	v_mul_f64 v[12:13], v[22:23], -v[10:11]
	v_fmac_f64_e32 v[6:7], v[14:15], v[4:5]
	v_fmac_f64_e32 v[12:13], v[8:9], v[20:21]
	v_mul_f64 v[8:9], v[22:23], v[8:9]
	v_add_f64 v[4:5], v[16:17], -v[24:25]
	v_add_f64 v[6:7], v[18:19], -v[6:7]
	v_fmac_f64_e32 v[8:9], v[10:11], v[20:21]
	v_add_f64 v[4:5], v[4:5], -v[12:13]
	v_add_f64 v[6:7], v[6:7], -v[8:9]
	ds_write_b128 v34, v[4:7] offset:4144
.LBB303_32:
	s_or_b64 exec, exec, s[2:3]
	s_movk_i32 s0, 0x80
	v_cmp_gt_u32_e64 s[0:1], s0, v0
	s_waitcnt lgkmcnt(0)
	s_barrier
	s_and_saveexec_b64 s[2:3], s[0:1]
	s_cbranch_execz .LBB303_34
; %bb.33:
	v_lshlrev_b32_e32 v0, 5, v0
	ds_read_b128 v[4:7], v0 offset:4144
	ds_read_b128 v[8:11], v0 offset:12320
	;; [unrolled: 1-line block ×4, first 2 shown]
	ds_read_b128 v[20:23], v0
	ds_read_b128 v[24:27], v0 offset:16
	ds_read_b128 v[28:31], v0 offset:20512
	s_waitcnt lgkmcnt(5)
	v_mul_f64 v[32:33], v[6:7], -v[10:11]
	v_fmac_f64_e32 v[32:33], v[8:9], v[4:5]
	v_mul_f64 v[8:9], v[6:7], v[8:9]
	v_fmac_f64_e32 v[8:9], v[10:11], v[4:5]
	s_waitcnt lgkmcnt(1)
	v_add_f64 v[24:25], v[24:25], -v[32:33]
	v_add_f64 v[26:27], v[26:27], -v[8:9]
	ds_read_b128 v[8:11], v0 offset:16432
	s_waitcnt lgkmcnt(1)
	v_mul_f64 v[32:33], v[22:23], -v[30:31]
	v_fmac_f64_e32 v[32:33], v[28:29], v[20:21]
	v_mul_f64 v[28:29], v[22:23], v[28:29]
	v_fmac_f64_e32 v[28:29], v[30:31], v[20:21]
	v_add_f64 v[24:25], v[24:25], -v[32:33]
	v_add_f64 v[26:27], v[26:27], -v[28:29]
	ds_write_b128 v0, v[24:27] offset:16
	v_mul_f64 v[24:25], v[6:7], -v[14:15]
	v_fmac_f64_e32 v[24:25], v[12:13], v[4:5]
	v_mul_f64 v[6:7], v[6:7], v[12:13]
	s_waitcnt lgkmcnt(1)
	v_mul_f64 v[12:13], v[22:23], -v[10:11]
	v_fmac_f64_e32 v[6:7], v[14:15], v[4:5]
	v_fmac_f64_e32 v[12:13], v[8:9], v[20:21]
	v_mul_f64 v[8:9], v[22:23], v[8:9]
	v_add_f64 v[4:5], v[16:17], -v[24:25]
	v_add_f64 v[6:7], v[18:19], -v[6:7]
	v_fmac_f64_e32 v[8:9], v[10:11], v[20:21]
	v_add_f64 v[4:5], v[4:5], -v[12:13]
	v_add_f64 v[6:7], v[6:7], -v[8:9]
	ds_write_b128 v0, v[4:7] offset:4128
.LBB303_34:
	s_or_b64 exec, exec, s[2:3]
	s_waitcnt lgkmcnt(0)
	s_barrier
	s_and_saveexec_b64 s[0:1], vcc
	s_cbranch_execz .LBB303_36
; %bb.35:
	ds_read2_b64 v[4:7], v3 offset1:1
	ds_read2_b64 v[8:11], v1 offset1:1
	v_ashrrev_i32_e32 v3, 31, v2
	v_lshl_add_u64 v[0:1], v[2:3], 4, s[6:7]
	s_waitcnt lgkmcnt(1)
	global_store_dwordx4 v[0:1], v[4:7], off
	v_mad_u64_u32 v[0:1], s[0:1], s20, 7, v[2:3]
	v_mov_b32_e32 v1, 0
	v_lshl_add_u64 v[0:1], v[0:1], 4, s[6:7]
	s_waitcnt lgkmcnt(0)
	global_store_dwordx4 v[0:1], v[8:11], off
.LBB303_36:
	s_endpgm
	.section	.rodata,"a",@progbits
	.p2align	6, 0x0
	.amdhsa_kernel _ZN9rocsparseL33gtsv_solve_spike_propagate_kernelILj256ELj8E21rocsparse_complex_numIdEEEviiiPT1_PKS3_S6_S6_
		.amdhsa_group_segment_fixed_size 24608
		.amdhsa_private_segment_fixed_size 0
		.amdhsa_kernarg_size 304
		.amdhsa_user_sgpr_count 2
		.amdhsa_user_sgpr_dispatch_ptr 0
		.amdhsa_user_sgpr_queue_ptr 0
		.amdhsa_user_sgpr_kernarg_segment_ptr 1
		.amdhsa_user_sgpr_dispatch_id 0
		.amdhsa_user_sgpr_kernarg_preload_length 0
		.amdhsa_user_sgpr_kernarg_preload_offset 0
		.amdhsa_user_sgpr_private_segment_size 0
		.amdhsa_uses_dynamic_stack 0
		.amdhsa_enable_private_segment 0
		.amdhsa_system_sgpr_workgroup_id_x 1
		.amdhsa_system_sgpr_workgroup_id_y 1
		.amdhsa_system_sgpr_workgroup_id_z 0
		.amdhsa_system_sgpr_workgroup_info 0
		.amdhsa_system_vgpr_workitem_id 0
		.amdhsa_next_free_vgpr 73
		.amdhsa_next_free_sgpr 91
		.amdhsa_accum_offset 36
		.amdhsa_reserve_vcc 1
		.amdhsa_float_round_mode_32 0
		.amdhsa_float_round_mode_16_64 0
		.amdhsa_float_denorm_mode_32 3
		.amdhsa_float_denorm_mode_16_64 3
		.amdhsa_dx10_clamp 1
		.amdhsa_ieee_mode 1
		.amdhsa_fp16_overflow 0
		.amdhsa_tg_split 0
		.amdhsa_exception_fp_ieee_invalid_op 0
		.amdhsa_exception_fp_denorm_src 0
		.amdhsa_exception_fp_ieee_div_zero 0
		.amdhsa_exception_fp_ieee_overflow 0
		.amdhsa_exception_fp_ieee_underflow 0
		.amdhsa_exception_fp_ieee_inexact 0
		.amdhsa_exception_int_div_zero 0
	.end_amdhsa_kernel
	.section	.text._ZN9rocsparseL33gtsv_solve_spike_propagate_kernelILj256ELj8E21rocsparse_complex_numIdEEEviiiPT1_PKS3_S6_S6_,"axG",@progbits,_ZN9rocsparseL33gtsv_solve_spike_propagate_kernelILj256ELj8E21rocsparse_complex_numIdEEEviiiPT1_PKS3_S6_S6_,comdat
.Lfunc_end303:
	.size	_ZN9rocsparseL33gtsv_solve_spike_propagate_kernelILj256ELj8E21rocsparse_complex_numIdEEEviiiPT1_PKS3_S6_S6_, .Lfunc_end303-_ZN9rocsparseL33gtsv_solve_spike_propagate_kernelILj256ELj8E21rocsparse_complex_numIdEEEviiiPT1_PKS3_S6_S6_
                                        ; -- End function
	.set _ZN9rocsparseL33gtsv_solve_spike_propagate_kernelILj256ELj8E21rocsparse_complex_numIdEEEviiiPT1_PKS3_S6_S6_.num_vgpr, 35
	.set _ZN9rocsparseL33gtsv_solve_spike_propagate_kernelILj256ELj8E21rocsparse_complex_numIdEEEviiiPT1_PKS3_S6_S6_.num_agpr, 0
	.set _ZN9rocsparseL33gtsv_solve_spike_propagate_kernelILj256ELj8E21rocsparse_complex_numIdEEEviiiPT1_PKS3_S6_S6_.numbered_sgpr, 22
	.set _ZN9rocsparseL33gtsv_solve_spike_propagate_kernelILj256ELj8E21rocsparse_complex_numIdEEEviiiPT1_PKS3_S6_S6_.num_named_barrier, 0
	.set _ZN9rocsparseL33gtsv_solve_spike_propagate_kernelILj256ELj8E21rocsparse_complex_numIdEEEviiiPT1_PKS3_S6_S6_.private_seg_size, 0
	.set _ZN9rocsparseL33gtsv_solve_spike_propagate_kernelILj256ELj8E21rocsparse_complex_numIdEEEviiiPT1_PKS3_S6_S6_.uses_vcc, 1
	.set _ZN9rocsparseL33gtsv_solve_spike_propagate_kernelILj256ELj8E21rocsparse_complex_numIdEEEviiiPT1_PKS3_S6_S6_.uses_flat_scratch, 0
	.set _ZN9rocsparseL33gtsv_solve_spike_propagate_kernelILj256ELj8E21rocsparse_complex_numIdEEEviiiPT1_PKS3_S6_S6_.has_dyn_sized_stack, 0
	.set _ZN9rocsparseL33gtsv_solve_spike_propagate_kernelILj256ELj8E21rocsparse_complex_numIdEEEviiiPT1_PKS3_S6_S6_.has_recursion, 0
	.set _ZN9rocsparseL33gtsv_solve_spike_propagate_kernelILj256ELj8E21rocsparse_complex_numIdEEEviiiPT1_PKS3_S6_S6_.has_indirect_call, 0
	.section	.AMDGPU.csdata,"",@progbits
; Kernel info:
; codeLenInByte = 3164
; TotalNumSgprs: 28
; NumVgprs: 35
; NumAgprs: 0
; TotalNumVgprs: 35
; ScratchSize: 0
; MemoryBound: 0
; FloatMode: 240
; IeeeMode: 1
; LDSByteSize: 24608 bytes/workgroup (compile time only)
; SGPRBlocks: 12
; VGPRBlocks: 9
; NumSGPRsForWavesPerEU: 97
; NumVGPRsForWavesPerEU: 73
; AccumOffset: 36
; Occupancy: 6
; WaveLimiterHint : 0
; COMPUTE_PGM_RSRC2:SCRATCH_EN: 0
; COMPUTE_PGM_RSRC2:USER_SGPR: 2
; COMPUTE_PGM_RSRC2:TRAP_HANDLER: 0
; COMPUTE_PGM_RSRC2:TGID_X_EN: 1
; COMPUTE_PGM_RSRC2:TGID_Y_EN: 1
; COMPUTE_PGM_RSRC2:TGID_Z_EN: 0
; COMPUTE_PGM_RSRC2:TIDIG_COMP_CNT: 0
; COMPUTE_PGM_RSRC3_GFX90A:ACCUM_OFFSET: 8
; COMPUTE_PGM_RSRC3_GFX90A:TG_SPLIT: 0
	.section	.text._ZN9rocsparseL39gtsv_spike_backward_substitution_kernelILj256ELj8E21rocsparse_complex_numIdEEEviiiPT1_PKS3_S6_,"axG",@progbits,_ZN9rocsparseL39gtsv_spike_backward_substitution_kernelILj256ELj8E21rocsparse_complex_numIdEEEviiiPT1_PKS3_S6_,comdat
	.globl	_ZN9rocsparseL39gtsv_spike_backward_substitution_kernelILj256ELj8E21rocsparse_complex_numIdEEEviiiPT1_PKS3_S6_ ; -- Begin function _ZN9rocsparseL39gtsv_spike_backward_substitution_kernelILj256ELj8E21rocsparse_complex_numIdEEEviiiPT1_PKS3_S6_
	.p2align	8
	.type	_ZN9rocsparseL39gtsv_spike_backward_substitution_kernelILj256ELj8E21rocsparse_complex_numIdEEEviiiPT1_PKS3_S6_,@function
_ZN9rocsparseL39gtsv_spike_backward_substitution_kernelILj256ELj8E21rocsparse_complex_numIdEEEviiiPT1_PKS3_S6_: ; @_ZN9rocsparseL39gtsv_spike_backward_substitution_kernelILj256ELj8E21rocsparse_complex_numIdEEEviiiPT1_PKS3_S6_
; %bb.0:
	s_load_dword s6, s[0:1], 0x0
	v_lshl_or_b32 v8, s2, 8, v0
	s_waitcnt lgkmcnt(0)
	s_lshr_b32 s12, s6, 3
	v_cmp_gt_i32_e32 vcc, s12, v8
	s_and_saveexec_b64 s[4:5], vcc
	s_cbranch_execz .LBB304_6
; %bb.1:
	s_load_dwordx2 s[8:9], s[0:1], 0x10
	v_cmp_lt_i32_e32 vcc, 0, v8
	v_mov_b64_e32 v[0:1], 0
	s_mul_i32 s2, s6, s3
	v_mov_b64_e32 v[2:3], 0
	s_and_saveexec_b64 s[4:5], vcc
	s_cbranch_execz .LBB304_3
; %bb.2:
	s_mul_i32 s7, s12, 7
	s_mul_i32 s3, s6, s3
	s_add_i32 s7, s7, s3
	v_add3_u32 v0, v8, s7, -1
	v_mov_b32_e32 v1, 0
	s_waitcnt lgkmcnt(0)
	v_lshl_add_u64 v[0:1], v[0:1], 4, s[8:9]
	global_load_dwordx4 v[0:3], v[0:1], off
.LBB304_3:
	s_or_b64 exec, exec, s[4:5]
	v_add_u32_e32 v4, 8, v8
	v_cmp_le_u32_e32 vcc, s6, v4
	s_and_saveexec_b64 s[4:5], vcc
	s_xor_b64 s[4:5], exec, s[4:5]
	s_or_saveexec_b64 s[10:11], s[4:5]
	s_load_dwordx4 s[4:7], s[0:1], 0x18
	v_mov_b64_e32 v[4:5], 0
	v_mov_b32_e32 v9, s2
	v_mov_b64_e32 v[6:7], 0
	s_xor_b64 exec, exec, s[10:11]
	s_cbranch_execz .LBB304_5
; %bb.4:
	s_ashr_i32 s3, s2, 31
	v_ashrrev_i32_e32 v9, 31, v8
	v_lshl_add_u64 v[4:5], v[8:9], 0, s[2:3]
	s_waitcnt lgkmcnt(0)
	v_lshl_add_u64 v[4:5], v[4:5], 4, s[8:9]
	global_load_dwordx4 v[4:7], v[4:5], off offset:16
	v_mov_b32_e32 v9, s2
.LBB304_5:
	s_or_b64 exec, exec, s[10:11]
	v_add_u32_e32 v22, s12, v8
	v_ashrrev_i32_e32 v23, 31, v22
	v_lshlrev_b64 v[14:15], 4, v[22:23]
	s_waitcnt lgkmcnt(0)
	v_lshl_add_u64 v[10:11], s[4:5], 0, v[14:15]
	v_add_u32_e32 v18, v22, v9
	global_load_dwordx4 v[10:13], v[10:11], off
	v_lshl_add_u64 v[14:15], s[6:7], 0, v[14:15]
	v_ashrrev_i32_e32 v19, 31, v18
	global_load_dwordx4 v[14:17], v[14:15], off
	v_lshl_add_u64 v[30:31], v[18:19], 4, s[8:9]
	global_load_dwordx4 v[18:21], v[30:31], off
	v_add_u32_e32 v32, s12, v22
	v_ashrrev_i32_e32 v33, 31, v32
	v_add_u32_e32 v22, v32, v9
	v_lshlrev_b64 v[24:25], 4, v[32:33]
	v_ashrrev_i32_e32 v23, 31, v22
	v_lshl_add_u64 v[36:37], s[4:5], 0, v[24:25]
	v_lshl_add_u64 v[38:39], s[6:7], 0, v[24:25]
	;; [unrolled: 1-line block ×3, first 2 shown]
	global_load_dwordx4 v[22:25], v[36:37], off
	global_load_dwordx4 v[26:29], v[38:39], off
	s_waitcnt vmcnt(4)
	v_mul_f64 v[36:37], v[2:3], -v[12:13]
	v_mul_f64 v[38:39], v[2:3], v[10:11]
	v_fmac_f64_e32 v[36:37], v[10:11], v[0:1]
	s_waitcnt vmcnt(3)
	v_mul_f64 v[40:41], v[6:7], -v[16:17]
	v_mul_f64 v[42:43], v[6:7], v[14:15]
	v_fmac_f64_e32 v[38:39], v[12:13], v[0:1]
	v_fmac_f64_e32 v[40:41], v[14:15], v[4:5]
	;; [unrolled: 1-line block ×3, first 2 shown]
	s_waitcnt vmcnt(2)
	v_add_f64 v[10:11], v[18:19], -v[36:37]
	v_add_f64 v[12:13], v[20:21], -v[38:39]
	;; [unrolled: 1-line block ×4, first 2 shown]
	global_store_dwordx4 v[30:31], v[10:13], off
	global_load_dwordx4 v[10:13], v[34:35], off
	v_add_u32_e32 v30, s12, v32
	v_ashrrev_i32_e32 v31, 31, v30
	v_add_u32_e32 v14, v30, v9
	v_lshlrev_b64 v[16:17], 4, v[30:31]
	v_ashrrev_i32_e32 v15, 31, v14
	v_lshl_add_u64 v[36:37], s[4:5], 0, v[16:17]
	v_lshl_add_u64 v[38:39], s[6:7], 0, v[16:17]
	;; [unrolled: 1-line block ×3, first 2 shown]
	global_load_dwordx4 v[14:17], v[36:37], off
	global_load_dwordx4 v[18:21], v[38:39], off
	s_waitcnt vmcnt(5)
	v_mul_f64 v[36:37], v[2:3], -v[24:25]
	v_mul_f64 v[38:39], v[2:3], v[22:23]
	s_waitcnt vmcnt(4)
	v_mul_f64 v[40:41], v[6:7], -v[28:29]
	v_mul_f64 v[42:43], v[6:7], v[26:27]
	v_fmac_f64_e32 v[36:37], v[22:23], v[0:1]
	v_fmac_f64_e32 v[38:39], v[24:25], v[0:1]
	;; [unrolled: 1-line block ×4, first 2 shown]
	v_add_u32_e32 v30, s12, v30
	v_ashrrev_i32_e32 v31, 31, v30
	v_add_u32_e32 v22, v30, v9
	v_lshlrev_b64 v[24:25], 4, v[30:31]
	v_ashrrev_i32_e32 v23, 31, v22
	v_add_u32_e32 v30, s12, v30
	v_ashrrev_i32_e32 v31, 31, v30
	v_add_u32_e32 v8, s12, v30
	s_waitcnt vmcnt(2)
	v_add_f64 v[10:11], v[10:11], -v[36:37]
	v_add_f64 v[12:13], v[12:13], -v[38:39]
	;; [unrolled: 1-line block ×4, first 2 shown]
	global_store_dwordx4 v[34:35], v[10:13], off
	global_load_dwordx4 v[10:13], v[32:33], off
	v_lshl_add_u64 v[36:37], s[4:5], 0, v[24:25]
	v_lshl_add_u64 v[38:39], s[6:7], 0, v[24:25]
	;; [unrolled: 1-line block ×3, first 2 shown]
	global_load_dwordx4 v[22:25], v[36:37], off
	global_load_dwordx4 v[26:29], v[38:39], off
	s_waitcnt vmcnt(5)
	v_mul_f64 v[36:37], v[2:3], -v[16:17]
	v_mul_f64 v[38:39], v[2:3], v[14:15]
	s_waitcnt vmcnt(4)
	v_mul_f64 v[40:41], v[6:7], -v[20:21]
	v_mul_f64 v[42:43], v[6:7], v[18:19]
	v_fmac_f64_e32 v[36:37], v[14:15], v[0:1]
	v_fmac_f64_e32 v[38:39], v[16:17], v[0:1]
	;; [unrolled: 1-line block ×4, first 2 shown]
	v_add_u32_e32 v14, v30, v9
	v_lshlrev_b64 v[16:17], 4, v[30:31]
	v_ashrrev_i32_e32 v15, 31, v14
	s_waitcnt vmcnt(2)
	v_add_f64 v[10:11], v[10:11], -v[36:37]
	v_add_f64 v[12:13], v[12:13], -v[38:39]
	;; [unrolled: 1-line block ×4, first 2 shown]
	global_store_dwordx4 v[32:33], v[10:13], off
	global_load_dwordx4 v[10:13], v[34:35], off
	v_lshl_add_u64 v[36:37], s[4:5], 0, v[16:17]
	v_lshl_add_u64 v[38:39], s[6:7], 0, v[16:17]
	;; [unrolled: 1-line block ×3, first 2 shown]
	global_load_dwordx4 v[14:17], v[36:37], off
	global_load_dwordx4 v[18:21], v[38:39], off
	s_waitcnt vmcnt(5)
	v_mul_f64 v[36:37], v[2:3], -v[24:25]
	v_mul_f64 v[38:39], v[2:3], v[22:23]
	s_waitcnt vmcnt(4)
	v_mul_f64 v[40:41], v[6:7], -v[28:29]
	v_mul_f64 v[42:43], v[6:7], v[26:27]
	v_fmac_f64_e32 v[36:37], v[22:23], v[0:1]
	v_fmac_f64_e32 v[38:39], v[24:25], v[0:1]
	v_fmac_f64_e32 v[40:41], v[26:27], v[4:5]
	v_fmac_f64_e32 v[42:43], v[28:29], v[4:5]
	v_add_u32_e32 v22, v8, v9
	v_ashrrev_i32_e32 v9, 31, v8
	v_lshlrev_b64 v[8:9], 4, v[8:9]
	v_ashrrev_i32_e32 v23, 31, v22
	v_lshl_add_u64 v[30:31], v[22:23], 4, s[8:9]
	s_waitcnt vmcnt(2)
	v_add_f64 v[10:11], v[10:11], -v[36:37]
	v_add_f64 v[12:13], v[12:13], -v[38:39]
	;; [unrolled: 1-line block ×4, first 2 shown]
	global_store_dwordx4 v[34:35], v[10:13], off
	global_load_dwordx4 v[10:13], v[32:33], off
	v_lshl_add_u64 v[34:35], s[4:5], 0, v[8:9]
	v_lshl_add_u64 v[8:9], s[6:7], 0, v[8:9]
	global_load_dwordx4 v[22:25], v[34:35], off
	global_load_dwordx4 v[26:29], v[8:9], off
	s_waitcnt vmcnt(5)
	v_mul_f64 v[8:9], v[2:3], -v[16:17]
	v_mul_f64 v[34:35], v[2:3], v[14:15]
	s_waitcnt vmcnt(4)
	v_mul_f64 v[36:37], v[6:7], -v[20:21]
	v_mul_f64 v[38:39], v[6:7], v[18:19]
	v_fmac_f64_e32 v[8:9], v[14:15], v[0:1]
	v_fmac_f64_e32 v[34:35], v[16:17], v[0:1]
	;; [unrolled: 1-line block ×4, first 2 shown]
	s_waitcnt vmcnt(2)
	v_add_f64 v[8:9], v[10:11], -v[8:9]
	v_add_f64 v[10:11], v[12:13], -v[34:35]
	;; [unrolled: 1-line block ×4, first 2 shown]
	global_store_dwordx4 v[32:33], v[8:11], off
	global_load_dwordx4 v[8:11], v[30:31], off
	s_waitcnt vmcnt(3)
	v_mul_f64 v[12:13], v[2:3], -v[24:25]
	v_mul_f64 v[2:3], v[2:3], v[22:23]
	s_waitcnt vmcnt(2)
	v_mul_f64 v[14:15], v[6:7], -v[28:29]
	v_mul_f64 v[6:7], v[6:7], v[26:27]
	v_fmac_f64_e32 v[12:13], v[22:23], v[0:1]
	v_fmac_f64_e32 v[2:3], v[24:25], v[0:1]
	;; [unrolled: 1-line block ×4, first 2 shown]
	s_waitcnt vmcnt(0)
	v_add_f64 v[0:1], v[8:9], -v[12:13]
	v_add_f64 v[2:3], v[10:11], -v[2:3]
	v_add_f64 v[0:1], v[0:1], -v[14:15]
	v_add_f64 v[2:3], v[2:3], -v[6:7]
	global_store_dwordx4 v[30:31], v[0:3], off
.LBB304_6:
	s_endpgm
	.section	.rodata,"a",@progbits
	.p2align	6, 0x0
	.amdhsa_kernel _ZN9rocsparseL39gtsv_spike_backward_substitution_kernelILj256ELj8E21rocsparse_complex_numIdEEEviiiPT1_PKS3_S6_
		.amdhsa_group_segment_fixed_size 0
		.amdhsa_private_segment_fixed_size 0
		.amdhsa_kernarg_size 40
		.amdhsa_user_sgpr_count 2
		.amdhsa_user_sgpr_dispatch_ptr 0
		.amdhsa_user_sgpr_queue_ptr 0
		.amdhsa_user_sgpr_kernarg_segment_ptr 1
		.amdhsa_user_sgpr_dispatch_id 0
		.amdhsa_user_sgpr_kernarg_preload_length 0
		.amdhsa_user_sgpr_kernarg_preload_offset 0
		.amdhsa_user_sgpr_private_segment_size 0
		.amdhsa_uses_dynamic_stack 0
		.amdhsa_enable_private_segment 0
		.amdhsa_system_sgpr_workgroup_id_x 1
		.amdhsa_system_sgpr_workgroup_id_y 1
		.amdhsa_system_sgpr_workgroup_id_z 0
		.amdhsa_system_sgpr_workgroup_info 0
		.amdhsa_system_vgpr_workitem_id 0
		.amdhsa_next_free_vgpr 44
		.amdhsa_next_free_sgpr 13
		.amdhsa_accum_offset 44
		.amdhsa_reserve_vcc 1
		.amdhsa_float_round_mode_32 0
		.amdhsa_float_round_mode_16_64 0
		.amdhsa_float_denorm_mode_32 3
		.amdhsa_float_denorm_mode_16_64 3
		.amdhsa_dx10_clamp 1
		.amdhsa_ieee_mode 1
		.amdhsa_fp16_overflow 0
		.amdhsa_tg_split 0
		.amdhsa_exception_fp_ieee_invalid_op 0
		.amdhsa_exception_fp_denorm_src 0
		.amdhsa_exception_fp_ieee_div_zero 0
		.amdhsa_exception_fp_ieee_overflow 0
		.amdhsa_exception_fp_ieee_underflow 0
		.amdhsa_exception_fp_ieee_inexact 0
		.amdhsa_exception_int_div_zero 0
	.end_amdhsa_kernel
	.section	.text._ZN9rocsparseL39gtsv_spike_backward_substitution_kernelILj256ELj8E21rocsparse_complex_numIdEEEviiiPT1_PKS3_S6_,"axG",@progbits,_ZN9rocsparseL39gtsv_spike_backward_substitution_kernelILj256ELj8E21rocsparse_complex_numIdEEEviiiPT1_PKS3_S6_,comdat
.Lfunc_end304:
	.size	_ZN9rocsparseL39gtsv_spike_backward_substitution_kernelILj256ELj8E21rocsparse_complex_numIdEEEviiiPT1_PKS3_S6_, .Lfunc_end304-_ZN9rocsparseL39gtsv_spike_backward_substitution_kernelILj256ELj8E21rocsparse_complex_numIdEEEviiiPT1_PKS3_S6_
                                        ; -- End function
	.set _ZN9rocsparseL39gtsv_spike_backward_substitution_kernelILj256ELj8E21rocsparse_complex_numIdEEEviiiPT1_PKS3_S6_.num_vgpr, 44
	.set _ZN9rocsparseL39gtsv_spike_backward_substitution_kernelILj256ELj8E21rocsparse_complex_numIdEEEviiiPT1_PKS3_S6_.num_agpr, 0
	.set _ZN9rocsparseL39gtsv_spike_backward_substitution_kernelILj256ELj8E21rocsparse_complex_numIdEEEviiiPT1_PKS3_S6_.numbered_sgpr, 13
	.set _ZN9rocsparseL39gtsv_spike_backward_substitution_kernelILj256ELj8E21rocsparse_complex_numIdEEEviiiPT1_PKS3_S6_.num_named_barrier, 0
	.set _ZN9rocsparseL39gtsv_spike_backward_substitution_kernelILj256ELj8E21rocsparse_complex_numIdEEEviiiPT1_PKS3_S6_.private_seg_size, 0
	.set _ZN9rocsparseL39gtsv_spike_backward_substitution_kernelILj256ELj8E21rocsparse_complex_numIdEEEviiiPT1_PKS3_S6_.uses_vcc, 1
	.set _ZN9rocsparseL39gtsv_spike_backward_substitution_kernelILj256ELj8E21rocsparse_complex_numIdEEEviiiPT1_PKS3_S6_.uses_flat_scratch, 0
	.set _ZN9rocsparseL39gtsv_spike_backward_substitution_kernelILj256ELj8E21rocsparse_complex_numIdEEEviiiPT1_PKS3_S6_.has_dyn_sized_stack, 0
	.set _ZN9rocsparseL39gtsv_spike_backward_substitution_kernelILj256ELj8E21rocsparse_complex_numIdEEEviiiPT1_PKS3_S6_.has_recursion, 0
	.set _ZN9rocsparseL39gtsv_spike_backward_substitution_kernelILj256ELj8E21rocsparse_complex_numIdEEEviiiPT1_PKS3_S6_.has_indirect_call, 0
	.section	.AMDGPU.csdata,"",@progbits
; Kernel info:
; codeLenInByte = 1248
; TotalNumSgprs: 19
; NumVgprs: 44
; NumAgprs: 0
; TotalNumVgprs: 44
; ScratchSize: 0
; MemoryBound: 0
; FloatMode: 240
; IeeeMode: 1
; LDSByteSize: 0 bytes/workgroup (compile time only)
; SGPRBlocks: 2
; VGPRBlocks: 5
; NumSGPRsForWavesPerEU: 19
; NumVGPRsForWavesPerEU: 44
; AccumOffset: 44
; Occupancy: 8
; WaveLimiterHint : 0
; COMPUTE_PGM_RSRC2:SCRATCH_EN: 0
; COMPUTE_PGM_RSRC2:USER_SGPR: 2
; COMPUTE_PGM_RSRC2:TRAP_HANDLER: 0
; COMPUTE_PGM_RSRC2:TGID_X_EN: 1
; COMPUTE_PGM_RSRC2:TGID_Y_EN: 1
; COMPUTE_PGM_RSRC2:TGID_Z_EN: 0
; COMPUTE_PGM_RSRC2:TIDIG_COMP_CNT: 0
; COMPUTE_PGM_RSRC3_GFX90A:ACCUM_OFFSET: 10
; COMPUTE_PGM_RSRC3_GFX90A:TG_SPLIT: 0
	.section	.text._ZN9rocsparseL32gtsv_transpose_back_array_kernelILj256ELj8E21rocsparse_complex_numIdEEEviiiPKT1_PS3_,"axG",@progbits,_ZN9rocsparseL32gtsv_transpose_back_array_kernelILj256ELj8E21rocsparse_complex_numIdEEEviiiPKT1_PS3_,comdat
	.globl	_ZN9rocsparseL32gtsv_transpose_back_array_kernelILj256ELj8E21rocsparse_complex_numIdEEEviiiPKT1_PS3_ ; -- Begin function _ZN9rocsparseL32gtsv_transpose_back_array_kernelILj256ELj8E21rocsparse_complex_numIdEEEviiiPKT1_PS3_
	.p2align	8
	.type	_ZN9rocsparseL32gtsv_transpose_back_array_kernelILj256ELj8E21rocsparse_complex_numIdEEEviiiPKT1_PS3_,@function
_ZN9rocsparseL32gtsv_transpose_back_array_kernelILj256ELj8E21rocsparse_complex_numIdEEEviiiPKT1_PS3_: ; @_ZN9rocsparseL32gtsv_transpose_back_array_kernelILj256ELj8E21rocsparse_complex_numIdEEEviiiPKT1_PS3_
; %bb.0:
	s_load_dwordx4 s[4:7], s[0:1], 0x0
	v_lshl_or_b32 v0, s2, 8, v0
	v_lshlrev_b32_e32 v2, 3, v0
	s_waitcnt lgkmcnt(0)
	v_cvt_f32_u32_e32 v1, s5
	s_sub_i32 s2, 0, s5
	v_rcp_iflag_f32_e32 v1, v1
	s_nop 0
	v_mul_f32_e32 v1, 0x4f7ffffe, v1
	v_cvt_u32_f32_e32 v1, v1
	v_mul_lo_u32 v3, s2, v1
	v_mul_hi_u32 v3, v1, v3
	v_add_u32_e32 v1, v1, v3
	v_mul_hi_u32 v1, v2, v1
	v_mul_lo_u32 v3, v1, s5
	v_sub_u32_e32 v3, v2, v3
	v_add_u32_e32 v4, 1, v1
	v_cmp_le_u32_e32 vcc, s5, v3
	s_nop 1
	v_cndmask_b32_e32 v1, v1, v4, vcc
	v_subrev_u32_e32 v4, s5, v3
	v_cndmask_b32_e32 v3, v3, v4, vcc
	v_add_u32_e32 v4, 1, v1
	v_cmp_le_u32_e32 vcc, s5, v3
	s_nop 1
	v_cndmask_b32_e32 v1, v1, v4, vcc
	v_mul_lo_u32 v3, v1, s5
	v_sub_u32_e32 v2, v2, v3
	v_add_u32_e32 v1, v1, v2
	v_cmp_gt_i32_e32 vcc, s4, v1
	s_and_saveexec_b64 s[8:9], vcc
	s_cbranch_execz .LBB305_2
; %bb.1:
	s_load_dwordx4 s[8:11], s[0:1], 0x10
	s_mul_i32 s0, s5, s3
	v_add_u32_e32 v2, s0, v0
	v_ashrrev_i32_e32 v3, 31, v2
	s_mul_i32 s0, s6, s3
	s_waitcnt lgkmcnt(0)
	v_lshl_add_u64 v[2:3], v[2:3], 4, s[8:9]
	global_load_dwordx4 v[2:5], v[2:3], off
	v_add_u32_e32 v0, s0, v1
	v_ashrrev_i32_e32 v1, 31, v0
	v_lshl_add_u64 v[0:1], v[0:1], 4, s[10:11]
	s_waitcnt vmcnt(0)
	global_store_dwordx4 v[0:1], v[2:5], off
.LBB305_2:
	s_endpgm
	.section	.rodata,"a",@progbits
	.p2align	6, 0x0
	.amdhsa_kernel _ZN9rocsparseL32gtsv_transpose_back_array_kernelILj256ELj8E21rocsparse_complex_numIdEEEviiiPKT1_PS3_
		.amdhsa_group_segment_fixed_size 0
		.amdhsa_private_segment_fixed_size 0
		.amdhsa_kernarg_size 32
		.amdhsa_user_sgpr_count 2
		.amdhsa_user_sgpr_dispatch_ptr 0
		.amdhsa_user_sgpr_queue_ptr 0
		.amdhsa_user_sgpr_kernarg_segment_ptr 1
		.amdhsa_user_sgpr_dispatch_id 0
		.amdhsa_user_sgpr_kernarg_preload_length 0
		.amdhsa_user_sgpr_kernarg_preload_offset 0
		.amdhsa_user_sgpr_private_segment_size 0
		.amdhsa_uses_dynamic_stack 0
		.amdhsa_enable_private_segment 0
		.amdhsa_system_sgpr_workgroup_id_x 1
		.amdhsa_system_sgpr_workgroup_id_y 1
		.amdhsa_system_sgpr_workgroup_id_z 0
		.amdhsa_system_sgpr_workgroup_info 0
		.amdhsa_system_vgpr_workitem_id 0
		.amdhsa_next_free_vgpr 6
		.amdhsa_next_free_sgpr 12
		.amdhsa_accum_offset 8
		.amdhsa_reserve_vcc 1
		.amdhsa_float_round_mode_32 0
		.amdhsa_float_round_mode_16_64 0
		.amdhsa_float_denorm_mode_32 3
		.amdhsa_float_denorm_mode_16_64 3
		.amdhsa_dx10_clamp 1
		.amdhsa_ieee_mode 1
		.amdhsa_fp16_overflow 0
		.amdhsa_tg_split 0
		.amdhsa_exception_fp_ieee_invalid_op 0
		.amdhsa_exception_fp_denorm_src 0
		.amdhsa_exception_fp_ieee_div_zero 0
		.amdhsa_exception_fp_ieee_overflow 0
		.amdhsa_exception_fp_ieee_underflow 0
		.amdhsa_exception_fp_ieee_inexact 0
		.amdhsa_exception_int_div_zero 0
	.end_amdhsa_kernel
	.section	.text._ZN9rocsparseL32gtsv_transpose_back_array_kernelILj256ELj8E21rocsparse_complex_numIdEEEviiiPKT1_PS3_,"axG",@progbits,_ZN9rocsparseL32gtsv_transpose_back_array_kernelILj256ELj8E21rocsparse_complex_numIdEEEviiiPKT1_PS3_,comdat
.Lfunc_end305:
	.size	_ZN9rocsparseL32gtsv_transpose_back_array_kernelILj256ELj8E21rocsparse_complex_numIdEEEviiiPKT1_PS3_, .Lfunc_end305-_ZN9rocsparseL32gtsv_transpose_back_array_kernelILj256ELj8E21rocsparse_complex_numIdEEEviiiPKT1_PS3_
                                        ; -- End function
	.set _ZN9rocsparseL32gtsv_transpose_back_array_kernelILj256ELj8E21rocsparse_complex_numIdEEEviiiPKT1_PS3_.num_vgpr, 6
	.set _ZN9rocsparseL32gtsv_transpose_back_array_kernelILj256ELj8E21rocsparse_complex_numIdEEEviiiPKT1_PS3_.num_agpr, 0
	.set _ZN9rocsparseL32gtsv_transpose_back_array_kernelILj256ELj8E21rocsparse_complex_numIdEEEviiiPKT1_PS3_.numbered_sgpr, 12
	.set _ZN9rocsparseL32gtsv_transpose_back_array_kernelILj256ELj8E21rocsparse_complex_numIdEEEviiiPKT1_PS3_.num_named_barrier, 0
	.set _ZN9rocsparseL32gtsv_transpose_back_array_kernelILj256ELj8E21rocsparse_complex_numIdEEEviiiPKT1_PS3_.private_seg_size, 0
	.set _ZN9rocsparseL32gtsv_transpose_back_array_kernelILj256ELj8E21rocsparse_complex_numIdEEEviiiPKT1_PS3_.uses_vcc, 1
	.set _ZN9rocsparseL32gtsv_transpose_back_array_kernelILj256ELj8E21rocsparse_complex_numIdEEEviiiPKT1_PS3_.uses_flat_scratch, 0
	.set _ZN9rocsparseL32gtsv_transpose_back_array_kernelILj256ELj8E21rocsparse_complex_numIdEEEviiiPKT1_PS3_.has_dyn_sized_stack, 0
	.set _ZN9rocsparseL32gtsv_transpose_back_array_kernelILj256ELj8E21rocsparse_complex_numIdEEEviiiPKT1_PS3_.has_recursion, 0
	.set _ZN9rocsparseL32gtsv_transpose_back_array_kernelILj256ELj8E21rocsparse_complex_numIdEEEviiiPKT1_PS3_.has_indirect_call, 0
	.section	.AMDGPU.csdata,"",@progbits
; Kernel info:
; codeLenInByte = 236
; TotalNumSgprs: 18
; NumVgprs: 6
; NumAgprs: 0
; TotalNumVgprs: 6
; ScratchSize: 0
; MemoryBound: 0
; FloatMode: 240
; IeeeMode: 1
; LDSByteSize: 0 bytes/workgroup (compile time only)
; SGPRBlocks: 2
; VGPRBlocks: 0
; NumSGPRsForWavesPerEU: 18
; NumVGPRsForWavesPerEU: 6
; AccumOffset: 8
; Occupancy: 8
; WaveLimiterHint : 0
; COMPUTE_PGM_RSRC2:SCRATCH_EN: 0
; COMPUTE_PGM_RSRC2:USER_SGPR: 2
; COMPUTE_PGM_RSRC2:TRAP_HANDLER: 0
; COMPUTE_PGM_RSRC2:TGID_X_EN: 1
; COMPUTE_PGM_RSRC2:TGID_Y_EN: 1
; COMPUTE_PGM_RSRC2:TGID_Z_EN: 0
; COMPUTE_PGM_RSRC2:TIDIG_COMP_CNT: 0
; COMPUTE_PGM_RSRC3_GFX90A:ACCUM_OFFSET: 1
; COMPUTE_PGM_RSRC3_GFX90A:TG_SPLIT: 0
	.section	.text._ZN9rocsparseL42gtsv_transpose_and_pad_array_shared_kernelILj256ELj16E21rocsparse_complex_numIdEEEviiiPKT1_PS3_S3_,"axG",@progbits,_ZN9rocsparseL42gtsv_transpose_and_pad_array_shared_kernelILj256ELj16E21rocsparse_complex_numIdEEEviiiPKT1_PS3_S3_,comdat
	.globl	_ZN9rocsparseL42gtsv_transpose_and_pad_array_shared_kernelILj256ELj16E21rocsparse_complex_numIdEEEviiiPKT1_PS3_S3_ ; -- Begin function _ZN9rocsparseL42gtsv_transpose_and_pad_array_shared_kernelILj256ELj16E21rocsparse_complex_numIdEEEviiiPKT1_PS3_S3_
	.p2align	8
	.type	_ZN9rocsparseL42gtsv_transpose_and_pad_array_shared_kernelILj256ELj16E21rocsparse_complex_numIdEEEviiiPKT1_PS3_S3_,@function
_ZN9rocsparseL42gtsv_transpose_and_pad_array_shared_kernelILj256ELj16E21rocsparse_complex_numIdEEEviiiPKT1_PS3_S3_: ; @_ZN9rocsparseL42gtsv_transpose_and_pad_array_shared_kernelILj256ELj16E21rocsparse_complex_numIdEEEviiiPKT1_PS3_S3_
; %bb.0:
	s_load_dwordx4 s[4:7], s[0:1], 0x0
	v_lshl_or_b32 v2, s2, 8, v0
	v_lshlrev_b32_e32 v1, 4, v0
	s_waitcnt lgkmcnt(0)
	v_cmp_le_i32_e32 vcc, s4, v2
	s_and_saveexec_b64 s[8:9], vcc
	s_xor_b64 s[8:9], exec, s[8:9]
	s_cbranch_execz .LBB306_2
; %bb.1:
	s_load_dwordx4 s[12:15], s[0:1], 0x20
	s_waitcnt lgkmcnt(0)
	v_mov_b64_e32 v[2:3], s[12:13]
	v_mov_b64_e32 v[4:5], s[14:15]
	ds_write_b128 v1, v[2:5]
                                        ; implicit-def: $vgpr2
                                        ; implicit-def: $vgpr1
.LBB306_2:
	s_andn2_saveexec_b64 s[8:9], s[8:9]
	s_cbranch_execz .LBB306_4
; %bb.3:
	s_load_dwordx2 s[10:11], s[0:1], 0x10
	s_mul_i32 s4, s6, s3
	v_add_u32_e32 v2, s4, v2
	v_ashrrev_i32_e32 v3, 31, v2
	s_waitcnt lgkmcnt(0)
	v_lshl_add_u64 v[2:3], v[2:3], 4, s[10:11]
	global_load_dwordx4 v[2:5], v[2:3], off
	s_waitcnt vmcnt(0)
	ds_write2_b64 v1, v[2:3], v[4:5] offset1:1
.LBB306_4:
	s_or_b64 exec, exec, s[8:9]
	v_and_b32_e32 v3, 15, v0
	v_lshrrev_b32_e32 v2, 4, v0
	s_lshr_b32 s4, s5, 4
	v_lshl_or_b32 v0, s2, 4, v3
	v_mad_u64_u32 v[0:1], s[6:7], s4, v2, v[0:1]
	v_cmp_gt_i32_e32 vcc, s5, v0
	s_waitcnt lgkmcnt(0)
	s_barrier
	s_and_saveexec_b64 s[6:7], vcc
	s_cbranch_execz .LBB306_6
; %bb.5:
	v_lshlrev_b32_e32 v1, 4, v2
	s_load_dwordx2 s[0:1], s[0:1], 0x18
	v_lshl_or_b32 v1, v3, 8, v1
	ds_read2_b64 v[2:5], v1 offset1:1
	s_mul_i32 s2, s5, s3
	v_add_u32_e32 v0, s2, v0
	v_ashrrev_i32_e32 v1, 31, v0
	s_waitcnt lgkmcnt(0)
	v_lshl_add_u64 v[0:1], v[0:1], 4, s[0:1]
	global_store_dwordx4 v[0:1], v[2:5], off
.LBB306_6:
	s_endpgm
	.section	.rodata,"a",@progbits
	.p2align	6, 0x0
	.amdhsa_kernel _ZN9rocsparseL42gtsv_transpose_and_pad_array_shared_kernelILj256ELj16E21rocsparse_complex_numIdEEEviiiPKT1_PS3_S3_
		.amdhsa_group_segment_fixed_size 4096
		.amdhsa_private_segment_fixed_size 0
		.amdhsa_kernarg_size 48
		.amdhsa_user_sgpr_count 2
		.amdhsa_user_sgpr_dispatch_ptr 0
		.amdhsa_user_sgpr_queue_ptr 0
		.amdhsa_user_sgpr_kernarg_segment_ptr 1
		.amdhsa_user_sgpr_dispatch_id 0
		.amdhsa_user_sgpr_kernarg_preload_length 0
		.amdhsa_user_sgpr_kernarg_preload_offset 0
		.amdhsa_user_sgpr_private_segment_size 0
		.amdhsa_uses_dynamic_stack 0
		.amdhsa_enable_private_segment 0
		.amdhsa_system_sgpr_workgroup_id_x 1
		.amdhsa_system_sgpr_workgroup_id_y 1
		.amdhsa_system_sgpr_workgroup_id_z 0
		.amdhsa_system_sgpr_workgroup_info 0
		.amdhsa_system_vgpr_workitem_id 0
		.amdhsa_next_free_vgpr 6
		.amdhsa_next_free_sgpr 16
		.amdhsa_accum_offset 8
		.amdhsa_reserve_vcc 1
		.amdhsa_float_round_mode_32 0
		.amdhsa_float_round_mode_16_64 0
		.amdhsa_float_denorm_mode_32 3
		.amdhsa_float_denorm_mode_16_64 3
		.amdhsa_dx10_clamp 1
		.amdhsa_ieee_mode 1
		.amdhsa_fp16_overflow 0
		.amdhsa_tg_split 0
		.amdhsa_exception_fp_ieee_invalid_op 0
		.amdhsa_exception_fp_denorm_src 0
		.amdhsa_exception_fp_ieee_div_zero 0
		.amdhsa_exception_fp_ieee_overflow 0
		.amdhsa_exception_fp_ieee_underflow 0
		.amdhsa_exception_fp_ieee_inexact 0
		.amdhsa_exception_int_div_zero 0
	.end_amdhsa_kernel
	.section	.text._ZN9rocsparseL42gtsv_transpose_and_pad_array_shared_kernelILj256ELj16E21rocsparse_complex_numIdEEEviiiPKT1_PS3_S3_,"axG",@progbits,_ZN9rocsparseL42gtsv_transpose_and_pad_array_shared_kernelILj256ELj16E21rocsparse_complex_numIdEEEviiiPKT1_PS3_S3_,comdat
.Lfunc_end306:
	.size	_ZN9rocsparseL42gtsv_transpose_and_pad_array_shared_kernelILj256ELj16E21rocsparse_complex_numIdEEEviiiPKT1_PS3_S3_, .Lfunc_end306-_ZN9rocsparseL42gtsv_transpose_and_pad_array_shared_kernelILj256ELj16E21rocsparse_complex_numIdEEEviiiPKT1_PS3_S3_
                                        ; -- End function
	.set _ZN9rocsparseL42gtsv_transpose_and_pad_array_shared_kernelILj256ELj16E21rocsparse_complex_numIdEEEviiiPKT1_PS3_S3_.num_vgpr, 6
	.set _ZN9rocsparseL42gtsv_transpose_and_pad_array_shared_kernelILj256ELj16E21rocsparse_complex_numIdEEEviiiPKT1_PS3_S3_.num_agpr, 0
	.set _ZN9rocsparseL42gtsv_transpose_and_pad_array_shared_kernelILj256ELj16E21rocsparse_complex_numIdEEEviiiPKT1_PS3_S3_.numbered_sgpr, 16
	.set _ZN9rocsparseL42gtsv_transpose_and_pad_array_shared_kernelILj256ELj16E21rocsparse_complex_numIdEEEviiiPKT1_PS3_S3_.num_named_barrier, 0
	.set _ZN9rocsparseL42gtsv_transpose_and_pad_array_shared_kernelILj256ELj16E21rocsparse_complex_numIdEEEviiiPKT1_PS3_S3_.private_seg_size, 0
	.set _ZN9rocsparseL42gtsv_transpose_and_pad_array_shared_kernelILj256ELj16E21rocsparse_complex_numIdEEEviiiPKT1_PS3_S3_.uses_vcc, 1
	.set _ZN9rocsparseL42gtsv_transpose_and_pad_array_shared_kernelILj256ELj16E21rocsparse_complex_numIdEEEviiiPKT1_PS3_S3_.uses_flat_scratch, 0
	.set _ZN9rocsparseL42gtsv_transpose_and_pad_array_shared_kernelILj256ELj16E21rocsparse_complex_numIdEEEviiiPKT1_PS3_S3_.has_dyn_sized_stack, 0
	.set _ZN9rocsparseL42gtsv_transpose_and_pad_array_shared_kernelILj256ELj16E21rocsparse_complex_numIdEEEviiiPKT1_PS3_S3_.has_recursion, 0
	.set _ZN9rocsparseL42gtsv_transpose_and_pad_array_shared_kernelILj256ELj16E21rocsparse_complex_numIdEEEviiiPKT1_PS3_S3_.has_indirect_call, 0
	.section	.AMDGPU.csdata,"",@progbits
; Kernel info:
; codeLenInByte = 244
; TotalNumSgprs: 22
; NumVgprs: 6
; NumAgprs: 0
; TotalNumVgprs: 6
; ScratchSize: 0
; MemoryBound: 0
; FloatMode: 240
; IeeeMode: 1
; LDSByteSize: 4096 bytes/workgroup (compile time only)
; SGPRBlocks: 2
; VGPRBlocks: 0
; NumSGPRsForWavesPerEU: 22
; NumVGPRsForWavesPerEU: 6
; AccumOffset: 8
; Occupancy: 8
; WaveLimiterHint : 0
; COMPUTE_PGM_RSRC2:SCRATCH_EN: 0
; COMPUTE_PGM_RSRC2:USER_SGPR: 2
; COMPUTE_PGM_RSRC2:TRAP_HANDLER: 0
; COMPUTE_PGM_RSRC2:TGID_X_EN: 1
; COMPUTE_PGM_RSRC2:TGID_Y_EN: 1
; COMPUTE_PGM_RSRC2:TGID_Z_EN: 0
; COMPUTE_PGM_RSRC2:TIDIG_COMP_CNT: 0
; COMPUTE_PGM_RSRC3_GFX90A:ACCUM_OFFSET: 1
; COMPUTE_PGM_RSRC3_GFX90A:TG_SPLIT: 0
	.section	.text._ZN9rocsparseL18gtsv_LBM_wv_kernelILj256ELj16E21rocsparse_complex_numIdEEEviiiPKT1_S5_S5_PS3_S6_S6_Pi,"axG",@progbits,_ZN9rocsparseL18gtsv_LBM_wv_kernelILj256ELj16E21rocsparse_complex_numIdEEEviiiPKT1_S5_S5_PS3_S6_S6_Pi,comdat
	.globl	_ZN9rocsparseL18gtsv_LBM_wv_kernelILj256ELj16E21rocsparse_complex_numIdEEEviiiPKT1_S5_S5_PS3_S6_S6_Pi ; -- Begin function _ZN9rocsparseL18gtsv_LBM_wv_kernelILj256ELj16E21rocsparse_complex_numIdEEEviiiPKT1_S5_S5_PS3_S6_S6_Pi
	.p2align	8
	.type	_ZN9rocsparseL18gtsv_LBM_wv_kernelILj256ELj16E21rocsparse_complex_numIdEEEviiiPKT1_S5_S5_PS3_S6_S6_Pi,@function
_ZN9rocsparseL18gtsv_LBM_wv_kernelILj256ELj16E21rocsparse_complex_numIdEEEviiiPKT1_S5_S5_PS3_S6_S6_Pi: ; @_ZN9rocsparseL18gtsv_LBM_wv_kernelILj256ELj16E21rocsparse_complex_numIdEEEviiiPKT1_S5_S5_PS3_S6_S6_Pi
; %bb.0:
	s_load_dword s29, s[0:1], 0x0
	v_lshl_or_b32 v40, s2, 8, v0
	s_waitcnt lgkmcnt(0)
	s_lshr_b32 s28, s29, 4
	v_cmp_gt_i32_e32 vcc, s28, v40
	s_and_saveexec_b64 s[2:3], vcc
	s_cbranch_execz .LBB307_72
; %bb.1:
	s_load_dwordx2 s[16:17], s[0:1], 0x10
	s_load_dwordx8 s[8:15], s[0:1], 0x20
	v_ashrrev_i32_e32 v41, 31, v40
	s_mul_i32 s30, s28, 15
	v_lshlrev_b64 v[8:9], 4, v[40:41]
	v_add_u32_e32 v10, s30, v40
	v_mov_b32_e32 v11, 0
	s_waitcnt lgkmcnt(0)
	v_lshl_add_u64 v[0:1], s[16:17], 0, v[8:9]
	v_lshlrev_b64 v[12:13], 4, v[10:11]
	global_load_dwordx4 v[0:3], v[0:1], off
	v_lshl_add_u64 v[4:5], s[8:9], 0, v[12:13]
	global_load_dwordx4 v[4:7], v[4:5], off
	s_load_dwordx2 s[6:7], s[0:1], 0x40
	s_cmp_lt_i32 s29, 1
	v_add_u32_e32 v58, s28, v40
	v_lshl_add_u64 v[42:43], s[10:11], 0, v[8:9]
	v_mov_b32_e32 v44, v11
	v_lshl_add_u64 v[8:9], s[12:13], 0, v[12:13]
	s_waitcnt vmcnt(1)
	global_store_dwordx4 v[42:43], v[0:3], off
	s_waitcnt vmcnt(1)
	global_store_dwordx4 v[8:9], v[4:7], off
	s_cbranch_scc1 .LBB307_65
; %bb.2:
	s_load_dwordx2 s[18:19], s[0:1], 0x18
	s_mov_b32 s22, 0
	s_mov_b32 s24, 0x372fe950
	s_mul_i32 s31, s28, 14
	s_lshl_b32 s33, s28, 1
	s_waitcnt lgkmcnt(0)
	v_lshl_add_u64 v[0:1], v[40:41], 4, s[18:19]
	global_load_dwordx4 v[0:3], v[0:1], off
	v_add_u32_e32 v41, s28, v58
	v_mov_b32_e32 v44, 0
	s_mov_b64 s[20:21], 0
	s_brev_b32 s23, 8
	v_mov_b32_e32 v59, 0x260
	s_mov_b32 s25, 0x3fe3c6ef
	v_mov_b32_e32 v60, 2
	v_mov_b32_e32 v61, 1
	;; [unrolled: 1-line block ×4, first 2 shown]
	s_branch .LBB307_5
.LBB307_3:                              ;   in Loop: Header=BB307_5 Depth=1
	s_or_b64 exec, exec, s[4:5]
	v_mul_f64 v[4:5], v[2:3], -v[50:51]
	v_mul_f64 v[2:3], v[2:3], v[48:49]
	v_fmac_f64_e32 v[4:5], v[48:49], v[0:1]
	v_fmac_f64_e32 v[2:3], v[50:51], v[0:1]
	v_add_f64 v[0:1], v[8:9], -v[4:5]
	v_add_f64 v[2:3], v[10:11], -v[2:3]
	v_mov_b32_e32 v12, s28
.LBB307_4:                              ;   in Loop: Header=BB307_5 Depth=1
	s_or_b64 exec, exec, s[2:3]
	v_add_u32_e32 v44, v12, v44
	v_cmp_le_i32_e32 vcc, s29, v44
	s_or_b64 s[20:21], vcc, s[20:21]
	s_andn2_b64 exec, exec, s[20:21]
	s_cbranch_execz .LBB307_64
.LBB307_5:                              ; =>This Inner Loop Header: Depth=1
	v_add_u32_e32 v46, v44, v40
	v_ashrrev_i32_e32 v47, 31, v46
	v_lshl_add_u64 v[4:5], v[46:47], 4, s[8:9]
	global_load_dwordx4 v[16:19], v[4:5], off
	v_cmp_gt_u32_e64 s[0:1], s30, v44
	v_mov_b64_e32 v[8:9], 0
	v_mov_b64_e32 v[4:5], 0
	v_mov_b64_e32 v[6:7], 0
	s_and_saveexec_b64 s[2:3], s[0:1]
	s_cbranch_execz .LBB307_7
; %bb.6:                                ;   in Loop: Header=BB307_5 Depth=1
	v_add_u32_e32 v4, v58, v44
	v_ashrrev_i32_e32 v5, 31, v4
	v_lshl_add_u64 v[4:5], v[4:5], 4, s[16:17]
	global_load_dwordx4 v[4:7], v[4:5], off
.LBB307_7:                              ;   in Loop: Header=BB307_5 Depth=1
	s_or_b64 exec, exec, s[2:3]
	v_mov_b64_e32 v[10:11], 0
	s_and_saveexec_b64 s[2:3], s[0:1]
	s_cbranch_execz .LBB307_9
; %bb.8:                                ;   in Loop: Header=BB307_5 Depth=1
	v_add_u32_e32 v8, v58, v44
	v_ashrrev_i32_e32 v9, 31, v8
	v_lshl_add_u64 v[8:9], v[8:9], 4, s[18:19]
	global_load_dwordx4 v[8:11], v[8:9], off
.LBB307_9:                              ;   in Loop: Header=BB307_5 Depth=1
	s_or_b64 exec, exec, s[2:3]
	v_mov_b64_e32 v[20:21], 0
	v_mov_b64_e32 v[12:13], 0
	;; [unrolled: 1-line block ×3, first 2 shown]
	s_and_saveexec_b64 s[2:3], s[0:1]
	s_cbranch_execz .LBB307_11
; %bb.10:                               ;   in Loop: Header=BB307_5 Depth=1
	v_add_u32_e32 v12, v58, v44
	v_ashrrev_i32_e32 v13, 31, v12
	v_lshl_add_u64 v[12:13], v[12:13], 4, s[8:9]
	global_load_dwordx4 v[12:15], v[12:13], off
.LBB307_11:                             ;   in Loop: Header=BB307_5 Depth=1
	s_or_b64 exec, exec, s[2:3]
	v_cmp_gt_u32_e64 s[2:3], s31, v44
	v_mov_b64_e32 v[22:23], 0
	s_and_saveexec_b64 s[4:5], s[2:3]
	s_cbranch_execz .LBB307_13
; %bb.12:                               ;   in Loop: Header=BB307_5 Depth=1
	v_add_u32_e32 v20, v41, v44
	v_ashrrev_i32_e32 v21, 31, v20
	v_lshl_add_u64 v[20:21], v[20:21], 4, s[16:17]
	global_load_dwordx4 v[20:23], v[20:21], off
.LBB307_13:                             ;   in Loop: Header=BB307_5 Depth=1
	s_or_b64 exec, exec, s[4:5]
	s_waitcnt vmcnt(0)
	v_xor_b32_e32 v24, 0x80000000, v5
	v_cmp_gt_f64_e32 vcc, 0, v[4:5]
	v_mov_b32_e32 v26, v4
	v_mov_b32_e32 v28, v6
	v_cndmask_b32_e32 v27, v5, v24, vcc
	v_xor_b32_e32 v24, 0x80000000, v7
	v_cmp_gt_f64_e32 vcc, 0, v[6:7]
	s_nop 1
	v_cndmask_b32_e32 v29, v7, v24, vcc
	v_cmp_ngt_f64_e32 vcc, v[26:27], v[28:29]
                                        ; implicit-def: $vgpr24_vgpr25
	s_and_saveexec_b64 s[4:5], vcc
	s_xor_b64 s[4:5], exec, s[4:5]
	s_cbranch_execz .LBB307_17
; %bb.14:                               ;   in Loop: Header=BB307_5 Depth=1
	v_mov_b64_e32 v[24:25], 0
	v_cmp_neq_f64_e32 vcc, 0, v[6:7]
	s_and_saveexec_b64 s[26:27], vcc
	s_cbranch_execz .LBB307_16
; %bb.15:                               ;   in Loop: Header=BB307_5 Depth=1
	v_div_scale_f64 v[24:25], s[34:35], v[28:29], v[28:29], v[26:27]
	v_rcp_f64_e32 v[30:31], v[24:25]
	v_div_scale_f64 v[32:33], vcc, v[26:27], v[28:29], v[26:27]
	v_fma_f64 v[34:35], -v[24:25], v[30:31], 1.0
	v_fmac_f64_e32 v[30:31], v[30:31], v[34:35]
	v_fma_f64 v[34:35], -v[24:25], v[30:31], 1.0
	v_fmac_f64_e32 v[30:31], v[30:31], v[34:35]
	v_mul_f64 v[34:35], v[32:33], v[30:31]
	v_fma_f64 v[24:25], -v[24:25], v[34:35], v[32:33]
	v_div_fmas_f64 v[24:25], v[24:25], v[30:31], v[34:35]
	v_div_fixup_f64 v[24:25], v[24:25], v[28:29], v[26:27]
	v_fma_f64 v[24:25], v[24:25], v[24:25], 1.0
	v_cmp_gt_f64_e32 vcc, s[22:23], v[24:25]
	s_nop 1
	v_cndmask_b32_e32 v26, 0, v62, vcc
	v_ldexp_f64 v[24:25], v[24:25], v26
	v_rsq_f64_e32 v[26:27], v[24:25]
	s_nop 0
	v_mul_f64 v[30:31], v[24:25], v[26:27]
	v_mul_f64 v[26:27], v[26:27], 0.5
	v_fma_f64 v[32:33], -v[26:27], v[30:31], 0.5
	v_fmac_f64_e32 v[30:31], v[30:31], v[32:33]
	v_fma_f64 v[34:35], -v[30:31], v[30:31], v[24:25]
	v_fmac_f64_e32 v[26:27], v[26:27], v[32:33]
	v_fmac_f64_e32 v[30:31], v[34:35], v[26:27]
	v_fma_f64 v[32:33], -v[30:31], v[30:31], v[24:25]
	v_fmac_f64_e32 v[30:31], v[32:33], v[26:27]
	v_cndmask_b32_e32 v26, 0, v63, vcc
	v_ldexp_f64 v[26:27], v[30:31], v26
	v_cmp_class_f64_e32 vcc, v[24:25], v59
	s_nop 1
	v_cndmask_b32_e32 v25, v27, v25, vcc
	v_cndmask_b32_e32 v24, v26, v24, vcc
	v_mul_f64 v[24:25], v[28:29], v[24:25]
.LBB307_16:                             ;   in Loop: Header=BB307_5 Depth=1
	s_or_b64 exec, exec, s[26:27]
                                        ; implicit-def: $vgpr26_vgpr27
                                        ; implicit-def: $vgpr28_vgpr29
.LBB307_17:                             ;   in Loop: Header=BB307_5 Depth=1
	s_andn2_saveexec_b64 s[4:5], s[4:5]
	s_cbranch_execz .LBB307_19
; %bb.18:                               ;   in Loop: Header=BB307_5 Depth=1
	v_div_scale_f64 v[24:25], s[26:27], v[26:27], v[26:27], v[28:29]
	v_rcp_f64_e32 v[30:31], v[24:25]
	v_div_scale_f64 v[32:33], vcc, v[28:29], v[26:27], v[28:29]
	v_fma_f64 v[34:35], -v[24:25], v[30:31], 1.0
	v_fmac_f64_e32 v[30:31], v[30:31], v[34:35]
	v_fma_f64 v[34:35], -v[24:25], v[30:31], 1.0
	v_fmac_f64_e32 v[30:31], v[30:31], v[34:35]
	v_mul_f64 v[34:35], v[32:33], v[30:31]
	v_fma_f64 v[24:25], -v[24:25], v[34:35], v[32:33]
	v_div_fmas_f64 v[24:25], v[24:25], v[30:31], v[34:35]
	v_div_fixup_f64 v[24:25], v[24:25], v[26:27], v[28:29]
	v_fma_f64 v[24:25], v[24:25], v[24:25], 1.0
	v_cmp_gt_f64_e32 vcc, s[22:23], v[24:25]
	s_nop 1
	v_cndmask_b32_e32 v28, 0, v62, vcc
	v_ldexp_f64 v[24:25], v[24:25], v28
	v_rsq_f64_e32 v[28:29], v[24:25]
	s_nop 0
	v_mul_f64 v[30:31], v[24:25], v[28:29]
	v_mul_f64 v[28:29], v[28:29], 0.5
	v_fma_f64 v[32:33], -v[28:29], v[30:31], 0.5
	v_fmac_f64_e32 v[30:31], v[30:31], v[32:33]
	v_fma_f64 v[34:35], -v[30:31], v[30:31], v[24:25]
	v_fmac_f64_e32 v[28:29], v[28:29], v[32:33]
	v_fmac_f64_e32 v[30:31], v[34:35], v[28:29]
	v_fma_f64 v[32:33], -v[30:31], v[30:31], v[24:25]
	v_fmac_f64_e32 v[30:31], v[32:33], v[28:29]
	v_cndmask_b32_e32 v28, 0, v63, vcc
	v_ldexp_f64 v[28:29], v[30:31], v28
	v_cmp_class_f64_e32 vcc, v[24:25], v59
	s_nop 1
	v_cndmask_b32_e32 v25, v29, v25, vcc
	v_cndmask_b32_e32 v24, v28, v24, vcc
	v_mul_f64 v[24:25], v[26:27], v[24:25]
.LBB307_19:                             ;   in Loop: Header=BB307_5 Depth=1
	s_or_b64 exec, exec, s[4:5]
	v_xor_b32_e32 v26, 0x80000000, v21
	v_cmp_gt_f64_e32 vcc, 0, v[20:21]
	v_mov_b32_e32 v28, v20
	v_mov_b32_e32 v30, v22
	v_cndmask_b32_e32 v29, v21, v26, vcc
	v_xor_b32_e32 v26, 0x80000000, v23
	v_cmp_gt_f64_e32 vcc, 0, v[22:23]
	s_nop 1
	v_cndmask_b32_e32 v31, v23, v26, vcc
	v_cmp_ngt_f64_e32 vcc, v[28:29], v[30:31]
                                        ; implicit-def: $vgpr26_vgpr27
	s_and_saveexec_b64 s[4:5], vcc
	s_xor_b64 s[4:5], exec, s[4:5]
	s_cbranch_execz .LBB307_23
; %bb.20:                               ;   in Loop: Header=BB307_5 Depth=1
	v_mov_b64_e32 v[26:27], 0
	v_cmp_neq_f64_e32 vcc, 0, v[22:23]
	s_and_saveexec_b64 s[26:27], vcc
	s_cbranch_execz .LBB307_22
; %bb.21:                               ;   in Loop: Header=BB307_5 Depth=1
	v_div_scale_f64 v[26:27], s[34:35], v[30:31], v[30:31], v[28:29]
	v_rcp_f64_e32 v[32:33], v[26:27]
	v_div_scale_f64 v[34:35], vcc, v[28:29], v[30:31], v[28:29]
	v_fma_f64 v[36:37], -v[26:27], v[32:33], 1.0
	v_fmac_f64_e32 v[32:33], v[32:33], v[36:37]
	v_fma_f64 v[36:37], -v[26:27], v[32:33], 1.0
	v_fmac_f64_e32 v[32:33], v[32:33], v[36:37]
	v_mul_f64 v[36:37], v[34:35], v[32:33]
	v_fma_f64 v[26:27], -v[26:27], v[36:37], v[34:35]
	v_div_fmas_f64 v[26:27], v[26:27], v[32:33], v[36:37]
	v_div_fixup_f64 v[26:27], v[26:27], v[30:31], v[28:29]
	v_fma_f64 v[26:27], v[26:27], v[26:27], 1.0
	v_cmp_gt_f64_e32 vcc, s[22:23], v[26:27]
	s_nop 1
	v_cndmask_b32_e32 v28, 0, v62, vcc
	v_ldexp_f64 v[26:27], v[26:27], v28
	v_rsq_f64_e32 v[28:29], v[26:27]
	s_nop 0
	v_mul_f64 v[32:33], v[26:27], v[28:29]
	v_mul_f64 v[28:29], v[28:29], 0.5
	v_fma_f64 v[34:35], -v[28:29], v[32:33], 0.5
	v_fmac_f64_e32 v[32:33], v[32:33], v[34:35]
	v_fma_f64 v[36:37], -v[32:33], v[32:33], v[26:27]
	v_fmac_f64_e32 v[28:29], v[28:29], v[34:35]
	v_fmac_f64_e32 v[32:33], v[36:37], v[28:29]
	v_fma_f64 v[34:35], -v[32:33], v[32:33], v[26:27]
	v_fmac_f64_e32 v[32:33], v[34:35], v[28:29]
	v_cndmask_b32_e32 v28, 0, v63, vcc
	v_ldexp_f64 v[28:29], v[32:33], v28
	v_cmp_class_f64_e32 vcc, v[26:27], v59
	s_nop 1
	v_cndmask_b32_e32 v27, v29, v27, vcc
	v_cndmask_b32_e32 v26, v28, v26, vcc
	v_mul_f64 v[26:27], v[30:31], v[26:27]
.LBB307_22:                             ;   in Loop: Header=BB307_5 Depth=1
	s_or_b64 exec, exec, s[26:27]
                                        ; implicit-def: $vgpr28_vgpr29
                                        ; implicit-def: $vgpr30_vgpr31
.LBB307_23:                             ;   in Loop: Header=BB307_5 Depth=1
	s_andn2_saveexec_b64 s[4:5], s[4:5]
	s_cbranch_execz .LBB307_25
; %bb.24:                               ;   in Loop: Header=BB307_5 Depth=1
	v_div_scale_f64 v[26:27], s[26:27], v[28:29], v[28:29], v[30:31]
	v_rcp_f64_e32 v[32:33], v[26:27]
	v_div_scale_f64 v[34:35], vcc, v[30:31], v[28:29], v[30:31]
	v_fma_f64 v[36:37], -v[26:27], v[32:33], 1.0
	v_fmac_f64_e32 v[32:33], v[32:33], v[36:37]
	v_fma_f64 v[36:37], -v[26:27], v[32:33], 1.0
	v_fmac_f64_e32 v[32:33], v[32:33], v[36:37]
	v_mul_f64 v[36:37], v[34:35], v[32:33]
	v_fma_f64 v[26:27], -v[26:27], v[36:37], v[34:35]
	v_div_fmas_f64 v[26:27], v[26:27], v[32:33], v[36:37]
	v_div_fixup_f64 v[26:27], v[26:27], v[28:29], v[30:31]
	v_fma_f64 v[26:27], v[26:27], v[26:27], 1.0
	v_cmp_gt_f64_e32 vcc, s[22:23], v[26:27]
	s_nop 1
	v_cndmask_b32_e32 v30, 0, v62, vcc
	v_ldexp_f64 v[26:27], v[26:27], v30
	v_rsq_f64_e32 v[30:31], v[26:27]
	s_nop 0
	v_mul_f64 v[32:33], v[26:27], v[30:31]
	v_mul_f64 v[30:31], v[30:31], 0.5
	v_fma_f64 v[34:35], -v[30:31], v[32:33], 0.5
	v_fmac_f64_e32 v[32:33], v[32:33], v[34:35]
	v_fma_f64 v[36:37], -v[32:33], v[32:33], v[26:27]
	v_fmac_f64_e32 v[30:31], v[30:31], v[34:35]
	v_fmac_f64_e32 v[32:33], v[36:37], v[30:31]
	v_fma_f64 v[34:35], -v[32:33], v[32:33], v[26:27]
	v_fmac_f64_e32 v[32:33], v[34:35], v[30:31]
	v_cndmask_b32_e32 v30, 0, v63, vcc
	v_ldexp_f64 v[30:31], v[32:33], v30
	v_cmp_class_f64_e32 vcc, v[26:27], v59
	s_nop 1
	v_cndmask_b32_e32 v27, v31, v27, vcc
	v_cndmask_b32_e32 v26, v30, v26, vcc
	v_mul_f64 v[26:27], v[28:29], v[26:27]
.LBB307_25:                             ;   in Loop: Header=BB307_5 Depth=1
	s_or_b64 exec, exec, s[4:5]
	v_xor_b32_e32 v28, 0x80000000, v9
	v_cmp_gt_f64_e32 vcc, 0, v[8:9]
	v_mov_b32_e32 v30, v8
	v_mov_b32_e32 v32, v10
	v_cndmask_b32_e32 v31, v9, v28, vcc
	v_xor_b32_e32 v28, 0x80000000, v11
	v_cmp_gt_f64_e32 vcc, 0, v[10:11]
	s_nop 1
	v_cndmask_b32_e32 v33, v11, v28, vcc
	v_cmp_ngt_f64_e32 vcc, v[30:31], v[32:33]
                                        ; implicit-def: $vgpr28_vgpr29
	s_and_saveexec_b64 s[4:5], vcc
	s_xor_b64 s[4:5], exec, s[4:5]
	s_cbranch_execz .LBB307_29
; %bb.26:                               ;   in Loop: Header=BB307_5 Depth=1
	v_mov_b64_e32 v[28:29], 0
	v_cmp_neq_f64_e32 vcc, 0, v[10:11]
	s_and_saveexec_b64 s[26:27], vcc
	s_cbranch_execz .LBB307_28
; %bb.27:                               ;   in Loop: Header=BB307_5 Depth=1
	v_div_scale_f64 v[28:29], s[34:35], v[32:33], v[32:33], v[30:31]
	v_rcp_f64_e32 v[34:35], v[28:29]
	v_div_scale_f64 v[36:37], vcc, v[30:31], v[32:33], v[30:31]
	v_fma_f64 v[38:39], -v[28:29], v[34:35], 1.0
	v_fmac_f64_e32 v[34:35], v[34:35], v[38:39]
	v_fma_f64 v[38:39], -v[28:29], v[34:35], 1.0
	v_fmac_f64_e32 v[34:35], v[34:35], v[38:39]
	v_mul_f64 v[38:39], v[36:37], v[34:35]
	v_fma_f64 v[28:29], -v[28:29], v[38:39], v[36:37]
	v_div_fmas_f64 v[28:29], v[28:29], v[34:35], v[38:39]
	v_div_fixup_f64 v[28:29], v[28:29], v[32:33], v[30:31]
	v_fma_f64 v[28:29], v[28:29], v[28:29], 1.0
	v_cmp_gt_f64_e32 vcc, s[22:23], v[28:29]
	s_nop 1
	v_cndmask_b32_e32 v30, 0, v62, vcc
	v_ldexp_f64 v[28:29], v[28:29], v30
	v_rsq_f64_e32 v[30:31], v[28:29]
	s_nop 0
	v_mul_f64 v[34:35], v[28:29], v[30:31]
	v_mul_f64 v[30:31], v[30:31], 0.5
	v_fma_f64 v[36:37], -v[30:31], v[34:35], 0.5
	v_fmac_f64_e32 v[34:35], v[34:35], v[36:37]
	v_fma_f64 v[38:39], -v[34:35], v[34:35], v[28:29]
	v_fmac_f64_e32 v[30:31], v[30:31], v[36:37]
	v_fmac_f64_e32 v[34:35], v[38:39], v[30:31]
	v_fma_f64 v[36:37], -v[34:35], v[34:35], v[28:29]
	v_fmac_f64_e32 v[34:35], v[36:37], v[30:31]
	v_cndmask_b32_e32 v30, 0, v63, vcc
	v_ldexp_f64 v[30:31], v[34:35], v30
	v_cmp_class_f64_e32 vcc, v[28:29], v59
	s_nop 1
	v_cndmask_b32_e32 v29, v31, v29, vcc
	v_cndmask_b32_e32 v28, v30, v28, vcc
	v_mul_f64 v[28:29], v[32:33], v[28:29]
.LBB307_28:                             ;   in Loop: Header=BB307_5 Depth=1
	s_or_b64 exec, exec, s[26:27]
                                        ; implicit-def: $vgpr30_vgpr31
                                        ; implicit-def: $vgpr32_vgpr33
.LBB307_29:                             ;   in Loop: Header=BB307_5 Depth=1
	s_andn2_saveexec_b64 s[4:5], s[4:5]
	s_cbranch_execz .LBB307_31
; %bb.30:                               ;   in Loop: Header=BB307_5 Depth=1
	v_div_scale_f64 v[28:29], s[26:27], v[30:31], v[30:31], v[32:33]
	v_rcp_f64_e32 v[34:35], v[28:29]
	v_div_scale_f64 v[36:37], vcc, v[32:33], v[30:31], v[32:33]
	v_fma_f64 v[38:39], -v[28:29], v[34:35], 1.0
	v_fmac_f64_e32 v[34:35], v[34:35], v[38:39]
	v_fma_f64 v[38:39], -v[28:29], v[34:35], 1.0
	v_fmac_f64_e32 v[34:35], v[34:35], v[38:39]
	v_mul_f64 v[38:39], v[36:37], v[34:35]
	v_fma_f64 v[28:29], -v[28:29], v[38:39], v[36:37]
	v_div_fmas_f64 v[28:29], v[28:29], v[34:35], v[38:39]
	v_div_fixup_f64 v[28:29], v[28:29], v[30:31], v[32:33]
	v_fma_f64 v[28:29], v[28:29], v[28:29], 1.0
	v_cmp_gt_f64_e32 vcc, s[22:23], v[28:29]
	s_nop 1
	v_cndmask_b32_e32 v32, 0, v62, vcc
	v_ldexp_f64 v[28:29], v[28:29], v32
	v_rsq_f64_e32 v[32:33], v[28:29]
	s_nop 0
	v_mul_f64 v[34:35], v[28:29], v[32:33]
	v_mul_f64 v[32:33], v[32:33], 0.5
	v_fma_f64 v[36:37], -v[32:33], v[34:35], 0.5
	v_fmac_f64_e32 v[34:35], v[34:35], v[36:37]
	v_fma_f64 v[38:39], -v[34:35], v[34:35], v[28:29]
	v_fmac_f64_e32 v[32:33], v[32:33], v[36:37]
	v_fmac_f64_e32 v[34:35], v[38:39], v[32:33]
	v_fma_f64 v[36:37], -v[34:35], v[34:35], v[28:29]
	v_fmac_f64_e32 v[34:35], v[36:37], v[32:33]
	v_cndmask_b32_e32 v32, 0, v63, vcc
	v_ldexp_f64 v[32:33], v[34:35], v32
	v_cmp_class_f64_e32 vcc, v[28:29], v59
	s_nop 1
	v_cndmask_b32_e32 v29, v33, v29, vcc
	v_cndmask_b32_e32 v28, v32, v28, vcc
	v_mul_f64 v[28:29], v[30:31], v[28:29]
.LBB307_31:                             ;   in Loop: Header=BB307_5 Depth=1
	s_or_b64 exec, exec, s[4:5]
	v_xor_b32_e32 v30, 0x80000000, v17
	v_cmp_gt_f64_e32 vcc, 0, v[16:17]
	v_mov_b32_e32 v32, v16
	v_mov_b32_e32 v34, v18
	v_cndmask_b32_e32 v33, v17, v30, vcc
	v_xor_b32_e32 v30, 0x80000000, v19
	v_cmp_gt_f64_e32 vcc, 0, v[18:19]
	s_nop 1
	v_cndmask_b32_e32 v35, v19, v30, vcc
	v_cmp_ngt_f64_e32 vcc, v[32:33], v[34:35]
                                        ; implicit-def: $vgpr30_vgpr31
	s_and_saveexec_b64 s[4:5], vcc
	s_xor_b64 s[4:5], exec, s[4:5]
	s_cbranch_execz .LBB307_35
; %bb.32:                               ;   in Loop: Header=BB307_5 Depth=1
	v_mov_b64_e32 v[30:31], 0
	v_cmp_neq_f64_e32 vcc, 0, v[18:19]
	s_and_saveexec_b64 s[26:27], vcc
	s_cbranch_execz .LBB307_34
; %bb.33:                               ;   in Loop: Header=BB307_5 Depth=1
	v_div_scale_f64 v[30:31], s[34:35], v[34:35], v[34:35], v[32:33]
	v_rcp_f64_e32 v[36:37], v[30:31]
	v_div_scale_f64 v[38:39], vcc, v[32:33], v[34:35], v[32:33]
	v_fma_f64 v[48:49], -v[30:31], v[36:37], 1.0
	v_fmac_f64_e32 v[36:37], v[36:37], v[48:49]
	v_fma_f64 v[48:49], -v[30:31], v[36:37], 1.0
	v_fmac_f64_e32 v[36:37], v[36:37], v[48:49]
	v_mul_f64 v[48:49], v[38:39], v[36:37]
	v_fma_f64 v[30:31], -v[30:31], v[48:49], v[38:39]
	v_div_fmas_f64 v[30:31], v[30:31], v[36:37], v[48:49]
	v_div_fixup_f64 v[30:31], v[30:31], v[34:35], v[32:33]
	v_fma_f64 v[30:31], v[30:31], v[30:31], 1.0
	v_cmp_gt_f64_e32 vcc, s[22:23], v[30:31]
	s_nop 1
	v_cndmask_b32_e32 v32, 0, v62, vcc
	v_ldexp_f64 v[30:31], v[30:31], v32
	v_rsq_f64_e32 v[32:33], v[30:31]
	s_nop 0
	v_mul_f64 v[36:37], v[30:31], v[32:33]
	v_mul_f64 v[32:33], v[32:33], 0.5
	v_fma_f64 v[38:39], -v[32:33], v[36:37], 0.5
	v_fmac_f64_e32 v[36:37], v[36:37], v[38:39]
	v_fma_f64 v[48:49], -v[36:37], v[36:37], v[30:31]
	v_fmac_f64_e32 v[32:33], v[32:33], v[38:39]
	v_fmac_f64_e32 v[36:37], v[48:49], v[32:33]
	v_fma_f64 v[38:39], -v[36:37], v[36:37], v[30:31]
	v_fmac_f64_e32 v[36:37], v[38:39], v[32:33]
	v_cndmask_b32_e32 v32, 0, v63, vcc
	v_ldexp_f64 v[32:33], v[36:37], v32
	v_cmp_class_f64_e32 vcc, v[30:31], v59
	s_nop 1
	v_cndmask_b32_e32 v31, v33, v31, vcc
	v_cndmask_b32_e32 v30, v32, v30, vcc
	v_mul_f64 v[30:31], v[34:35], v[30:31]
.LBB307_34:                             ;   in Loop: Header=BB307_5 Depth=1
	s_or_b64 exec, exec, s[26:27]
                                        ; implicit-def: $vgpr32_vgpr33
                                        ; implicit-def: $vgpr34_vgpr35
.LBB307_35:                             ;   in Loop: Header=BB307_5 Depth=1
	s_andn2_saveexec_b64 s[4:5], s[4:5]
	s_cbranch_execz .LBB307_37
; %bb.36:                               ;   in Loop: Header=BB307_5 Depth=1
	v_div_scale_f64 v[30:31], s[26:27], v[32:33], v[32:33], v[34:35]
	v_rcp_f64_e32 v[36:37], v[30:31]
	v_div_scale_f64 v[38:39], vcc, v[34:35], v[32:33], v[34:35]
	v_fma_f64 v[48:49], -v[30:31], v[36:37], 1.0
	v_fmac_f64_e32 v[36:37], v[36:37], v[48:49]
	v_fma_f64 v[48:49], -v[30:31], v[36:37], 1.0
	v_fmac_f64_e32 v[36:37], v[36:37], v[48:49]
	v_mul_f64 v[48:49], v[38:39], v[36:37]
	v_fma_f64 v[30:31], -v[30:31], v[48:49], v[38:39]
	v_div_fmas_f64 v[30:31], v[30:31], v[36:37], v[48:49]
	v_div_fixup_f64 v[30:31], v[30:31], v[32:33], v[34:35]
	v_fma_f64 v[30:31], v[30:31], v[30:31], 1.0
	v_cmp_gt_f64_e32 vcc, s[22:23], v[30:31]
	s_nop 1
	v_cndmask_b32_e32 v34, 0, v62, vcc
	v_ldexp_f64 v[30:31], v[30:31], v34
	v_rsq_f64_e32 v[34:35], v[30:31]
	s_nop 0
	v_mul_f64 v[36:37], v[30:31], v[34:35]
	v_mul_f64 v[34:35], v[34:35], 0.5
	v_fma_f64 v[38:39], -v[34:35], v[36:37], 0.5
	v_fmac_f64_e32 v[36:37], v[36:37], v[38:39]
	v_fma_f64 v[48:49], -v[36:37], v[36:37], v[30:31]
	v_fmac_f64_e32 v[34:35], v[34:35], v[38:39]
	v_fmac_f64_e32 v[36:37], v[48:49], v[34:35]
	v_fma_f64 v[38:39], -v[36:37], v[36:37], v[30:31]
	v_fmac_f64_e32 v[36:37], v[38:39], v[34:35]
	v_cndmask_b32_e32 v34, 0, v63, vcc
	v_ldexp_f64 v[34:35], v[36:37], v34
	v_cmp_class_f64_e32 vcc, v[30:31], v59
	s_nop 1
	v_cndmask_b32_e32 v31, v35, v31, vcc
	v_cndmask_b32_e32 v30, v34, v30, vcc
	v_mul_f64 v[30:31], v[32:33], v[30:31]
.LBB307_37:                             ;   in Loop: Header=BB307_5 Depth=1
	s_or_b64 exec, exec, s[4:5]
	v_xor_b32_e32 v32, 0x80000000, v13
	v_cmp_gt_f64_e32 vcc, 0, v[12:13]
	v_mov_b32_e32 v34, v12
	v_mov_b32_e32 v36, v14
	v_cndmask_b32_e32 v35, v13, v32, vcc
	v_xor_b32_e32 v32, 0x80000000, v15
	v_cmp_gt_f64_e32 vcc, 0, v[14:15]
	s_nop 1
	v_cndmask_b32_e32 v37, v15, v32, vcc
	v_cmp_ngt_f64_e32 vcc, v[34:35], v[36:37]
                                        ; implicit-def: $vgpr32_vgpr33
	s_and_saveexec_b64 s[4:5], vcc
	s_xor_b64 s[4:5], exec, s[4:5]
	s_cbranch_execz .LBB307_41
; %bb.38:                               ;   in Loop: Header=BB307_5 Depth=1
	v_mov_b64_e32 v[32:33], 0
	v_cmp_neq_f64_e32 vcc, 0, v[14:15]
	s_and_saveexec_b64 s[26:27], vcc
	s_cbranch_execz .LBB307_40
; %bb.39:                               ;   in Loop: Header=BB307_5 Depth=1
	v_div_scale_f64 v[32:33], s[34:35], v[36:37], v[36:37], v[34:35]
	v_rcp_f64_e32 v[38:39], v[32:33]
	v_div_scale_f64 v[48:49], vcc, v[34:35], v[36:37], v[34:35]
	v_fma_f64 v[50:51], -v[32:33], v[38:39], 1.0
	v_fmac_f64_e32 v[38:39], v[38:39], v[50:51]
	v_fma_f64 v[50:51], -v[32:33], v[38:39], 1.0
	v_fmac_f64_e32 v[38:39], v[38:39], v[50:51]
	v_mul_f64 v[50:51], v[48:49], v[38:39]
	v_fma_f64 v[32:33], -v[32:33], v[50:51], v[48:49]
	v_div_fmas_f64 v[32:33], v[32:33], v[38:39], v[50:51]
	v_div_fixup_f64 v[32:33], v[32:33], v[36:37], v[34:35]
	v_fma_f64 v[32:33], v[32:33], v[32:33], 1.0
	v_cmp_gt_f64_e32 vcc, s[22:23], v[32:33]
	s_nop 1
	v_cndmask_b32_e32 v34, 0, v62, vcc
	v_ldexp_f64 v[32:33], v[32:33], v34
	v_rsq_f64_e32 v[34:35], v[32:33]
	s_nop 0
	v_mul_f64 v[38:39], v[32:33], v[34:35]
	v_mul_f64 v[34:35], v[34:35], 0.5
	v_fma_f64 v[48:49], -v[34:35], v[38:39], 0.5
	v_fmac_f64_e32 v[38:39], v[38:39], v[48:49]
	v_fma_f64 v[50:51], -v[38:39], v[38:39], v[32:33]
	v_fmac_f64_e32 v[34:35], v[34:35], v[48:49]
	v_fmac_f64_e32 v[38:39], v[50:51], v[34:35]
	v_fma_f64 v[48:49], -v[38:39], v[38:39], v[32:33]
	v_fmac_f64_e32 v[38:39], v[48:49], v[34:35]
	v_cndmask_b32_e32 v34, 0, v63, vcc
	v_ldexp_f64 v[34:35], v[38:39], v34
	v_cmp_class_f64_e32 vcc, v[32:33], v59
	s_nop 1
	v_cndmask_b32_e32 v33, v35, v33, vcc
	v_cndmask_b32_e32 v32, v34, v32, vcc
	v_mul_f64 v[32:33], v[36:37], v[32:33]
.LBB307_40:                             ;   in Loop: Header=BB307_5 Depth=1
	s_or_b64 exec, exec, s[26:27]
                                        ; implicit-def: $vgpr34_vgpr35
                                        ; implicit-def: $vgpr36_vgpr37
.LBB307_41:                             ;   in Loop: Header=BB307_5 Depth=1
	s_andn2_saveexec_b64 s[4:5], s[4:5]
	s_cbranch_execz .LBB307_43
; %bb.42:                               ;   in Loop: Header=BB307_5 Depth=1
	v_div_scale_f64 v[32:33], s[26:27], v[34:35], v[34:35], v[36:37]
	v_rcp_f64_e32 v[38:39], v[32:33]
	v_div_scale_f64 v[48:49], vcc, v[36:37], v[34:35], v[36:37]
	v_fma_f64 v[50:51], -v[32:33], v[38:39], 1.0
	v_fmac_f64_e32 v[38:39], v[38:39], v[50:51]
	v_fma_f64 v[50:51], -v[32:33], v[38:39], 1.0
	v_fmac_f64_e32 v[38:39], v[38:39], v[50:51]
	v_mul_f64 v[50:51], v[48:49], v[38:39]
	v_fma_f64 v[32:33], -v[32:33], v[50:51], v[48:49]
	v_div_fmas_f64 v[32:33], v[32:33], v[38:39], v[50:51]
	v_div_fixup_f64 v[32:33], v[32:33], v[34:35], v[36:37]
	v_fma_f64 v[32:33], v[32:33], v[32:33], 1.0
	v_cmp_gt_f64_e32 vcc, s[22:23], v[32:33]
	s_nop 1
	v_cndmask_b32_e32 v36, 0, v62, vcc
	v_ldexp_f64 v[32:33], v[32:33], v36
	v_rsq_f64_e32 v[36:37], v[32:33]
	s_nop 0
	v_mul_f64 v[38:39], v[32:33], v[36:37]
	v_mul_f64 v[36:37], v[36:37], 0.5
	v_fma_f64 v[48:49], -v[36:37], v[38:39], 0.5
	v_fmac_f64_e32 v[38:39], v[38:39], v[48:49]
	v_fma_f64 v[50:51], -v[38:39], v[38:39], v[32:33]
	v_fmac_f64_e32 v[36:37], v[36:37], v[48:49]
	v_fmac_f64_e32 v[38:39], v[50:51], v[36:37]
	v_fma_f64 v[48:49], -v[38:39], v[38:39], v[32:33]
	v_fmac_f64_e32 v[38:39], v[48:49], v[36:37]
	v_cndmask_b32_e32 v36, 0, v63, vcc
	v_ldexp_f64 v[36:37], v[38:39], v36
	v_cmp_class_f64_e32 vcc, v[32:33], v59
	s_nop 1
	v_cndmask_b32_e32 v33, v37, v33, vcc
	v_cndmask_b32_e32 v32, v36, v32, vcc
	v_mul_f64 v[32:33], v[34:35], v[32:33]
.LBB307_43:                             ;   in Loop: Header=BB307_5 Depth=1
	s_or_b64 exec, exec, s[4:5]
	v_xor_b32_e32 v34, 0x80000000, v1
	v_cmp_gt_f64_e32 vcc, 0, v[0:1]
	v_mov_b32_e32 v36, v0
	v_mov_b32_e32 v38, v2
	v_cndmask_b32_e32 v37, v1, v34, vcc
	v_xor_b32_e32 v34, 0x80000000, v3
	v_cmp_gt_f64_e32 vcc, 0, v[2:3]
	s_nop 1
	v_cndmask_b32_e32 v39, v3, v34, vcc
	v_cmp_ngt_f64_e32 vcc, v[36:37], v[38:39]
                                        ; implicit-def: $vgpr34_vgpr35
	s_and_saveexec_b64 s[4:5], vcc
	s_xor_b64 s[4:5], exec, s[4:5]
	s_cbranch_execz .LBB307_47
; %bb.44:                               ;   in Loop: Header=BB307_5 Depth=1
	v_mov_b64_e32 v[34:35], 0
	v_cmp_neq_f64_e32 vcc, 0, v[2:3]
	s_and_saveexec_b64 s[26:27], vcc
	s_cbranch_execz .LBB307_46
; %bb.45:                               ;   in Loop: Header=BB307_5 Depth=1
	v_div_scale_f64 v[34:35], s[34:35], v[38:39], v[38:39], v[36:37]
	v_rcp_f64_e32 v[48:49], v[34:35]
	v_div_scale_f64 v[50:51], vcc, v[36:37], v[38:39], v[36:37]
	v_fma_f64 v[52:53], -v[34:35], v[48:49], 1.0
	v_fmac_f64_e32 v[48:49], v[48:49], v[52:53]
	v_fma_f64 v[52:53], -v[34:35], v[48:49], 1.0
	v_fmac_f64_e32 v[48:49], v[48:49], v[52:53]
	v_mul_f64 v[52:53], v[50:51], v[48:49]
	v_fma_f64 v[34:35], -v[34:35], v[52:53], v[50:51]
	v_div_fmas_f64 v[34:35], v[34:35], v[48:49], v[52:53]
	v_div_fixup_f64 v[34:35], v[34:35], v[38:39], v[36:37]
	v_fma_f64 v[34:35], v[34:35], v[34:35], 1.0
	v_cmp_gt_f64_e32 vcc, s[22:23], v[34:35]
	s_nop 1
	v_cndmask_b32_e32 v36, 0, v62, vcc
	v_ldexp_f64 v[34:35], v[34:35], v36
	v_rsq_f64_e32 v[36:37], v[34:35]
	s_nop 0
	v_mul_f64 v[48:49], v[34:35], v[36:37]
	v_mul_f64 v[36:37], v[36:37], 0.5
	v_fma_f64 v[50:51], -v[36:37], v[48:49], 0.5
	v_fmac_f64_e32 v[48:49], v[48:49], v[50:51]
	v_fma_f64 v[52:53], -v[48:49], v[48:49], v[34:35]
	v_fmac_f64_e32 v[36:37], v[36:37], v[50:51]
	v_fmac_f64_e32 v[48:49], v[52:53], v[36:37]
	v_fma_f64 v[50:51], -v[48:49], v[48:49], v[34:35]
	v_fmac_f64_e32 v[48:49], v[50:51], v[36:37]
	v_cndmask_b32_e32 v36, 0, v63, vcc
	v_ldexp_f64 v[36:37], v[48:49], v36
	v_cmp_class_f64_e32 vcc, v[34:35], v59
	s_nop 1
	v_cndmask_b32_e32 v35, v37, v35, vcc
	v_cndmask_b32_e32 v34, v36, v34, vcc
	v_mul_f64 v[34:35], v[38:39], v[34:35]
.LBB307_46:                             ;   in Loop: Header=BB307_5 Depth=1
	s_or_b64 exec, exec, s[26:27]
                                        ; implicit-def: $vgpr36_vgpr37
                                        ; implicit-def: $vgpr38_vgpr39
.LBB307_47:                             ;   in Loop: Header=BB307_5 Depth=1
	s_andn2_saveexec_b64 s[4:5], s[4:5]
	s_cbranch_execz .LBB307_49
; %bb.48:                               ;   in Loop: Header=BB307_5 Depth=1
	v_div_scale_f64 v[34:35], s[26:27], v[36:37], v[36:37], v[38:39]
	v_rcp_f64_e32 v[48:49], v[34:35]
	v_div_scale_f64 v[50:51], vcc, v[38:39], v[36:37], v[38:39]
	v_fma_f64 v[52:53], -v[34:35], v[48:49], 1.0
	v_fmac_f64_e32 v[48:49], v[48:49], v[52:53]
	v_fma_f64 v[52:53], -v[34:35], v[48:49], 1.0
	v_fmac_f64_e32 v[48:49], v[48:49], v[52:53]
	v_mul_f64 v[52:53], v[50:51], v[48:49]
	v_fma_f64 v[34:35], -v[34:35], v[52:53], v[50:51]
	v_div_fmas_f64 v[34:35], v[34:35], v[48:49], v[52:53]
	v_div_fixup_f64 v[34:35], v[34:35], v[36:37], v[38:39]
	v_fma_f64 v[34:35], v[34:35], v[34:35], 1.0
	v_cmp_gt_f64_e32 vcc, s[22:23], v[34:35]
	s_nop 1
	v_cndmask_b32_e32 v38, 0, v62, vcc
	v_ldexp_f64 v[34:35], v[34:35], v38
	v_rsq_f64_e32 v[38:39], v[34:35]
	s_nop 0
	v_mul_f64 v[48:49], v[34:35], v[38:39]
	v_mul_f64 v[38:39], v[38:39], 0.5
	v_fma_f64 v[50:51], -v[38:39], v[48:49], 0.5
	v_fmac_f64_e32 v[48:49], v[48:49], v[50:51]
	v_fma_f64 v[52:53], -v[48:49], v[48:49], v[34:35]
	v_fmac_f64_e32 v[38:39], v[38:39], v[50:51]
	v_fmac_f64_e32 v[48:49], v[52:53], v[38:39]
	v_fma_f64 v[50:51], -v[48:49], v[48:49], v[34:35]
	v_fmac_f64_e32 v[48:49], v[50:51], v[38:39]
	v_cndmask_b32_e32 v38, 0, v63, vcc
	v_ldexp_f64 v[38:39], v[48:49], v38
	v_cmp_class_f64_e32 vcc, v[34:35], v59
	s_nop 1
	v_cndmask_b32_e32 v35, v39, v35, vcc
	v_cndmask_b32_e32 v34, v38, v34, vcc
	v_mul_f64 v[34:35], v[36:37], v[34:35]
.LBB307_49:                             ;   in Loop: Header=BB307_5 Depth=1
	s_or_b64 exec, exec, s[4:5]
	v_mul_f64 v[48:49], v[18:19], -v[6:7]
	v_fmac_f64_e32 v[48:49], v[4:5], v[16:17]
	v_mul_f64 v[50:51], v[18:19], v[4:5]
	v_fmac_f64_e32 v[50:51], v[6:7], v[16:17]
	v_xor_b32_e32 v36, 0x80000000, v49
	v_cmp_gt_f64_e32 vcc, 0, v[48:49]
	v_xor_b32_e32 v38, 0x80000000, v51
                                        ; implicit-def: $vgpr52_vgpr53
	s_nop 0
	v_cndmask_b32_e32 v37, v49, v36, vcc
	v_cmp_gt_f64_e32 vcc, 0, v[50:51]
	v_mov_b32_e32 v36, v48
	s_nop 0
	v_cndmask_b32_e32 v39, v51, v38, vcc
	v_mov_b32_e32 v38, v50
	v_cmp_ngt_f64_e32 vcc, v[36:37], v[38:39]
	s_and_saveexec_b64 s[4:5], vcc
	s_xor_b64 s[4:5], exec, s[4:5]
	s_cbranch_execz .LBB307_53
; %bb.50:                               ;   in Loop: Header=BB307_5 Depth=1
	v_mov_b64_e32 v[52:53], 0
	v_cmp_neq_f64_e32 vcc, 0, v[50:51]
	s_and_saveexec_b64 s[26:27], vcc
	s_cbranch_execz .LBB307_52
; %bb.51:                               ;   in Loop: Header=BB307_5 Depth=1
	v_div_scale_f64 v[52:53], s[34:35], v[38:39], v[38:39], v[36:37]
	v_rcp_f64_e32 v[54:55], v[52:53]
	v_div_scale_f64 v[56:57], vcc, v[36:37], v[38:39], v[36:37]
	v_fma_f64 v[64:65], -v[52:53], v[54:55], 1.0
	v_fmac_f64_e32 v[54:55], v[54:55], v[64:65]
	v_fma_f64 v[64:65], -v[52:53], v[54:55], 1.0
	v_fmac_f64_e32 v[54:55], v[54:55], v[64:65]
	v_mul_f64 v[64:65], v[56:57], v[54:55]
	v_fma_f64 v[52:53], -v[52:53], v[64:65], v[56:57]
	v_div_fmas_f64 v[52:53], v[52:53], v[54:55], v[64:65]
	v_div_fixup_f64 v[36:37], v[52:53], v[38:39], v[36:37]
	v_fma_f64 v[36:37], v[36:37], v[36:37], 1.0
	v_cmp_gt_f64_e32 vcc, s[22:23], v[36:37]
	s_nop 1
	v_cndmask_b32_e32 v45, 0, v62, vcc
	v_ldexp_f64 v[36:37], v[36:37], v45
	v_rsq_f64_e32 v[52:53], v[36:37]
	v_cndmask_b32_e32 v45, 0, v63, vcc
	v_cmp_class_f64_e32 vcc, v[36:37], v59
	v_mul_f64 v[54:55], v[36:37], v[52:53]
	v_mul_f64 v[52:53], v[52:53], 0.5
	v_fma_f64 v[56:57], -v[52:53], v[54:55], 0.5
	v_fmac_f64_e32 v[54:55], v[54:55], v[56:57]
	v_fma_f64 v[64:65], -v[54:55], v[54:55], v[36:37]
	v_fmac_f64_e32 v[52:53], v[52:53], v[56:57]
	v_fmac_f64_e32 v[54:55], v[64:65], v[52:53]
	v_fma_f64 v[56:57], -v[54:55], v[54:55], v[36:37]
	v_fmac_f64_e32 v[54:55], v[56:57], v[52:53]
	v_ldexp_f64 v[52:53], v[54:55], v45
	v_cndmask_b32_e32 v37, v53, v37, vcc
	v_cndmask_b32_e32 v36, v52, v36, vcc
	v_mul_f64 v[52:53], v[38:39], v[36:37]
.LBB307_52:                             ;   in Loop: Header=BB307_5 Depth=1
	s_or_b64 exec, exec, s[26:27]
                                        ; implicit-def: $vgpr36_vgpr37
                                        ; implicit-def: $vgpr38_vgpr39
.LBB307_53:                             ;   in Loop: Header=BB307_5 Depth=1
	s_andn2_saveexec_b64 s[4:5], s[4:5]
	s_cbranch_execz .LBB307_55
; %bb.54:                               ;   in Loop: Header=BB307_5 Depth=1
	v_div_scale_f64 v[52:53], s[26:27], v[36:37], v[36:37], v[38:39]
	v_rcp_f64_e32 v[54:55], v[52:53]
	v_div_scale_f64 v[56:57], vcc, v[38:39], v[36:37], v[38:39]
	v_fma_f64 v[64:65], -v[52:53], v[54:55], 1.0
	v_fmac_f64_e32 v[54:55], v[54:55], v[64:65]
	v_fma_f64 v[64:65], -v[52:53], v[54:55], 1.0
	v_fmac_f64_e32 v[54:55], v[54:55], v[64:65]
	v_mul_f64 v[64:65], v[56:57], v[54:55]
	v_fma_f64 v[52:53], -v[52:53], v[64:65], v[56:57]
	v_div_fmas_f64 v[52:53], v[52:53], v[54:55], v[64:65]
	v_div_fixup_f64 v[38:39], v[52:53], v[36:37], v[38:39]
	v_fma_f64 v[38:39], v[38:39], v[38:39], 1.0
	v_cmp_gt_f64_e32 vcc, s[22:23], v[38:39]
	s_nop 1
	v_cndmask_b32_e32 v45, 0, v62, vcc
	v_ldexp_f64 v[38:39], v[38:39], v45
	v_rsq_f64_e32 v[52:53], v[38:39]
	v_cndmask_b32_e32 v45, 0, v63, vcc
	v_cmp_class_f64_e32 vcc, v[38:39], v59
	v_mul_f64 v[54:55], v[38:39], v[52:53]
	v_mul_f64 v[52:53], v[52:53], 0.5
	v_fma_f64 v[56:57], -v[52:53], v[54:55], 0.5
	v_fmac_f64_e32 v[54:55], v[54:55], v[56:57]
	v_fma_f64 v[64:65], -v[54:55], v[54:55], v[38:39]
	v_fmac_f64_e32 v[52:53], v[52:53], v[56:57]
	v_fmac_f64_e32 v[54:55], v[64:65], v[52:53]
	v_fma_f64 v[56:57], -v[54:55], v[54:55], v[38:39]
	v_fmac_f64_e32 v[54:55], v[56:57], v[52:53]
	v_ldexp_f64 v[52:53], v[54:55], v45
	v_cndmask_b32_e32 v39, v53, v39, vcc
	v_cndmask_b32_e32 v38, v52, v38, vcc
	v_mul_f64 v[52:53], v[36:37], v[38:39]
.LBB307_55:                             ;   in Loop: Header=BB307_5 Depth=1
	s_or_b64 exec, exec, s[4:5]
	v_cmp_lt_f64_e32 vcc, v[24:25], v[26:27]
	v_cmp_ne_u32_e64 s[4:5], s30, v44
	s_nop 0
	v_cndmask_b32_e32 v25, v25, v27, vcc
	v_cndmask_b32_e32 v24, v24, v26, vcc
	v_cmp_lt_f64_e32 vcc, v[28:29], v[24:25]
	v_mul_f64 v[26:27], v[52:53], s[24:25]
	s_nop 0
	v_cndmask_b32_e32 v25, v29, v25, vcc
	v_cndmask_b32_e32 v24, v28, v24, vcc
	v_cmp_lt_f64_e32 vcc, v[30:31], v[24:25]
	s_nop 1
	v_cndmask_b32_e32 v25, v31, v25, vcc
	v_cndmask_b32_e32 v24, v30, v24, vcc
	v_cmp_lt_f64_e32 vcc, v[32:33], v[24:25]
	s_nop 1
	v_cndmask_b32_e32 v25, v33, v25, vcc
	v_cndmask_b32_e32 v24, v32, v24, vcc
	v_mul_f64 v[24:25], v[24:25], v[34:35]
	v_cmp_nge_f64_e32 vcc, v[24:25], v[26:27]
	s_and_b64 s[4:5], s[4:5], vcc
	s_and_saveexec_b64 s[26:27], s[4:5]
	s_xor_b64 s[4:5], exec, s[26:27]
	s_cbranch_execz .LBB307_61
; %bb.56:                               ;   in Loop: Header=BB307_5 Depth=1
	v_add_u32_e32 v52, v58, v44
	v_ashrrev_i32_e32 v45, 31, v44
	v_lshlrev_b64 v[64:65], 4, v[46:47]
	v_ashrrev_i32_e32 v53, 31, v52
	v_lshl_add_u64 v[68:69], v[44:45], 4, v[42:43]
	v_lshl_add_u64 v[70:71], s[12:13], 0, v[64:65]
	v_lshlrev_b64 v[36:37], 4, v[52:53]
	global_load_dwordx4 v[24:27], v[68:69], off
	global_load_dwordx4 v[32:35], v[70:71], off
	v_lshl_add_u64 v[56:57], s[10:11], 0, v[36:37]
	global_load_dwordx4 v[28:31], v[56:57], off
	v_lshl_add_u64 v[54:55], s[12:13], 0, v[36:37]
	global_load_dwordx4 v[36:39], v[54:55], off
	v_mul_f64 v[66:67], v[10:11], -v[2:3]
	v_mul_f64 v[72:73], v[0:1], v[10:11]
	v_fmac_f64_e32 v[66:67], v[0:1], v[8:9]
	v_fmac_f64_e32 v[72:73], v[2:3], v[8:9]
	v_lshl_add_u64 v[78:79], v[46:47], 2, s[6:7]
	v_add_f64 v[46:47], v[66:67], -v[48:49]
	v_add_f64 v[48:49], v[72:73], -v[50:51]
	v_mul_f64 v[50:51], v[48:49], v[48:49]
	v_fmac_f64_e32 v[50:51], v[46:47], v[46:47]
	v_div_scale_f64 v[66:67], s[26:27], v[50:51], v[50:51], 1.0
	v_rcp_f64_e32 v[72:73], v[66:67]
	v_lshl_add_u64 v[80:81], s[14:15], 0, v[64:65]
	v_fma_f64 v[64:65], 0, v[48:49], v[46:47]
	v_fma_f64 v[48:49], v[46:47], 0, -v[48:49]
	v_fma_f64 v[82:83], -v[66:67], v[72:73], 1.0
	v_fmac_f64_e32 v[72:73], v[72:73], v[82:83]
	v_fma_f64 v[82:83], -v[66:67], v[72:73], 1.0
	v_div_scale_f64 v[46:47], vcc, 1.0, v[50:51], 1.0
	v_fmac_f64_e32 v[72:73], v[72:73], v[82:83]
	v_mul_f64 v[82:83], v[46:47], v[72:73]
	v_fma_f64 v[46:47], -v[66:67], v[82:83], v[46:47]
	s_nop 0
	v_div_fmas_f64 v[46:47], v[46:47], v[72:73], v[82:83]
	v_mul_f64 v[74:75], v[18:19], v[14:15]
	v_mul_f64 v[76:77], v[14:15], -v[16:17]
	v_div_fixup_f64 v[50:51], v[46:47], v[50:51], 1.0
	v_fma_f64 v[74:75], -v[16:17], v[12:13], v[74:75]
	v_fma_f64 v[76:77], -v[18:19], v[12:13], v[76:77]
	v_mul_f64 v[48:49], v[48:49], v[50:51]
	v_mul_f64 v[46:47], v[64:65], v[50:51]
	v_mul_f64 v[64:65], v[48:49], -v[76:77]
	v_mul_f64 v[66:67], v[48:49], v[74:75]
	v_fmac_f64_e32 v[64:65], v[74:75], v[46:47]
	v_fmac_f64_e32 v[66:67], v[76:77], v[46:47]
	global_store_dwordx4 v[80:81], v[64:67], off
	s_waitcnt vmcnt(4)
	v_mul_f64 v[50:51], v[26:27], -v[10:11]
	v_mul_f64 v[64:65], v[8:9], v[26:27]
	s_waitcnt vmcnt(3)
	v_mul_f64 v[66:67], v[34:35], -v[10:11]
	v_mul_f64 v[72:73], v[8:9], v[34:35]
	v_fmac_f64_e32 v[50:51], v[8:9], v[24:25]
	v_fmac_f64_e32 v[64:65], v[10:11], v[24:25]
	;; [unrolled: 1-line block ×4, first 2 shown]
	s_waitcnt vmcnt(2)
	v_mul_f64 v[8:9], v[30:31], -v[18:19]
	v_mul_f64 v[10:11], v[16:17], v[30:31]
	s_waitcnt vmcnt(1)
	v_mul_f64 v[74:75], v[38:39], -v[18:19]
	v_mul_f64 v[76:77], v[16:17], v[38:39]
	v_fmac_f64_e32 v[8:9], v[16:17], v[28:29]
	v_fmac_f64_e32 v[10:11], v[18:19], v[28:29]
	;; [unrolled: 1-line block ×4, first 2 shown]
	v_add_f64 v[50:51], v[50:51], -v[8:9]
	v_add_f64 v[64:65], v[64:65], -v[10:11]
	v_add_f64 v[66:67], v[66:67], -v[74:75]
	v_add_f64 v[72:73], v[72:73], -v[76:77]
	v_mul_f64 v[8:9], v[48:49], -v[64:65]
	v_mul_f64 v[10:11], v[48:49], v[50:51]
	v_mul_f64 v[16:17], v[48:49], -v[72:73]
	v_mul_f64 v[18:19], v[48:49], v[66:67]
	v_fmac_f64_e32 v[8:9], v[50:51], v[46:47]
	v_fmac_f64_e32 v[10:11], v[64:65], v[46:47]
	;; [unrolled: 1-line block ×4, first 2 shown]
	global_store_dwordx4 v[68:69], v[8:11], off
	global_store_dwordx4 v[70:71], v[16:19], off
	global_store_dword v[78:79], v60, off
	s_and_saveexec_b64 s[26:27], s[0:1]
	s_cbranch_execz .LBB307_58
; %bb.57:                               ;   in Loop: Header=BB307_5 Depth=1
	v_mul_f64 v[8:9], v[6:7], v[26:27]
	v_mul_f64 v[10:11], v[26:27], -v[4:5]
	v_mul_f64 v[16:17], v[30:31], -v[2:3]
	v_mul_f64 v[18:19], v[0:1], v[30:31]
	v_fma_f64 v[8:9], -v[4:5], v[24:25], v[8:9]
	v_fma_f64 v[10:11], -v[6:7], v[24:25], v[10:11]
	v_fmac_f64_e32 v[16:17], v[0:1], v[28:29]
	v_fmac_f64_e32 v[18:19], v[2:3], v[28:29]
	v_add_f64 v[16:17], v[8:9], v[16:17]
	v_add_f64 v[18:19], v[10:11], v[18:19]
	v_mul_f64 v[8:9], v[48:49], -v[18:19]
	v_mul_f64 v[10:11], v[48:49], v[16:17]
	v_fmac_f64_e32 v[8:9], v[16:17], v[46:47]
	v_fmac_f64_e32 v[10:11], v[18:19], v[46:47]
	global_store_dwordx4 v[56:57], v[8:11], off
	v_mul_f64 v[16:17], v[38:39], -v[2:3]
	v_mul_f64 v[18:19], v[0:1], v[38:39]
	v_mul_f64 v[8:9], v[6:7], v[34:35]
	v_mul_f64 v[10:11], v[34:35], -v[4:5]
	v_fma_f64 v[8:9], -v[4:5], v[32:33], v[8:9]
	v_fma_f64 v[10:11], -v[6:7], v[32:33], v[10:11]
	v_fmac_f64_e32 v[16:17], v[0:1], v[36:37]
	v_fmac_f64_e32 v[18:19], v[2:3], v[36:37]
	v_add_f64 v[16:17], v[8:9], v[16:17]
	v_add_f64 v[18:19], v[10:11], v[18:19]
	v_mul_f64 v[8:9], v[48:49], -v[18:19]
	v_mul_f64 v[10:11], v[48:49], v[16:17]
	v_fmac_f64_e32 v[8:9], v[16:17], v[46:47]
	v_fmac_f64_e32 v[10:11], v[18:19], v[46:47]
	v_mul_f64 v[16:17], v[0:1], v[14:15]
	global_store_dwordx4 v[54:55], v[8:11], off
	v_fmac_f64_e32 v[16:17], v[2:3], v[12:13]
	s_nop 0
	v_mul_f64 v[10:11], v[14:15], -v[2:3]
	v_fmac_f64_e32 v[10:11], v[0:1], v[12:13]
	v_mul_f64 v[8:9], v[48:49], -v[16:17]
	v_fmac_f64_e32 v[8:9], v[10:11], v[46:47]
	v_mul_f64 v[10:11], v[48:49], v[10:11]
	v_fmac_f64_e32 v[10:11], v[16:17], v[46:47]
	v_lshl_add_u64 v[16:17], v[52:53], 4, s[14:15]
	global_store_dwordx4 v[16:17], v[8:11], off
	s_nop 1
	v_lshl_add_u64 v[8:9], v[52:53], 2, s[6:7]
	global_store_dword v[8:9], v60, off
.LBB307_58:                             ;   in Loop: Header=BB307_5 Depth=1
	s_or_b64 exec, exec, s[26:27]
	v_mov_b64_e32 v[10:11], 0
	v_mov_b64_e32 v[8:9], 0
	s_and_saveexec_b64 s[26:27], s[2:3]
	s_cbranch_execz .LBB307_60
; %bb.59:                               ;   in Loop: Header=BB307_5 Depth=1
	v_add_u32_e32 v8, v41, v44
	v_ashrrev_i32_e32 v9, 31, v8
	v_lshlrev_b64 v[16:17], 4, v[8:9]
	v_lshl_add_u64 v[32:33], s[10:11], 0, v[16:17]
	v_lshl_add_u64 v[16:17], s[18:19], 0, v[16:17]
	global_load_dwordx4 v[8:11], v[32:33], off
	v_mul_f64 v[34:35], v[6:7], v[22:23]
	global_load_dwordx4 v[16:19], v[16:17], off
	v_mul_f64 v[36:37], v[22:23], -v[4:5]
	v_mul_f64 v[38:39], v[22:23], -v[2:3]
	v_mul_f64 v[50:51], v[0:1], v[22:23]
	v_mul_f64 v[52:53], v[2:3], -v[22:23]
	v_mul_f64 v[54:55], v[2:3], v[20:21]
	v_fma_f64 v[4:5], -v[4:5], v[20:21], v[34:35]
	v_fma_f64 v[6:7], -v[6:7], v[20:21], v[36:37]
	v_fmac_f64_e32 v[38:39], v[0:1], v[20:21]
	v_fmac_f64_e32 v[50:51], v[2:3], v[20:21]
	;; [unrolled: 1-line block ×4, first 2 shown]
	v_mul_f64 v[0:1], v[48:49], -v[6:7]
	v_mul_f64 v[2:3], v[48:49], v[4:5]
	v_mul_f64 v[20:21], v[48:49], -v[50:51]
	v_mul_f64 v[22:23], v[48:49], v[38:39]
	;; [unrolled: 2-line block ×3, first 2 shown]
	v_fmac_f64_e32 v[0:1], v[4:5], v[46:47]
	v_fmac_f64_e32 v[2:3], v[6:7], v[46:47]
	;; [unrolled: 1-line block ×6, first 2 shown]
	v_mul_f64 v[4:5], v[2:3], v[26:27]
	v_mul_f64 v[6:7], v[26:27], -v[0:1]
	v_mul_f64 v[12:13], v[30:31], -v[22:23]
	v_mul_f64 v[26:27], v[20:21], v[30:31]
	v_mul_f64 v[30:31], v[48:49], -v[14:15]
	v_mul_f64 v[36:37], v[48:49], v[34:35]
	v_fma_f64 v[0:1], -v[0:1], v[24:25], v[4:5]
	v_fma_f64 v[2:3], -v[2:3], v[24:25], v[6:7]
	v_fmac_f64_e32 v[12:13], v[20:21], v[28:29]
	v_fmac_f64_e32 v[26:27], v[22:23], v[28:29]
	;; [unrolled: 1-line block ×4, first 2 shown]
	v_add_f64 v[0:1], v[0:1], -v[12:13]
	v_add_f64 v[2:3], v[2:3], -v[26:27]
	s_waitcnt vmcnt(1)
	v_add_f64 v[0:1], v[0:1], v[8:9]
	v_add_f64 v[2:3], v[2:3], v[10:11]
	s_waitcnt vmcnt(0)
	v_add_f64 v[8:9], v[16:17], -v[30:31]
	v_add_f64 v[10:11], v[18:19], -v[36:37]
	global_store_dwordx4 v[32:33], v[0:3], off
.LBB307_60:                             ;   in Loop: Header=BB307_5 Depth=1
	s_or_b64 exec, exec, s[26:27]
	s_nop 0
	v_mov_b64_e32 v[2:3], v[10:11]
	v_mov_b64_e32 v[0:1], v[8:9]
                                        ; implicit-def: $vgpr4_vgpr5
                                        ; implicit-def: $vgpr8_vgpr9
                                        ; implicit-def: $vgpr48_vgpr49
                                        ; implicit-def: $vgpr50_vgpr51
                                        ; implicit-def: $vgpr46_vgpr47
                                        ; implicit-def: $vgpr18_vgpr19
.LBB307_61:                             ;   in Loop: Header=BB307_5 Depth=1
	s_or_saveexec_b64 s[2:3], s[4:5]
	v_mov_b32_e32 v12, s33
	s_xor_b64 exec, exec, s[2:3]
	s_cbranch_execz .LBB307_4
; %bb.62:                               ;   in Loop: Header=BB307_5 Depth=1
	v_ashrrev_i32_e32 v45, 31, v44
	v_lshl_add_u64 v[28:29], v[44:45], 4, v[42:43]
	v_lshlrev_b64 v[24:25], 4, v[46:47]
	global_load_dwordx4 v[12:15], v[28:29], off
	v_lshl_add_u64 v[30:31], s[12:13], 0, v[24:25]
	global_load_dwordx4 v[20:23], v[30:31], off
	v_mul_f64 v[26:27], v[2:3], v[2:3]
	v_fmac_f64_e32 v[26:27], v[0:1], v[0:1]
	v_fma_f64 v[32:33], 0, v[2:3], v[0:1]
	v_fma_f64 v[2:3], v[0:1], 0, -v[2:3]
	v_div_scale_f64 v[0:1], s[4:5], v[26:27], v[26:27], 1.0
	v_rcp_f64_e32 v[36:37], v[0:1]
	v_lshl_add_u64 v[34:35], v[46:47], 2, s[6:7]
	v_lshl_add_u64 v[38:39], s[14:15], 0, v[24:25]
	v_div_scale_f64 v[24:25], vcc, 1.0, v[26:27], 1.0
	v_fma_f64 v[46:47], -v[0:1], v[36:37], 1.0
	v_fmac_f64_e32 v[36:37], v[36:37], v[46:47]
	v_fma_f64 v[46:47], -v[0:1], v[36:37], 1.0
	v_fmac_f64_e32 v[36:37], v[36:37], v[46:47]
	v_mul_f64 v[46:47], v[24:25], v[36:37]
	v_fma_f64 v[0:1], -v[0:1], v[46:47], v[24:25]
	v_div_fmas_f64 v[0:1], v[0:1], v[36:37], v[46:47]
	v_div_fixup_f64 v[24:25], v[0:1], v[26:27], 1.0
	v_mul_f64 v[2:3], v[2:3], v[24:25]
	v_mul_f64 v[0:1], v[32:33], v[24:25]
	v_mul_f64 v[24:25], v[2:3], -v[18:19]
	v_mul_f64 v[26:27], v[2:3], v[16:17]
	v_fmac_f64_e32 v[24:25], v[16:17], v[0:1]
	v_fmac_f64_e32 v[26:27], v[18:19], v[0:1]
	global_store_dwordx4 v[38:39], v[24:27], off
	s_waitcnt vmcnt(2)
	v_mul_f64 v[16:17], v[2:3], -v[14:15]
	v_mul_f64 v[18:19], v[2:3], v[12:13]
	s_waitcnt vmcnt(1)
	v_mul_f64 v[24:25], v[2:3], -v[22:23]
	v_mul_f64 v[26:27], v[2:3], v[20:21]
	v_fmac_f64_e32 v[16:17], v[12:13], v[0:1]
	v_fmac_f64_e32 v[18:19], v[14:15], v[0:1]
	v_fmac_f64_e32 v[24:25], v[20:21], v[0:1]
	v_fmac_f64_e32 v[26:27], v[22:23], v[0:1]
	global_store_dwordx4 v[28:29], v[16:19], off
	global_store_dwordx4 v[30:31], v[24:27], off
	global_store_dword v[34:35], v61, off
	s_and_saveexec_b64 s[4:5], s[0:1]
	s_cbranch_execz .LBB307_3
; %bb.63:                               ;   in Loop: Header=BB307_5 Depth=1
	v_add_u32_e32 v16, v58, v44
	v_ashrrev_i32_e32 v17, 31, v16
	v_lshl_add_u64 v[20:21], v[16:17], 4, s[10:11]
	global_load_dwordx4 v[16:19], v[20:21], off
	v_mul_f64 v[22:23], v[2:3], v[4:5]
	v_mul_f64 v[24:25], v[2:3], -v[6:7]
	v_fmac_f64_e32 v[22:23], v[6:7], v[0:1]
	v_fmac_f64_e32 v[24:25], v[4:5], v[0:1]
	v_mul_f64 v[4:5], v[22:23], v[14:15]
	v_mul_f64 v[6:7], v[14:15], -v[24:25]
	v_fma_f64 v[4:5], -v[24:25], v[12:13], v[4:5]
	v_fma_f64 v[6:7], -v[22:23], v[12:13], v[6:7]
	s_waitcnt vmcnt(0)
	v_add_f64 v[4:5], v[4:5], v[16:17]
	v_add_f64 v[6:7], v[6:7], v[18:19]
	global_store_dwordx4 v[20:21], v[4:7], off
	s_branch .LBB307_3
.LBB307_64:
	s_or_b64 exec, exec, s[20:21]
.LBB307_65:
	v_subrev_u32_e32 v2, s28, v44
	v_add_u32_e32 v0, v2, v40
	v_ashrrev_i32_e32 v1, 31, v0
	s_waitcnt lgkmcnt(0)
	v_lshl_add_u64 v[0:1], v[0:1], 2, s[6:7]
	buffer_wbl2 sc1
	s_waitcnt vmcnt(0)
	buffer_inv sc1
	global_load_dword v0, v[0:1], off
	s_waitcnt vmcnt(0)
	v_mul_lo_u32 v0, v0, s28
	v_sub_u32_e32 v4, v2, v0
	v_cmp_lt_i32_e32 vcc, -1, v4
	s_and_b64 exec, exec, vcc
	s_cbranch_execz .LBB307_72
; %bb.66:
	v_subrev_u32_e32 v12, s28, v40
	s_lshl_b32 s4, s28, 1
	s_mov_b64 s[0:1], 0
	s_branch .LBB307_68
.LBB307_67:                             ;   in Loop: Header=BB307_68 Depth=1
	s_or_b64 exec, exec, s[2:3]
	v_lshl_add_u64 v[6:7], v[6:7], 4, s[12:13]
	global_load_dwordx4 v[0:3], v[6:7], off
	v_sub_u32_e32 v4, v4, v5
	v_cmp_gt_i32_e32 vcc, 0, v4
	s_or_b64 s[0:1], vcc, s[0:1]
	s_waitcnt vmcnt(0)
	v_add_f64 v[0:1], v[0:1], v[8:9]
	v_add_f64 v[2:3], v[10:11], v[2:3]
	global_store_dwordx4 v[6:7], v[0:3], off
	s_andn2_b64 exec, exec, s[0:1]
	s_cbranch_execz .LBB307_72
.LBB307_68:                             ; =>This Inner Loop Header: Depth=1
	v_add_u32_e32 v6, v4, v40
	v_ashrrev_i32_e32 v7, 31, v6
	v_lshl_add_u64 v[0:1], v[6:7], 2, s[6:7]
	global_load_dword v5, v[0:1], off
	v_lshl_add_u64 v[0:1], v[6:7], 4, s[14:15]
	global_load_dwordx4 v[0:3], v[0:1], off
                                        ; implicit-def: $vgpr10_vgpr11
                                        ; implicit-def: $vgpr8_vgpr9
	s_waitcnt vmcnt(1)
	v_cmp_ne_u32_e32 vcc, 1, v5
	s_and_saveexec_b64 s[2:3], vcc
	s_xor_b64 s[2:3], exec, s[2:3]
	s_cbranch_execz .LBB307_70
; %bb.69:                               ;   in Loop: Header=BB307_68 Depth=1
	v_add_u32_e32 v8, v58, v4
	v_ashrrev_i32_e32 v9, 31, v8
	v_lshlrev_b64 v[14:15], 4, v[8:9]
	v_lshl_add_u64 v[30:31], s[10:11], 0, v[14:15]
	global_load_dwordx4 v[8:11], v[30:31], off
	v_lshl_add_u64 v[32:33], s[12:13], 0, v[14:15]
	v_ashrrev_i32_e32 v5, 31, v4
	global_load_dwordx4 v[14:17], v[32:33], off
	v_lshl_add_u64 v[34:35], v[4:5], 4, v[42:43]
	global_load_dwordx4 v[18:21], v[34:35], off
	v_lshl_add_u64 v[36:37], v[6:7], 4, s[12:13]
	global_load_dwordx4 v[22:25], v[36:37], off
	v_add_u32_e32 v38, v12, v4
	v_ashrrev_i32_e32 v39, 31, v38
	v_lshlrev_b64 v[44:45], 4, v[38:39]
	v_lshl_add_u64 v[6:7], s[14:15], 0, v[44:45]
	global_load_dwordx4 v[26:29], v[6:7], off
	s_waitcnt vmcnt(4)
	v_mul_f64 v[6:7], v[2:3], v[10:11]
	v_mul_f64 v[10:11], v[10:11], -v[0:1]
	v_fma_f64 v[6:7], -v[0:1], v[8:9], v[6:7]
	s_waitcnt vmcnt(3)
	v_mul_f64 v[46:47], v[2:3], v[16:17]
	v_mul_f64 v[16:17], v[16:17], -v[0:1]
	v_fma_f64 v[8:9], -v[2:3], v[8:9], v[10:11]
	v_fma_f64 v[10:11], -v[0:1], v[14:15], v[46:47]
	;; [unrolled: 1-line block ×3, first 2 shown]
	s_waitcnt vmcnt(2)
	v_add_f64 v[0:1], v[18:19], v[6:7]
	v_add_f64 v[2:3], v[8:9], v[20:21]
	global_store_dwordx4 v[34:35], v[0:3], off
	s_waitcnt vmcnt(2)
	v_add_f64 v[6:7], v[22:23], v[10:11]
	v_add_f64 v[8:9], v[14:15], v[24:25]
	global_load_dwordx4 v[0:3], v[30:31], off
	v_lshl_add_u64 v[18:19], s[10:11], 0, v[44:45]
	global_store_dwordx4 v[36:37], v[6:9], off
	global_load_dwordx4 v[6:9], v[32:33], off
	s_waitcnt vmcnt(0)
	v_mul_f64 v[20:21], v[28:29], v[8:9]
	global_load_dwordx4 v[14:17], v[18:19], off
	v_mul_f64 v[10:11], v[28:29], v[2:3]
	v_mul_f64 v[2:3], v[2:3], -v[26:27]
	v_fma_f64 v[24:25], -v[26:27], v[0:1], v[10:11]
	v_fma_f64 v[2:3], -v[28:29], v[0:1], v[2:3]
	v_mul_f64 v[22:23], v[8:9], -v[26:27]
	v_fma_f64 v[8:9], -v[26:27], v[6:7], v[20:21]
	v_fma_f64 v[10:11], -v[28:29], v[6:7], v[22:23]
	v_mov_b64_e32 v[6:7], v[38:39]
	s_waitcnt vmcnt(0)
	v_add_f64 v[0:1], v[14:15], v[24:25]
	v_add_f64 v[2:3], v[2:3], v[16:17]
	global_store_dwordx4 v[18:19], v[0:3], off
                                        ; implicit-def: $vgpr2_vgpr3
.LBB307_70:                             ;   in Loop: Header=BB307_68 Depth=1
	s_or_saveexec_b64 s[2:3], s[2:3]
	v_mov_b32_e32 v5, s4
	s_xor_b64 exec, exec, s[2:3]
	s_cbranch_execz .LBB307_67
; %bb.71:                               ;   in Loop: Header=BB307_68 Depth=1
	v_add_u32_e32 v8, v58, v4
	v_ashrrev_i32_e32 v9, 31, v8
	v_lshlrev_b64 v[14:15], 4, v[8:9]
	v_lshl_add_u64 v[8:9], s[10:11], 0, v[14:15]
	global_load_dwordx4 v[8:11], v[8:9], off
	v_lshl_add_u64 v[14:15], s[12:13], 0, v[14:15]
	v_ashrrev_i32_e32 v5, 31, v4
	global_load_dwordx4 v[14:17], v[14:15], off
	v_lshl_add_u64 v[22:23], v[4:5], 4, v[42:43]
	global_load_dwordx4 v[18:21], v[22:23], off
	v_mov_b32_e32 v5, s28
	s_waitcnt vmcnt(2)
	v_mul_f64 v[24:25], v[2:3], v[10:11]
	v_mul_f64 v[10:11], v[10:11], -v[0:1]
	v_fma_f64 v[24:25], -v[0:1], v[8:9], v[24:25]
	s_waitcnt vmcnt(1)
	v_mul_f64 v[26:27], v[2:3], v[16:17]
	v_mul_f64 v[16:17], v[16:17], -v[0:1]
	v_fma_f64 v[28:29], -v[2:3], v[8:9], v[10:11]
	v_fma_f64 v[8:9], -v[0:1], v[14:15], v[26:27]
	;; [unrolled: 1-line block ×3, first 2 shown]
	s_waitcnt vmcnt(0)
	v_add_f64 v[0:1], v[18:19], v[24:25]
	v_add_f64 v[2:3], v[28:29], v[20:21]
	global_store_dwordx4 v[22:23], v[0:3], off
	s_branch .LBB307_67
.LBB307_72:
	s_endpgm
	.section	.rodata,"a",@progbits
	.p2align	6, 0x0
	.amdhsa_kernel _ZN9rocsparseL18gtsv_LBM_wv_kernelILj256ELj16E21rocsparse_complex_numIdEEEviiiPKT1_S5_S5_PS3_S6_S6_Pi
		.amdhsa_group_segment_fixed_size 0
		.amdhsa_private_segment_fixed_size 0
		.amdhsa_kernarg_size 72
		.amdhsa_user_sgpr_count 2
		.amdhsa_user_sgpr_dispatch_ptr 0
		.amdhsa_user_sgpr_queue_ptr 0
		.amdhsa_user_sgpr_kernarg_segment_ptr 1
		.amdhsa_user_sgpr_dispatch_id 0
		.amdhsa_user_sgpr_kernarg_preload_length 0
		.amdhsa_user_sgpr_kernarg_preload_offset 0
		.amdhsa_user_sgpr_private_segment_size 0
		.amdhsa_uses_dynamic_stack 0
		.amdhsa_enable_private_segment 0
		.amdhsa_system_sgpr_workgroup_id_x 1
		.amdhsa_system_sgpr_workgroup_id_y 0
		.amdhsa_system_sgpr_workgroup_id_z 0
		.amdhsa_system_sgpr_workgroup_info 0
		.amdhsa_system_vgpr_workitem_id 0
		.amdhsa_next_free_vgpr 84
		.amdhsa_next_free_sgpr 36
		.amdhsa_accum_offset 84
		.amdhsa_reserve_vcc 1
		.amdhsa_float_round_mode_32 0
		.amdhsa_float_round_mode_16_64 0
		.amdhsa_float_denorm_mode_32 3
		.amdhsa_float_denorm_mode_16_64 3
		.amdhsa_dx10_clamp 1
		.amdhsa_ieee_mode 1
		.amdhsa_fp16_overflow 0
		.amdhsa_tg_split 0
		.amdhsa_exception_fp_ieee_invalid_op 0
		.amdhsa_exception_fp_denorm_src 0
		.amdhsa_exception_fp_ieee_div_zero 0
		.amdhsa_exception_fp_ieee_overflow 0
		.amdhsa_exception_fp_ieee_underflow 0
		.amdhsa_exception_fp_ieee_inexact 0
		.amdhsa_exception_int_div_zero 0
	.end_amdhsa_kernel
	.section	.text._ZN9rocsparseL18gtsv_LBM_wv_kernelILj256ELj16E21rocsparse_complex_numIdEEEviiiPKT1_S5_S5_PS3_S6_S6_Pi,"axG",@progbits,_ZN9rocsparseL18gtsv_LBM_wv_kernelILj256ELj16E21rocsparse_complex_numIdEEEviiiPKT1_S5_S5_PS3_S6_S6_Pi,comdat
.Lfunc_end307:
	.size	_ZN9rocsparseL18gtsv_LBM_wv_kernelILj256ELj16E21rocsparse_complex_numIdEEEviiiPKT1_S5_S5_PS3_S6_S6_Pi, .Lfunc_end307-_ZN9rocsparseL18gtsv_LBM_wv_kernelILj256ELj16E21rocsparse_complex_numIdEEEviiiPKT1_S5_S5_PS3_S6_S6_Pi
                                        ; -- End function
	.set _ZN9rocsparseL18gtsv_LBM_wv_kernelILj256ELj16E21rocsparse_complex_numIdEEEviiiPKT1_S5_S5_PS3_S6_S6_Pi.num_vgpr, 84
	.set _ZN9rocsparseL18gtsv_LBM_wv_kernelILj256ELj16E21rocsparse_complex_numIdEEEviiiPKT1_S5_S5_PS3_S6_S6_Pi.num_agpr, 0
	.set _ZN9rocsparseL18gtsv_LBM_wv_kernelILj256ELj16E21rocsparse_complex_numIdEEEviiiPKT1_S5_S5_PS3_S6_S6_Pi.numbered_sgpr, 36
	.set _ZN9rocsparseL18gtsv_LBM_wv_kernelILj256ELj16E21rocsparse_complex_numIdEEEviiiPKT1_S5_S5_PS3_S6_S6_Pi.num_named_barrier, 0
	.set _ZN9rocsparseL18gtsv_LBM_wv_kernelILj256ELj16E21rocsparse_complex_numIdEEEviiiPKT1_S5_S5_PS3_S6_S6_Pi.private_seg_size, 0
	.set _ZN9rocsparseL18gtsv_LBM_wv_kernelILj256ELj16E21rocsparse_complex_numIdEEEviiiPKT1_S5_S5_PS3_S6_S6_Pi.uses_vcc, 1
	.set _ZN9rocsparseL18gtsv_LBM_wv_kernelILj256ELj16E21rocsparse_complex_numIdEEEviiiPKT1_S5_S5_PS3_S6_S6_Pi.uses_flat_scratch, 0
	.set _ZN9rocsparseL18gtsv_LBM_wv_kernelILj256ELj16E21rocsparse_complex_numIdEEEviiiPKT1_S5_S5_PS3_S6_S6_Pi.has_dyn_sized_stack, 0
	.set _ZN9rocsparseL18gtsv_LBM_wv_kernelILj256ELj16E21rocsparse_complex_numIdEEEviiiPKT1_S5_S5_PS3_S6_S6_Pi.has_recursion, 0
	.set _ZN9rocsparseL18gtsv_LBM_wv_kernelILj256ELj16E21rocsparse_complex_numIdEEEviiiPKT1_S5_S5_PS3_S6_S6_Pi.has_indirect_call, 0
	.section	.AMDGPU.csdata,"",@progbits
; Kernel info:
; codeLenInByte = 6668
; TotalNumSgprs: 42
; NumVgprs: 84
; NumAgprs: 0
; TotalNumVgprs: 84
; ScratchSize: 0
; MemoryBound: 1
; FloatMode: 240
; IeeeMode: 1
; LDSByteSize: 0 bytes/workgroup (compile time only)
; SGPRBlocks: 5
; VGPRBlocks: 10
; NumSGPRsForWavesPerEU: 42
; NumVGPRsForWavesPerEU: 84
; AccumOffset: 84
; Occupancy: 5
; WaveLimiterHint : 0
; COMPUTE_PGM_RSRC2:SCRATCH_EN: 0
; COMPUTE_PGM_RSRC2:USER_SGPR: 2
; COMPUTE_PGM_RSRC2:TRAP_HANDLER: 0
; COMPUTE_PGM_RSRC2:TGID_X_EN: 1
; COMPUTE_PGM_RSRC2:TGID_Y_EN: 0
; COMPUTE_PGM_RSRC2:TGID_Z_EN: 0
; COMPUTE_PGM_RSRC2:TIDIG_COMP_CNT: 0
; COMPUTE_PGM_RSRC3_GFX90A:ACCUM_OFFSET: 20
; COMPUTE_PGM_RSRC3_GFX90A:TG_SPLIT: 0
	.section	.text._ZN9rocsparseL19gtsv_LBM_rhs_kernelILj256ELj16ELj8E21rocsparse_complex_numIdEEEviiiPKT2_S5_S5_PS3_S5_PKi,"axG",@progbits,_ZN9rocsparseL19gtsv_LBM_rhs_kernelILj256ELj16ELj8E21rocsparse_complex_numIdEEEviiiPKT2_S5_S5_PS3_S5_PKi,comdat
	.globl	_ZN9rocsparseL19gtsv_LBM_rhs_kernelILj256ELj16ELj8E21rocsparse_complex_numIdEEEviiiPKT2_S5_S5_PS3_S5_PKi ; -- Begin function _ZN9rocsparseL19gtsv_LBM_rhs_kernelILj256ELj16ELj8E21rocsparse_complex_numIdEEEviiiPKT2_S5_S5_PS3_S5_PKi
	.p2align	8
	.type	_ZN9rocsparseL19gtsv_LBM_rhs_kernelILj256ELj16ELj8E21rocsparse_complex_numIdEEEviiiPKT2_S5_S5_PS3_S5_PKi,@function
_ZN9rocsparseL19gtsv_LBM_rhs_kernelILj256ELj16ELj8E21rocsparse_complex_numIdEEEviiiPKT2_S5_S5_PS3_S5_PKi: ; @_ZN9rocsparseL19gtsv_LBM_rhs_kernelILj256ELj16ELj8E21rocsparse_complex_numIdEEEviiiPKT2_S5_S5_PS3_S5_PKi
; %bb.0:
	s_load_dword s23, s[0:1], 0x0
	v_lshl_or_b32 v44, s2, 8, v0
	s_waitcnt lgkmcnt(0)
	s_lshr_b32 s22, s23, 4
	v_cmp_gt_i32_e32 vcc, s22, v44
	s_and_saveexec_b64 s[4:5], vcc
	s_cbranch_execz .LBB308_29
; %bb.1:
	s_load_dwordx4 s[8:11], s[0:1], 0x28
	s_load_dwordx2 s[6:7], s[0:1], 0x38
	s_cmp_lt_i32 s23, 1
	v_add_u32_e32 v114, s22, v44
	s_mul_i32 s24, s3, s23
	s_cbranch_scc1 .LBB308_21
; %bb.2:
	s_load_dwordx4 s[12:15], s[0:1], 0x10
	s_load_dwordx2 s[16:17], s[0:1], 0x20
	v_ashrrev_i32_e32 v45, 31, v44
	s_lshl_b32 s28, s24, 3
	s_add_i32 s29, s28, s23
	s_waitcnt lgkmcnt(0)
	v_lshl_add_u64 v[0:1], v[44:45], 4, s[14:15]
	global_load_dwordx4 v[0:3], v[0:1], off
	s_add_i32 s30, s29, s23
	s_add_i32 s31, s30, s23
	;; [unrolled: 1-line block ×5, first 2 shown]
	s_mul_i32 s25, s22, 15
	s_mul_i32 s26, s22, 14
	s_lshl_b32 s27, s22, 1
	v_add_u32_e32 v45, s22, v114
	s_add_i32 s36, s35, s23
	v_mov_b32_e32 v47, 0
	s_mov_b64 s[18:19], 0
	v_mov_b32_e32 v115, 0
	s_branch .LBB308_5
.LBB308_3:                              ;   in Loop: Header=BB308_5 Depth=1
	s_or_b64 exec, exec, s[4:5]
	v_fmac_f64_e32 v[50:51], v[4:5], v[8:9]
	v_fmac_f64_e32 v[48:49], v[6:7], v[8:9]
	v_mul_f64 v[0:1], v[52:53], -v[48:49]
	v_mul_f64 v[2:3], v[52:53], v[50:51]
	v_fmac_f64_e32 v[0:1], v[50:51], v[10:11]
	v_fmac_f64_e32 v[2:3], v[48:49], v[10:11]
	v_add_f64 v[0:1], v[12:13], -v[0:1]
	v_add_f64 v[2:3], v[14:15], -v[2:3]
	v_mov_b32_e32 v10, s22
.LBB308_4:                              ;   in Loop: Header=BB308_5 Depth=1
	s_or_b64 exec, exec, s[2:3]
	v_add_u32_e32 v115, v10, v115
	v_cmp_le_i32_e32 vcc, s23, v115
	s_or_b64 s[18:19], vcc, s[18:19]
	s_andn2_b64 exec, exec, s[18:19]
	s_cbranch_execz .LBB308_20
.LBB308_5:                              ; =>This Inner Loop Header: Depth=1
	v_add_u32_e32 v24, v115, v44
	v_ashrrev_i32_e32 v25, 31, v24
	v_lshl_add_u64 v[4:5], v[24:25], 4, s[16:17]
	global_load_dwordx4 v[8:11], v[4:5], off
	v_cmp_gt_u32_e64 s[0:1], s25, v115
	v_mov_b64_e32 v[12:13], 0
	v_mov_b64_e32 v[4:5], 0
	;; [unrolled: 1-line block ×3, first 2 shown]
	s_and_saveexec_b64 s[2:3], s[0:1]
	s_cbranch_execz .LBB308_7
; %bb.6:                                ;   in Loop: Header=BB308_5 Depth=1
	v_add_u32_e32 v4, v114, v115
	v_ashrrev_i32_e32 v5, 31, v4
	v_lshl_add_u64 v[4:5], v[4:5], 4, s[12:13]
	global_load_dwordx4 v[4:7], v[4:5], off
.LBB308_7:                              ;   in Loop: Header=BB308_5 Depth=1
	s_or_b64 exec, exec, s[2:3]
	v_mov_b64_e32 v[14:15], 0
	s_and_saveexec_b64 s[2:3], s[0:1]
	s_cbranch_execz .LBB308_9
; %bb.8:                                ;   in Loop: Header=BB308_5 Depth=1
	v_add_u32_e32 v12, v114, v115
	v_ashrrev_i32_e32 v13, 31, v12
	v_lshl_add_u64 v[12:13], v[12:13], 4, s[14:15]
	global_load_dwordx4 v[12:15], v[12:13], off
.LBB308_9:                              ;   in Loop: Header=BB308_5 Depth=1
	s_or_b64 exec, exec, s[2:3]
	v_mov_b64_e32 v[20:21], 0
	v_mov_b64_e32 v[16:17], 0
	;; [unrolled: 1-line block ×3, first 2 shown]
	s_and_saveexec_b64 s[2:3], s[0:1]
	s_cbranch_execz .LBB308_11
; %bb.10:                               ;   in Loop: Header=BB308_5 Depth=1
	v_add_u32_e32 v16, v114, v115
	v_ashrrev_i32_e32 v17, 31, v16
	v_lshl_add_u64 v[16:17], v[16:17], 4, s[16:17]
	global_load_dwordx4 v[16:19], v[16:17], off
.LBB308_11:                             ;   in Loop: Header=BB308_5 Depth=1
	s_or_b64 exec, exec, s[2:3]
	v_cmp_gt_u32_e64 s[2:3], s26, v115
	v_mov_b64_e32 v[22:23], 0
	s_and_saveexec_b64 s[4:5], s[2:3]
	s_cbranch_execz .LBB308_13
; %bb.12:                               ;   in Loop: Header=BB308_5 Depth=1
	v_add_u32_e32 v20, v45, v115
	v_ashrrev_i32_e32 v21, 31, v20
	v_lshl_add_u64 v[20:21], v[20:21], 4, s[12:13]
	global_load_dwordx4 v[20:23], v[20:21], off
.LBB308_13:                             ;   in Loop: Header=BB308_5 Depth=1
	s_or_b64 exec, exec, s[4:5]
	v_lshl_add_u64 v[26:27], v[24:25], 2, s[6:7]
	global_load_dword v25, v[26:27], off
	v_cmp_ne_u32_e32 vcc, s25, v115
	s_waitcnt vmcnt(1)
	v_mul_f64 v[50:51], v[10:11], -v[6:7]
	v_mul_f64 v[48:49], v[10:11], v[4:5]
	v_add_u32_e32 v46, s28, v24
	v_add_u32_e32 v42, s29, v24
	;; [unrolled: 1-line block ×8, first 2 shown]
	s_waitcnt vmcnt(0)
	v_cmp_ne_u32_e64 s[4:5], 1, v25
	s_and_b64 s[4:5], vcc, s[4:5]
	s_and_saveexec_b64 s[20:21], s[4:5]
	s_xor_b64 s[4:5], exec, s[20:21]
	s_cbranch_execz .LBB308_17
; %bb.14:                               ;   in Loop: Header=BB308_5 Depth=1
	v_add_u32_e32 v82, v114, v115
	v_lshl_add_u64 v[34:35], v[46:47], 4, s[8:9]
	v_add_u32_e32 v46, s28, v82
	v_lshl_add_u64 v[54:55], v[46:47], 4, s[8:9]
	global_load_dwordx4 v[24:27], v[34:35], off
	global_load_dwordx4 v[56:59], v[54:55], off
	v_mov_b32_e32 v43, v47
	v_add_u32_e32 v46, s29, v82
	v_lshl_add_u64 v[42:43], v[42:43], 4, s[8:9]
	v_lshl_add_u64 v[72:73], v[46:47], 4, s[8:9]
	global_load_dwordx4 v[60:63], v[42:43], off
	global_load_dwordx4 v[64:67], v[72:73], off
	v_mul_f64 v[68:69], v[14:15], -v[2:3]
	v_mul_f64 v[70:71], v[0:1], v[14:15]
	v_mov_b32_e32 v41, v47
	v_add_u32_e32 v46, s30, v82
	v_fmac_f64_e32 v[50:51], v[4:5], v[8:9]
	v_fmac_f64_e32 v[48:49], v[6:7], v[8:9]
	v_mov_b32_e32 v39, v47
	v_mov_b32_e32 v37, v47
	;; [unrolled: 1-line block ×4, first 2 shown]
	v_fmac_f64_e32 v[68:69], v[0:1], v[12:13]
	v_fmac_f64_e32 v[70:71], v[2:3], v[12:13]
	v_lshl_add_u64 v[52:53], v[40:41], 4, s[8:9]
	v_lshl_add_u64 v[112:113], v[46:47], 4, s[8:9]
	;; [unrolled: 1-line block ×6, first 2 shown]
	v_add_f64 v[28:29], v[68:69], -v[50:51]
	v_add_f64 v[30:31], v[70:71], -v[48:49]
	global_load_dwordx4 v[48:51], v[52:53], off
	global_load_dwordx4 v[76:79], v[40:41], off
	;; [unrolled: 1-line block ×4, first 2 shown]
	v_add_u32_e32 v46, s31, v82
	v_lshl_add_u64 v[110:111], v[46:47], 4, s[8:9]
	global_load_dwordx4 v[124:127], v[110:111], off
	v_add_u32_e32 v46, s33, v82
	v_lshl_add_u64 v[108:109], v[46:47], 4, s[8:9]
	global_load_dwordx4 v[128:131], v[108:109], off
	v_add_u32_e32 v46, s34, v82
	v_mov_b32_e32 v33, v47
	v_lshl_add_u64 v[106:107], v[46:47], 4, s[8:9]
	v_add_u32_e32 v46, s35, v82
	v_lshl_add_u64 v[32:33], v[32:33], 4, s[8:9]
	v_lshl_add_u64 v[104:105], v[46:47], 4, s[8:9]
	v_add_u32_e32 v46, s36, v82
	v_lshl_add_u64 v[102:103], v[46:47], 4, s[8:9]
	global_load_dwordx4 v[132:135], v[32:33], off
	global_load_dwordx4 v[136:139], v[36:37], off
	;; [unrolled: 1-line block ×6, first 2 shown]
	v_mul_f64 v[68:69], v[30:31], v[30:31]
	v_fmac_f64_e32 v[68:69], v[28:29], v[28:29]
	v_fma_f64 v[70:71], 0, v[30:31], v[28:29]
	v_fma_f64 v[30:31], v[28:29], 0, -v[30:31]
	v_div_scale_f64 v[28:29], s[20:21], v[68:69], v[68:69], 1.0
	v_rcp_f64_e32 v[80:81], v[28:29]
	v_div_scale_f64 v[74:75], vcc, 1.0, v[68:69], 1.0
	v_fma_f64 v[82:83], -v[28:29], v[80:81], 1.0
	v_fmac_f64_e32 v[80:81], v[80:81], v[82:83]
	v_fma_f64 v[82:83], -v[28:29], v[80:81], 1.0
	v_fmac_f64_e32 v[80:81], v[80:81], v[82:83]
	v_mul_f64 v[82:83], v[74:75], v[80:81]
	v_fma_f64 v[28:29], -v[28:29], v[82:83], v[74:75]
	v_div_fmas_f64 v[28:29], v[28:29], v[80:81], v[82:83]
	v_div_fixup_f64 v[68:69], v[28:29], v[68:69], 1.0
	v_mul_f64 v[30:31], v[30:31], v[68:69]
	v_mul_f64 v[28:29], v[70:71], v[68:69]
	s_waitcnt vmcnt(15)
	v_mul_f64 v[96:97], v[30:31], v[24:25]
	s_waitcnt vmcnt(14)
	v_mul_f64 v[98:99], v[30:31], v[56:57]
	v_mul_f64 v[84:85], v[30:31], -v[26:27]
	v_fmac_f64_e32 v[96:97], v[26:27], v[28:29]
	v_mul_f64 v[88:89], v[30:31], -v[58:59]
	v_fmac_f64_e32 v[98:99], v[58:59], v[28:29]
	v_fmac_f64_e32 v[84:85], v[24:25], v[28:29]
	v_mul_f64 v[24:25], v[96:97], -v[14:15]
	v_mul_f64 v[26:27], v[12:13], v[96:97]
	v_fmac_f64_e32 v[88:89], v[56:57], v[28:29]
	v_mul_f64 v[56:57], v[98:99], -v[10:11]
	v_mul_f64 v[58:59], v[8:9], v[98:99]
	v_fmac_f64_e32 v[24:25], v[12:13], v[84:85]
	v_fmac_f64_e32 v[26:27], v[14:15], v[84:85]
	v_fmac_f64_e32 v[56:57], v[8:9], v[88:89]
	v_fmac_f64_e32 v[58:59], v[10:11], v[88:89]
	s_waitcnt vmcnt(13)
	v_mul_f64 v[80:81], v[30:31], v[60:61]
	s_waitcnt vmcnt(12)
	v_mul_f64 v[82:83], v[30:31], v[64:65]
	v_add_f64 v[24:25], v[24:25], -v[56:57]
	v_add_f64 v[26:27], v[26:27], -v[58:59]
	v_mul_f64 v[70:71], v[30:31], -v[62:63]
	v_fmac_f64_e32 v[80:81], v[62:63], v[28:29]
	v_mul_f64 v[74:75], v[30:31], -v[66:67]
	v_fmac_f64_e32 v[82:83], v[66:67], v[28:29]
	global_store_dwordx4 v[34:35], v[24:27], off
	v_fmac_f64_e32 v[70:71], v[60:61], v[28:29]
	v_fmac_f64_e32 v[74:75], v[64:65], v[28:29]
	v_mul_f64 v[24:25], v[80:81], -v[14:15]
	v_mul_f64 v[26:27], v[12:13], v[80:81]
	v_mul_f64 v[34:35], v[82:83], -v[10:11]
	v_mul_f64 v[56:57], v[8:9], v[82:83]
	v_fmac_f64_e32 v[24:25], v[12:13], v[70:71]
	v_fmac_f64_e32 v[26:27], v[14:15], v[70:71]
	;; [unrolled: 1-line block ×4, first 2 shown]
	s_waitcnt vmcnt(12)
	v_mul_f64 v[92:93], v[30:31], v[48:49]
	s_waitcnt vmcnt(9)
	v_mul_f64 v[94:95], v[30:31], v[120:121]
	v_add_f64 v[24:25], v[24:25], -v[34:35]
	v_add_f64 v[26:27], v[26:27], -v[56:57]
	v_mul_f64 v[86:87], v[30:31], -v[50:51]
	v_fmac_f64_e32 v[92:93], v[50:51], v[28:29]
	v_mul_f64 v[90:91], v[30:31], -v[122:123]
	v_fmac_f64_e32 v[94:95], v[122:123], v[28:29]
	global_store_dwordx4 v[42:43], v[24:27], off
	v_fmac_f64_e32 v[86:87], v[48:49], v[28:29]
	v_fmac_f64_e32 v[90:91], v[120:121], v[28:29]
	v_mul_f64 v[24:25], v[92:93], -v[14:15]
	v_mul_f64 v[26:27], v[12:13], v[92:93]
	v_mul_f64 v[34:35], v[94:95], -v[10:11]
	v_mul_f64 v[42:43], v[8:9], v[94:95]
	v_fmac_f64_e32 v[24:25], v[12:13], v[86:87]
	v_fmac_f64_e32 v[26:27], v[14:15], v[86:87]
	v_fmac_f64_e32 v[34:35], v[8:9], v[90:91]
	v_fmac_f64_e32 v[42:43], v[10:11], v[90:91]
	v_mul_f64 v[58:59], v[30:31], v[76:77]
	s_waitcnt vmcnt(9)
	v_mul_f64 v[62:63], v[30:31], v[124:125]
	v_add_f64 v[24:25], v[24:25], -v[34:35]
	v_add_f64 v[26:27], v[26:27], -v[42:43]
	v_mul_f64 v[48:49], v[30:31], -v[78:79]
	v_fmac_f64_e32 v[58:59], v[78:79], v[28:29]
	v_mul_f64 v[50:51], v[30:31], -v[126:127]
	v_fmac_f64_e32 v[62:63], v[126:127], v[28:29]
	global_store_dwordx4 v[52:53], v[24:27], off
	v_fmac_f64_e32 v[48:49], v[76:77], v[28:29]
	v_fmac_f64_e32 v[50:51], v[124:125], v[28:29]
	v_mul_f64 v[24:25], v[58:59], -v[14:15]
	v_mul_f64 v[26:27], v[12:13], v[58:59]
	v_mul_f64 v[34:35], v[62:63], -v[10:11]
	v_mul_f64 v[42:43], v[8:9], v[62:63]
	v_fmac_f64_e32 v[24:25], v[12:13], v[48:49]
	v_fmac_f64_e32 v[26:27], v[14:15], v[48:49]
	v_fmac_f64_e32 v[34:35], v[8:9], v[50:51]
	v_fmac_f64_e32 v[42:43], v[10:11], v[50:51]
	v_mul_f64 v[76:77], v[30:31], v[116:117]
	s_waitcnt vmcnt(9)
	v_mul_f64 v[78:79], v[30:31], v[128:129]
	v_add_f64 v[24:25], v[24:25], -v[34:35]
	v_add_f64 v[26:27], v[26:27], -v[42:43]
	v_mul_f64 v[66:67], v[30:31], -v[118:119]
	v_fmac_f64_e32 v[76:77], v[118:119], v[28:29]
	v_mul_f64 v[68:69], v[30:31], -v[130:131]
	v_fmac_f64_e32 v[78:79], v[130:131], v[28:29]
	global_store_dwordx4 v[40:41], v[24:27], off
	v_fmac_f64_e32 v[66:67], v[116:117], v[28:29]
	v_fmac_f64_e32 v[68:69], v[128:129], v[28:29]
	v_mul_f64 v[24:25], v[76:77], -v[14:15]
	v_mul_f64 v[26:27], v[12:13], v[76:77]
	v_mul_f64 v[34:35], v[78:79], -v[10:11]
	v_mul_f64 v[40:41], v[8:9], v[78:79]
	v_fmac_f64_e32 v[24:25], v[12:13], v[66:67]
	v_fmac_f64_e32 v[26:27], v[14:15], v[66:67]
	v_fmac_f64_e32 v[34:35], v[8:9], v[68:69]
	v_fmac_f64_e32 v[40:41], v[10:11], v[68:69]
	s_waitcnt vmcnt(9)
	v_mul_f64 v[60:61], v[30:31], v[132:133]
	s_waitcnt vmcnt(6)
	v_mul_f64 v[64:65], v[30:31], v[144:145]
	v_add_f64 v[24:25], v[24:25], -v[34:35]
	v_add_f64 v[26:27], v[26:27], -v[40:41]
	v_mul_f64 v[52:53], v[30:31], -v[134:135]
	v_fmac_f64_e32 v[60:61], v[134:135], v[28:29]
	v_mul_f64 v[56:57], v[30:31], -v[146:147]
	v_fmac_f64_e32 v[64:65], v[146:147], v[28:29]
	global_store_dwordx4 v[38:39], v[24:27], off
	v_fmac_f64_e32 v[52:53], v[132:133], v[28:29]
	v_fmac_f64_e32 v[56:57], v[144:145], v[28:29]
	v_mul_f64 v[24:25], v[60:61], -v[14:15]
	v_mul_f64 v[26:27], v[12:13], v[60:61]
	v_mul_f64 v[34:35], v[64:65], -v[10:11]
	v_mul_f64 v[38:39], v[8:9], v[64:65]
	v_fmac_f64_e32 v[24:25], v[12:13], v[52:53]
	v_fmac_f64_e32 v[26:27], v[14:15], v[52:53]
	;; [unrolled: 1-line block ×4, first 2 shown]
	v_add_f64 v[24:25], v[24:25], -v[34:35]
	v_add_f64 v[26:27], v[26:27], -v[38:39]
	v_mul_f64 v[40:41], v[30:31], v[136:137]
	s_waitcnt vmcnt(6)
	v_mul_f64 v[42:43], v[30:31], v[148:149]
	global_store_dwordx4 v[32:33], v[24:27], off
	v_mul_f64 v[32:33], v[30:31], -v[138:139]
	v_fmac_f64_e32 v[40:41], v[138:139], v[28:29]
	v_mul_f64 v[34:35], v[30:31], -v[150:151]
	v_fmac_f64_e32 v[42:43], v[150:151], v[28:29]
	v_fmac_f64_e32 v[32:33], v[136:137], v[28:29]
	;; [unrolled: 1-line block ×3, first 2 shown]
	v_mul_f64 v[24:25], v[40:41], -v[14:15]
	v_mul_f64 v[26:27], v[12:13], v[40:41]
	v_mul_f64 v[38:39], v[42:43], -v[10:11]
	v_mul_f64 v[116:117], v[8:9], v[42:43]
	v_fmac_f64_e32 v[24:25], v[12:13], v[32:33]
	v_fmac_f64_e32 v[26:27], v[14:15], v[32:33]
	;; [unrolled: 1-line block ×4, first 2 shown]
	v_add_f64 v[24:25], v[24:25], -v[38:39]
	v_add_f64 v[26:27], v[26:27], -v[116:117]
	global_store_dwordx4 v[36:37], v[24:27], off
	v_mul_f64 v[36:37], v[30:31], v[140:141]
	v_fmac_f64_e32 v[36:37], v[142:143], v[28:29]
	v_mul_f64 v[24:25], v[30:31], -v[142:143]
	v_fmac_f64_e32 v[24:25], v[140:141], v[28:29]
	s_waitcnt vmcnt(7)
	v_mul_f64 v[38:39], v[30:31], v[152:153]
	v_mul_f64 v[116:117], v[36:37], -v[14:15]
	v_mul_f64 v[26:27], v[30:31], -v[154:155]
	v_fmac_f64_e32 v[38:39], v[154:155], v[28:29]
	v_fmac_f64_e32 v[116:117], v[12:13], v[24:25]
	v_mul_f64 v[12:13], v[12:13], v[36:37]
	v_fmac_f64_e32 v[26:27], v[152:153], v[28:29]
	v_fmac_f64_e32 v[12:13], v[14:15], v[24:25]
	v_mul_f64 v[14:15], v[38:39], -v[10:11]
	v_mul_f64 v[118:119], v[8:9], v[38:39]
	v_fmac_f64_e32 v[14:15], v[8:9], v[26:27]
	v_fmac_f64_e32 v[118:119], v[10:11], v[26:27]
	v_add_f64 v[8:9], v[116:117], -v[14:15]
	v_add_f64 v[10:11], v[12:13], -v[118:119]
	global_store_dwordx4 v[100:101], v[8:11], off
	v_mul_f64 v[12:13], v[98:99], -v[2:3]
	v_mul_f64 v[14:15], v[0:1], v[98:99]
	v_mul_f64 v[8:9], v[6:7], v[96:97]
	v_mul_f64 v[10:11], v[96:97], -v[4:5]
	v_fma_f64 v[8:9], -v[4:5], v[84:85], v[8:9]
	v_fma_f64 v[10:11], -v[6:7], v[84:85], v[10:11]
	v_fmac_f64_e32 v[12:13], v[0:1], v[88:89]
	v_fmac_f64_e32 v[14:15], v[2:3], v[88:89]
	v_add_f64 v[8:9], v[8:9], v[12:13]
	v_add_f64 v[10:11], v[10:11], v[14:15]
	global_store_dwordx4 v[54:55], v[8:11], off
	v_mul_f64 v[12:13], v[82:83], -v[2:3]
	v_mul_f64 v[14:15], v[0:1], v[82:83]
	v_mul_f64 v[8:9], v[6:7], v[80:81]
	v_mul_f64 v[10:11], v[80:81], -v[4:5]
	v_fma_f64 v[8:9], -v[4:5], v[70:71], v[8:9]
	v_fma_f64 v[10:11], -v[6:7], v[70:71], v[10:11]
	v_fmac_f64_e32 v[12:13], v[0:1], v[74:75]
	v_fmac_f64_e32 v[14:15], v[2:3], v[74:75]
	v_add_f64 v[8:9], v[8:9], v[12:13]
	v_add_f64 v[10:11], v[10:11], v[14:15]
	;; [unrolled: 11-line block ×8, first 2 shown]
	global_store_dwordx4 v[102:103], v[8:11], off
	s_nop 1
	v_mov_b64_e32 v[10:11], 0
	v_mov_b64_e32 v[8:9], 0
	s_and_saveexec_b64 s[20:21], s[2:3]
	s_cbranch_execz .LBB308_16
; %bb.15:                               ;   in Loop: Header=BB308_5 Depth=1
	v_add_u32_e32 v12, v45, v115
	v_add_u32_e32 v46, s28, v12
	v_lshl_add_u64 v[14:15], v[46:47], 4, s[8:9]
	global_load_dwordx4 v[100:103], v[14:15], off
	v_mul_f64 v[54:55], v[6:7], v[22:23]
	v_mul_f64 v[72:73], v[22:23], -v[4:5]
	v_mul_f64 v[8:9], v[22:23], -v[2:3]
	v_mul_f64 v[10:11], v[0:1], v[22:23]
	v_fma_f64 v[4:5], -v[4:5], v[20:21], v[54:55]
	v_fma_f64 v[6:7], -v[6:7], v[20:21], v[72:73]
	v_fmac_f64_e32 v[8:9], v[0:1], v[20:21]
	v_fmac_f64_e32 v[10:11], v[2:3], v[20:21]
	v_mul_f64 v[54:55], v[6:7], v[96:97]
	v_mul_f64 v[72:73], v[96:97], -v[4:5]
	v_mul_f64 v[96:97], v[98:99], -v[10:11]
	v_mul_f64 v[98:99], v[8:9], v[98:99]
	v_add_u32_e32 v46, s29, v12
	v_fma_f64 v[54:55], -v[4:5], v[84:85], v[54:55]
	v_fma_f64 v[72:73], -v[6:7], v[84:85], v[72:73]
	v_fmac_f64_e32 v[96:97], v[8:9], v[88:89]
	v_fmac_f64_e32 v[98:99], v[10:11], v[88:89]
	v_lshl_add_u64 v[84:85], v[46:47], 4, s[8:9]
	v_add_f64 v[54:55], v[54:55], -v[96:97]
	v_add_f64 v[72:73], v[72:73], -v[98:99]
	v_add_u32_e32 v46, s30, v12
	global_load_dwordx4 v[96:99], v[84:85], off
	v_lshl_add_u64 v[88:89], v[46:47], 4, s[8:9]
	v_mul_f64 v[104:105], v[94:95], -v[10:11]
	v_mul_f64 v[94:95], v[8:9], v[94:95]
	v_fmac_f64_e32 v[104:105], v[8:9], v[90:91]
	v_fmac_f64_e32 v[94:95], v[10:11], v[90:91]
	v_add_u32_e32 v46, s31, v12
	v_ashrrev_i32_e32 v13, 31, v12
	s_waitcnt vmcnt(1)
	v_add_f64 v[100:101], v[54:55], v[100:101]
	v_add_f64 v[102:103], v[72:73], v[102:103]
	global_store_dwordx4 v[14:15], v[100:103], off
	global_load_dwordx4 v[100:103], v[88:89], off
	v_mul_f64 v[14:15], v[6:7], v[80:81]
	v_mul_f64 v[54:55], v[80:81], -v[4:5]
	v_mul_f64 v[72:73], v[82:83], -v[10:11]
	v_mul_f64 v[80:81], v[8:9], v[82:83]
	v_mul_f64 v[82:83], v[6:7], v[92:93]
	v_fma_f64 v[14:15], -v[4:5], v[70:71], v[14:15]
	v_fma_f64 v[54:55], -v[6:7], v[70:71], v[54:55]
	v_fmac_f64_e32 v[72:73], v[8:9], v[74:75]
	v_fmac_f64_e32 v[80:81], v[10:11], v[74:75]
	v_mul_f64 v[92:93], v[92:93], -v[4:5]
	v_fma_f64 v[70:71], -v[4:5], v[86:87], v[82:83]
	v_add_f64 v[14:15], v[14:15], -v[72:73]
	v_add_f64 v[54:55], v[54:55], -v[80:81]
	v_fma_f64 v[74:75], -v[6:7], v[86:87], v[92:93]
	v_add_f64 v[80:81], v[70:71], -v[104:105]
	v_add_f64 v[74:75], v[74:75], -v[94:95]
	v_lshl_add_u64 v[86:87], v[46:47], 4, s[8:9]
	v_add_u32_e32 v46, s33, v12
	s_waitcnt vmcnt(2)
	v_add_f64 v[70:71], v[14:15], v[96:97]
	v_add_f64 v[72:73], v[54:55], v[98:99]
	global_store_dwordx4 v[84:85], v[70:73], off
	global_load_dwordx4 v[70:73], v[86:87], off
	v_lshl_add_u64 v[90:91], v[46:47], 4, s[8:9]
	v_mul_f64 v[14:15], v[6:7], v[58:59]
	v_mul_f64 v[54:55], v[58:59], -v[4:5]
	v_mul_f64 v[58:59], v[62:63], -v[10:11]
	v_mul_f64 v[62:63], v[8:9], v[62:63]
	v_mul_f64 v[84:85], v[78:79], -v[10:11]
	v_mul_f64 v[78:79], v[8:9], v[78:79]
	v_fma_f64 v[14:15], -v[4:5], v[48:49], v[14:15]
	v_fma_f64 v[48:49], -v[6:7], v[48:49], v[54:55]
	v_fmac_f64_e32 v[58:59], v[8:9], v[50:51]
	v_fmac_f64_e32 v[62:63], v[10:11], v[50:51]
	;; [unrolled: 1-line block ×4, first 2 shown]
	v_add_f64 v[14:15], v[14:15], -v[58:59]
	v_add_f64 v[58:59], v[48:49], -v[62:63]
	v_add_u32_e32 v46, s34, v12
	s_waitcnt vmcnt(2)
	v_add_f64 v[80:81], v[80:81], v[100:101]
	v_add_f64 v[82:83], v[74:75], v[102:103]
	global_store_dwordx4 v[88:89], v[80:83], off
	global_load_dwordx4 v[80:83], v[90:91], off
	v_mul_f64 v[74:75], v[6:7], v[76:77]
	v_mul_f64 v[76:77], v[76:77], -v[4:5]
	v_fma_f64 v[50:51], -v[4:5], v[66:67], v[74:75]
	v_fma_f64 v[54:55], -v[6:7], v[66:67], v[76:77]
	v_add_f64 v[62:63], v[50:51], -v[84:85]
	v_add_f64 v[54:55], v[54:55], -v[78:79]
	v_lshl_add_u64 v[66:67], v[46:47], 4, s[8:9]
	v_add_u32_e32 v46, s35, v12
	s_waitcnt vmcnt(2)
	v_add_f64 v[48:49], v[14:15], v[70:71]
	v_add_f64 v[50:51], v[58:59], v[72:73]
	global_store_dwordx4 v[86:87], v[48:51], off
	v_mul_f64 v[14:15], v[6:7], v[60:61]
	v_mul_f64 v[58:59], v[64:65], -v[10:11]
	v_fma_f64 v[14:15], -v[4:5], v[52:53], v[14:15]
	v_fmac_f64_e32 v[58:59], v[8:9], v[56:57]
	v_add_f64 v[14:15], v[14:15], -v[58:59]
	s_waitcnt vmcnt(1)
	v_add_f64 v[48:49], v[62:63], v[80:81]
	v_add_f64 v[50:51], v[54:55], v[82:83]
	global_store_dwordx4 v[90:91], v[48:51], off
	global_load_dwordx4 v[48:51], v[66:67], off
	v_mul_f64 v[54:55], v[60:61], -v[4:5]
	v_mul_f64 v[60:61], v[8:9], v[64:65]
	v_fma_f64 v[52:53], -v[6:7], v[52:53], v[54:55]
	v_fmac_f64_e32 v[60:61], v[10:11], v[56:57]
	v_add_f64 v[52:53], v[52:53], -v[60:61]
	v_lshl_add_u64 v[54:55], v[46:47], 4, s[8:9]
	v_lshl_add_u64 v[56:57], v[12:13], 4, s[14:15]
	v_add_u32_e32 v46, s36, v12
	s_waitcnt vmcnt(0)
	v_add_f64 v[48:49], v[14:15], v[48:49]
	v_add_f64 v[50:51], v[52:53], v[50:51]
	global_store_dwordx4 v[66:67], v[48:51], off
	global_load_dwordx4 v[48:51], v[54:55], off
	v_mul_f64 v[14:15], v[6:7], v[40:41]
	v_mul_f64 v[40:41], v[40:41], -v[4:5]
	v_mul_f64 v[52:53], v[42:43], -v[10:11]
	v_mul_f64 v[42:43], v[8:9], v[42:43]
	v_fma_f64 v[14:15], -v[4:5], v[32:33], v[14:15]
	v_fma_f64 v[40:41], -v[6:7], v[32:33], v[40:41]
	v_fmac_f64_e32 v[52:53], v[8:9], v[34:35]
	v_fmac_f64_e32 v[42:43], v[10:11], v[34:35]
	v_add_f64 v[14:15], v[14:15], -v[52:53]
	v_add_f64 v[40:41], v[40:41], -v[42:43]
	v_lshl_add_u64 v[42:43], v[46:47], 4, s[8:9]
	global_load_dwordx4 v[32:35], v[56:57], off
	s_waitcnt vmcnt(1)
	v_add_f64 v[12:13], v[14:15], v[48:49]
	v_add_f64 v[14:15], v[40:41], v[50:51]
	global_store_dwordx4 v[54:55], v[12:15], off
	global_load_dwordx4 v[12:15], v[42:43], off
	v_mul_f64 v[40:41], v[2:3], -v[22:23]
	v_mul_f64 v[2:3], v[2:3], v[20:21]
	v_fmac_f64_e32 v[40:41], v[20:21], v[0:1]
	v_fmac_f64_e32 v[2:3], v[22:23], v[0:1]
	v_mul_f64 v[0:1], v[6:7], v[36:37]
	v_mul_f64 v[20:21], v[36:37], -v[4:5]
	v_mul_f64 v[22:23], v[38:39], -v[10:11]
	v_mul_f64 v[36:37], v[8:9], v[38:39]
	v_mul_f64 v[38:39], v[18:19], -v[2:3]
	v_mul_f64 v[18:19], v[18:19], v[40:41]
	v_fma_f64 v[0:1], -v[4:5], v[24:25], v[0:1]
	v_fma_f64 v[4:5], -v[6:7], v[24:25], v[20:21]
	v_fmac_f64_e32 v[36:37], v[10:11], v[26:27]
	v_fmac_f64_e32 v[38:39], v[40:41], v[16:17]
	v_fmac_f64_e32 v[18:19], v[2:3], v[16:17]
	v_fmac_f64_e32 v[22:23], v[8:9], v[26:27]
	v_add_f64 v[2:3], v[4:5], -v[36:37]
	v_mul_f64 v[4:5], v[30:31], -v[18:19]
	v_mul_f64 v[6:7], v[30:31], v[38:39]
	v_add_f64 v[0:1], v[0:1], -v[22:23]
	v_fmac_f64_e32 v[4:5], v[38:39], v[28:29]
	v_fmac_f64_e32 v[6:7], v[18:19], v[28:29]
	s_waitcnt vmcnt(2)
	v_add_f64 v[8:9], v[32:33], -v[4:5]
	v_add_f64 v[10:11], v[34:35], -v[6:7]
	s_waitcnt vmcnt(0)
	v_add_f64 v[0:1], v[0:1], v[12:13]
	v_add_f64 v[2:3], v[2:3], v[14:15]
	global_store_dwordx4 v[42:43], v[0:3], off
.LBB308_16:                             ;   in Loop: Header=BB308_5 Depth=1
	s_or_b64 exec, exec, s[20:21]
	s_nop 0
	v_mov_b64_e32 v[2:3], v[10:11]
	v_mov_b64_e32 v[0:1], v[8:9]
                                        ; implicit-def: $vgpr4_vgpr5
                                        ; implicit-def: $vgpr12_vgpr13
                                        ; implicit-def: $vgpr8_vgpr9
                                        ; implicit-def: $vgpr50_vgpr51
                                        ; implicit-def: $vgpr48_vgpr49
                                        ; implicit-def: $vgpr42
                                        ; implicit-def: $vgpr40
                                        ; implicit-def: $vgpr38
                                        ; implicit-def: $vgpr36
                                        ; implicit-def: $vgpr32
                                        ; implicit-def: $vgpr30
                                        ; implicit-def: $vgpr28
.LBB308_17:                             ;   in Loop: Header=BB308_5 Depth=1
	s_or_saveexec_b64 s[2:3], s[4:5]
	v_mov_b32_e32 v10, s27
	s_xor_b64 exec, exec, s[2:3]
	s_cbranch_execz .LBB308_4
; %bb.18:                               ;   in Loop: Header=BB308_5 Depth=1
	v_mov_b32_e32 v41, v47
	v_mov_b32_e32 v37, v47
	;; [unrolled: 1-line block ×4, first 2 shown]
	v_lshl_add_u64 v[82:83], v[46:47], 4, s[8:9]
	v_mov_b32_e32 v43, v47
	v_lshl_add_u64 v[86:87], v[40:41], 4, s[8:9]
	v_mov_b32_e32 v39, v47
	;; [unrolled: 2-line block ×3, first 2 shown]
	v_lshl_add_u64 v[94:95], v[30:31], 4, s[8:9]
	v_lshl_add_u64 v[96:97], v[28:29], 4, s[8:9]
	;; [unrolled: 1-line block ×3, first 2 shown]
	global_load_dwordx4 v[16:19], v[82:83], off
	global_load_dwordx4 v[54:57], v[84:85], off
	v_lshl_add_u64 v[88:89], v[38:39], 4, s[8:9]
	global_load_dwordx4 v[58:61], v[86:87], off
	global_load_dwordx4 v[62:65], v[88:89], off
	v_lshl_add_u64 v[92:93], v[32:33], 4, s[8:9]
	global_load_dwordx4 v[66:69], v[90:91], off
	global_load_dwordx4 v[70:73], v[92:93], off
	;; [unrolled: 1-line block ×4, first 2 shown]
	v_mul_f64 v[10:11], v[2:3], v[2:3]
	v_fmac_f64_e32 v[10:11], v[0:1], v[0:1]
	v_div_scale_f64 v[22:23], s[4:5], v[10:11], v[10:11], 1.0
	v_rcp_f64_e32 v[24:25], v[22:23]
	v_fma_f64 v[20:21], 0, v[2:3], v[0:1]
	v_fma_f64 v[0:1], v[0:1], 0, -v[2:3]
	v_div_scale_f64 v[2:3], vcc, 1.0, v[10:11], 1.0
	v_fma_f64 v[26:27], -v[22:23], v[24:25], 1.0
	v_fmac_f64_e32 v[24:25], v[24:25], v[26:27]
	v_fma_f64 v[26:27], -v[22:23], v[24:25], 1.0
	v_fmac_f64_e32 v[24:25], v[24:25], v[26:27]
	v_mul_f64 v[26:27], v[2:3], v[24:25]
	v_fma_f64 v[2:3], -v[22:23], v[26:27], v[2:3]
	v_div_fmas_f64 v[2:3], v[2:3], v[24:25], v[26:27]
	v_div_fixup_f64 v[2:3], v[2:3], v[10:11], 1.0
	v_mul_f64 v[52:53], v[0:1], v[2:3]
	v_mul_f64 v[10:11], v[20:21], v[2:3]
	s_waitcnt vmcnt(7)
	v_mul_f64 v[40:41], v[52:53], -v[18:19]
	v_mul_f64 v[42:43], v[52:53], v[16:17]
	v_fmac_f64_e32 v[40:41], v[16:17], v[10:11]
	v_fmac_f64_e32 v[42:43], v[18:19], v[10:11]
	s_waitcnt vmcnt(6)
	v_mul_f64 v[36:37], v[52:53], -v[56:57]
	v_mul_f64 v[38:39], v[52:53], v[54:55]
	s_waitcnt vmcnt(5)
	v_mul_f64 v[32:33], v[52:53], -v[60:61]
	v_mul_f64 v[34:35], v[52:53], v[58:59]
	;; [unrolled: 3-line block ×7, first 2 shown]
	v_fmac_f64_e32 v[36:37], v[54:55], v[10:11]
	v_fmac_f64_e32 v[38:39], v[56:57], v[10:11]
	;; [unrolled: 1-line block ×14, first 2 shown]
	global_store_dwordx4 v[82:83], v[40:43], off
	global_store_dwordx4 v[84:85], v[36:39], off
	;; [unrolled: 1-line block ×8, first 2 shown]
	s_and_saveexec_b64 s[4:5], s[0:1]
	s_cbranch_execz .LBB308_3
; %bb.19:                               ;   in Loop: Header=BB308_5 Depth=1
	v_add_u32_e32 v70, v114, v115
	v_add_u32_e32 v46, s28, v70
	v_lshl_add_u64 v[62:63], v[46:47], 4, s[8:9]
	global_load_dwordx4 v[54:57], v[62:63], off
	v_add_u32_e32 v46, s29, v70
	v_lshl_add_u64 v[64:65], v[46:47], 4, s[8:9]
	global_load_dwordx4 v[58:61], v[64:65], off
	v_add_u32_e32 v46, s30, v70
	v_lshl_add_u64 v[66:67], v[46:47], 4, s[8:9]
	v_add_u32_e32 v46, s31, v70
	s_waitcnt vmcnt(1)
	v_fma_f64 v[54:55], -v[4:5], v[40:41], v[54:55]
	v_fma_f64 v[40:41], -v[6:7], v[40:41], v[56:57]
	v_fmac_f64_e32 v[54:55], v[6:7], v[42:43]
	v_fma_f64 v[56:57], -v[4:5], v[42:43], v[40:41]
	global_store_dwordx4 v[62:63], v[54:57], off
	global_load_dwordx4 v[40:43], v[66:67], off
	v_lshl_add_u64 v[62:63], v[46:47], 4, s[8:9]
	s_waitcnt vmcnt(2)
	v_fma_f64 v[54:55], -v[4:5], v[36:37], v[58:59]
	v_fma_f64 v[36:37], -v[6:7], v[36:37], v[60:61]
	v_fmac_f64_e32 v[54:55], v[6:7], v[38:39]
	v_fma_f64 v[56:57], -v[4:5], v[38:39], v[36:37]
	global_store_dwordx4 v[64:65], v[54:57], off
	global_load_dwordx4 v[36:39], v[62:63], off
	v_add_u32_e32 v46, s33, v70
	v_lshl_add_u64 v[68:69], v[46:47], 4, s[8:9]
	v_add_u32_e32 v46, s34, v70
	s_waitcnt vmcnt(2)
	v_fma_f64 v[40:41], -v[4:5], v[32:33], v[40:41]
	v_fma_f64 v[32:33], -v[6:7], v[32:33], v[42:43]
	v_fmac_f64_e32 v[40:41], v[6:7], v[34:35]
	v_fma_f64 v[42:43], -v[4:5], v[34:35], v[32:33]
	global_store_dwordx4 v[66:67], v[40:43], off
	global_load_dwordx4 v[32:35], v[68:69], off
	s_waitcnt vmcnt(2)
	v_fma_f64 v[36:37], -v[4:5], v[28:29], v[36:37]
	v_fma_f64 v[28:29], -v[6:7], v[28:29], v[38:39]
	;; [unrolled: 1-line block ×3, first 2 shown]
	v_fmac_f64_e32 v[36:37], v[6:7], v[30:31]
	v_lshl_add_u64 v[40:41], v[46:47], 4, s[8:9]
	global_store_dwordx4 v[62:63], v[36:39], off
	v_add_u32_e32 v46, s35, v70
	s_waitcnt vmcnt(1)
	v_fma_f64 v[28:29], -v[4:5], v[24:25], v[32:33]
	v_fma_f64 v[24:25], -v[6:7], v[24:25], v[34:35]
	v_fmac_f64_e32 v[28:29], v[6:7], v[26:27]
	v_fma_f64 v[30:31], -v[4:5], v[26:27], v[24:25]
	global_store_dwordx4 v[68:69], v[28:31], off
	global_load_dwordx4 v[24:27], v[40:41], off
	s_waitcnt vmcnt(0)
	v_fma_f64 v[24:25], -v[4:5], v[20:21], v[24:25]
	v_fma_f64 v[20:21], -v[6:7], v[20:21], v[26:27]
	v_fmac_f64_e32 v[24:25], v[6:7], v[22:23]
	v_fma_f64 v[26:27], -v[4:5], v[22:23], v[20:21]
	v_lshl_add_u64 v[28:29], v[46:47], 4, s[8:9]
	global_store_dwordx4 v[40:41], v[24:27], off
	global_load_dwordx4 v[20:23], v[28:29], off
	v_add_u32_e32 v46, s36, v70
	v_lshl_add_u64 v[24:25], v[46:47], 4, s[8:9]
	s_waitcnt vmcnt(0)
	v_fma_f64 v[20:21], -v[4:5], v[16:17], v[20:21]
	v_fma_f64 v[16:17], -v[6:7], v[16:17], v[22:23]
	v_fmac_f64_e32 v[20:21], v[6:7], v[18:19]
	v_fma_f64 v[22:23], -v[4:5], v[18:19], v[16:17]
	global_store_dwordx4 v[28:29], v[20:23], off
	global_load_dwordx4 v[16:19], v[24:25], off
	s_waitcnt vmcnt(0)
	v_fma_f64 v[16:17], -v[4:5], v[0:1], v[16:17]
	v_fma_f64 v[0:1], -v[6:7], v[0:1], v[18:19]
	v_fmac_f64_e32 v[16:17], v[6:7], v[2:3]
	v_fma_f64 v[18:19], -v[4:5], v[2:3], v[0:1]
	global_store_dwordx4 v[24:25], v[16:19], off
	s_branch .LBB308_3
.LBB308_20:
	s_or_b64 exec, exec, s[18:19]
	s_branch .LBB308_22
.LBB308_21:
	v_mov_b32_e32 v115, 0
.LBB308_22:
	v_subrev_u32_e32 v2, s22, v115
	v_add_u32_e32 v0, v2, v44
	v_ashrrev_i32_e32 v1, 31, v0
	s_waitcnt lgkmcnt(0)
	v_lshl_add_u64 v[0:1], v[0:1], 2, s[6:7]
	buffer_wbl2 sc1
	s_waitcnt vmcnt(0)
	buffer_inv sc1
	global_load_dword v0, v[0:1], off
	s_waitcnt vmcnt(0)
	v_mul_lo_u32 v0, v0, s22
	v_sub_u32_e32 v36, v2, v0
	v_cmp_lt_i32_e32 vcc, -1, v36
	s_and_b64 exec, exec, vcc
	s_cbranch_execz .LBB308_29
; %bb.23:
	s_lshl_b32 s4, s24, 3
	s_add_i32 s5, s4, s23
	s_add_i32 s12, s5, s23
	;; [unrolled: 1-line block ×7, first 2 shown]
	s_lshl_b32 s18, s22, 1
	s_mov_b64 s[0:1], 0
	v_mov_b32_e32 v33, 0
	s_branch .LBB308_25
.LBB308_24:                             ;   in Loop: Header=BB308_25 Depth=1
	s_or_b64 exec, exec, s[2:3]
	v_sub_u32_e32 v36, v36, v4
	v_cmp_gt_i32_e32 vcc, 0, v36
	s_or_b64 s[0:1], vcc, s[0:1]
	s_andn2_b64 exec, exec, s[0:1]
	s_cbranch_execz .LBB308_29
.LBB308_25:                             ; =>This Inner Loop Header: Depth=1
	v_add_u32_e32 v34, v36, v44
	v_ashrrev_i32_e32 v35, 31, v34
	s_waitcnt vmcnt(0)
	v_lshl_add_u64 v[0:1], v[34:35], 2, s[6:7]
	global_load_dword v4, v[0:1], off
	v_lshl_add_u64 v[0:1], v[34:35], 4, s[10:11]
	global_load_dwordx4 v[0:3], v[0:1], off
	s_waitcnt vmcnt(1)
	v_cmp_ne_u32_e32 vcc, 1, v4
	s_and_saveexec_b64 s[2:3], vcc
	s_xor_b64 s[2:3], exec, s[2:3]
	s_cbranch_execz .LBB308_27
; %bb.26:                               ;   in Loop: Header=BB308_25 Depth=1
	v_add_u32_e32 v4, v114, v36
	v_add_u32_e32 v32, s4, v4
	v_lshl_add_u64 v[42:43], v[32:33], 4, s[8:9]
	v_add_u32_e32 v32, s5, v4
	v_lshl_add_u64 v[50:51], v[32:33], 4, s[8:9]
	;; [unrolled: 2-line block ×9, first 2 shown]
	global_load_dwordx4 v[38:41], v[64:65], off
	global_load_dwordx4 v[46:49], v[42:43], off
	;; [unrolled: 1-line block ×9, first 2 shown]
	v_add_u32_e32 v32, s5, v34
	v_lshl_add_u64 v[42:43], v[32:33], 4, s[8:9]
	v_add_u32_e32 v32, s12, v34
	v_lshl_add_u64 v[50:51], v[32:33], 4, s[8:9]
	v_add_u32_e32 v32, s13, v34
	s_waitcnt vmcnt(7)
	v_fma_f64 v[38:39], -v[0:1], v[46:47], v[38:39]
	v_fma_f64 v[40:41], -v[2:3], v[46:47], v[40:41]
	v_fmac_f64_e32 v[38:39], v[2:3], v[48:49]
	v_fma_f64 v[40:41], -v[0:1], v[48:49], v[40:41]
	global_store_dwordx4 v[64:65], v[38:41], off
	global_load_dwordx4 v[38:41], v[42:43], off
	s_waitcnt vmcnt(0)
	v_fma_f64 v[38:39], -v[0:1], v[28:29], v[38:39]
	v_fma_f64 v[40:41], -v[2:3], v[28:29], v[40:41]
	v_fmac_f64_e32 v[38:39], v[2:3], v[30:31]
	v_fma_f64 v[40:41], -v[0:1], v[30:31], v[40:41]
	global_store_dwordx4 v[42:43], v[38:41], off
	global_load_dwordx4 v[38:41], v[50:51], off
	v_lshl_add_u64 v[42:43], v[32:33], 4, s[8:9]
	v_add_u32_e32 v32, s14, v34
	s_waitcnt vmcnt(0)
	v_fma_f64 v[38:39], -v[0:1], v[24:25], v[38:39]
	v_fma_f64 v[40:41], -v[2:3], v[24:25], v[40:41]
	v_fmac_f64_e32 v[38:39], v[2:3], v[26:27]
	v_fma_f64 v[40:41], -v[0:1], v[26:27], v[40:41]
	global_store_dwordx4 v[50:51], v[38:41], off
	global_load_dwordx4 v[38:41], v[42:43], off
	v_lshl_add_u64 v[50:51], v[32:33], 4, s[8:9]
	v_add_u32_e32 v32, s15, v34
	;; [unrolled: 9-line block ×4, first 2 shown]
	v_lshl_add_u64 v[34:35], v[32:33], 4, s[8:9]
	v_subrev_u32_e32 v32, s22, v36
	s_waitcnt vmcnt(0)
	v_fma_f64 v[38:39], -v[0:1], v[12:13], v[38:39]
	v_fma_f64 v[40:41], -v[2:3], v[12:13], v[40:41]
	v_fmac_f64_e32 v[38:39], v[2:3], v[14:15]
	v_fma_f64 v[40:41], -v[0:1], v[14:15], v[40:41]
	global_store_dwordx4 v[42:43], v[38:41], off
	global_load_dwordx4 v[38:41], v[50:51], off
	v_add_u32_e32 v42, v32, v44
	v_ashrrev_i32_e32 v43, 31, v42
	v_add_u32_e32 v32, s4, v42
	v_lshl_add_u64 v[54:55], v[32:33], 4, s[8:9]
	v_add_u32_e32 v32, s5, v42
	s_waitcnt vmcnt(0)
	v_fma_f64 v[38:39], -v[0:1], v[8:9], v[38:39]
	v_fma_f64 v[40:41], -v[2:3], v[8:9], v[40:41]
	v_fmac_f64_e32 v[38:39], v[2:3], v[10:11]
	v_fma_f64 v[40:41], -v[0:1], v[10:11], v[40:41]
	global_store_dwordx4 v[50:51], v[38:41], off
	global_load_dwordx4 v[38:41], v[34:35], off
	v_lshl_add_u64 v[50:51], v[42:43], 4, s[10:11]
	global_load_dwordx4 v[50:53], v[50:51], off
	s_waitcnt vmcnt(1)
	v_fma_f64 v[38:39], -v[0:1], v[4:5], v[38:39]
	v_fma_f64 v[40:41], -v[2:3], v[4:5], v[40:41]
	v_fmac_f64_e32 v[38:39], v[2:3], v[6:7]
	v_fma_f64 v[40:41], -v[0:1], v[6:7], v[40:41]
	global_store_dwordx4 v[34:35], v[38:41], off
	global_load_dwordx4 v[0:3], v[54:55], off
	v_lshl_add_u64 v[34:35], v[32:33], 4, s[8:9]
	v_add_u32_e32 v32, s12, v42
	v_lshl_add_u64 v[38:39], v[32:33], 4, s[8:9]
	v_add_u32_e32 v32, s13, v42
	s_waitcnt vmcnt(0)
	v_fma_f64 v[0:1], -v[50:51], v[46:47], v[0:1]
	v_fma_f64 v[2:3], -v[52:53], v[46:47], v[2:3]
	v_fmac_f64_e32 v[0:1], v[52:53], v[48:49]
	v_fma_f64 v[2:3], -v[50:51], v[48:49], v[2:3]
	global_store_dwordx4 v[54:55], v[0:3], off
	global_load_dwordx4 v[0:3], v[34:35], off
	s_waitcnt vmcnt(0)
	v_fma_f64 v[0:1], -v[50:51], v[28:29], v[0:1]
	v_fma_f64 v[2:3], -v[52:53], v[28:29], v[2:3]
	v_fmac_f64_e32 v[0:1], v[52:53], v[30:31]
	v_fma_f64 v[2:3], -v[50:51], v[30:31], v[2:3]
	global_store_dwordx4 v[34:35], v[0:3], off
	global_load_dwordx4 v[0:3], v[38:39], off
	v_lshl_add_u64 v[28:29], v[32:33], 4, s[8:9]
	v_add_u32_e32 v32, s14, v42
                                        ; implicit-def: $vgpr34
	s_waitcnt vmcnt(0)
	v_fma_f64 v[0:1], -v[50:51], v[24:25], v[0:1]
	v_fma_f64 v[2:3], -v[52:53], v[24:25], v[2:3]
	v_fmac_f64_e32 v[0:1], v[52:53], v[26:27]
	v_fma_f64 v[2:3], -v[50:51], v[26:27], v[2:3]
	global_store_dwordx4 v[38:39], v[0:3], off
	global_load_dwordx4 v[0:3], v[28:29], off
	v_lshl_add_u64 v[24:25], v[32:33], 4, s[8:9]
	v_add_u32_e32 v32, s15, v42
	s_waitcnt vmcnt(0)
	v_fma_f64 v[0:1], -v[50:51], v[20:21], v[0:1]
	v_fma_f64 v[2:3], -v[52:53], v[20:21], v[2:3]
	v_fmac_f64_e32 v[0:1], v[52:53], v[22:23]
	v_fma_f64 v[2:3], -v[50:51], v[22:23], v[2:3]
	global_store_dwordx4 v[28:29], v[0:3], off
	global_load_dwordx4 v[0:3], v[24:25], off
	v_lshl_add_u64 v[20:21], v[32:33], 4, s[8:9]
	v_add_u32_e32 v32, s16, v42
	;; [unrolled: 9-line block ×3, first 2 shown]
	s_waitcnt vmcnt(0)
	v_fma_f64 v[0:1], -v[50:51], v[12:13], v[0:1]
	v_fma_f64 v[2:3], -v[52:53], v[12:13], v[2:3]
	v_fmac_f64_e32 v[0:1], v[52:53], v[14:15]
	v_fma_f64 v[2:3], -v[50:51], v[14:15], v[2:3]
	global_store_dwordx4 v[20:21], v[0:3], off
	global_load_dwordx4 v[0:3], v[16:17], off
	v_lshl_add_u64 v[12:13], v[32:33], 4, s[8:9]
	s_waitcnt vmcnt(0)
	v_fma_f64 v[0:1], -v[50:51], v[8:9], v[0:1]
	v_fma_f64 v[2:3], -v[52:53], v[8:9], v[2:3]
	v_fmac_f64_e32 v[0:1], v[52:53], v[10:11]
	v_fma_f64 v[2:3], -v[50:51], v[10:11], v[2:3]
	global_store_dwordx4 v[16:17], v[0:3], off
	global_load_dwordx4 v[0:3], v[12:13], off
	s_waitcnt vmcnt(0)
	v_fma_f64 v[0:1], -v[50:51], v[4:5], v[0:1]
	v_fma_f64 v[2:3], -v[52:53], v[4:5], v[2:3]
	v_fmac_f64_e32 v[0:1], v[52:53], v[6:7]
	v_fma_f64 v[2:3], -v[50:51], v[6:7], v[2:3]
	global_store_dwordx4 v[12:13], v[0:3], off
                                        ; implicit-def: $vgpr0_vgpr1
.LBB308_27:                             ;   in Loop: Header=BB308_25 Depth=1
	s_or_saveexec_b64 s[2:3], s[2:3]
	v_mov_b32_e32 v4, s18
	s_xor_b64 exec, exec, s[2:3]
	s_cbranch_execz .LBB308_24
; %bb.28:                               ;   in Loop: Header=BB308_25 Depth=1
	v_add_u32_e32 v18, v114, v36
	v_add_u32_e32 v32, s4, v18
	v_lshl_add_u64 v[12:13], v[32:33], 4, s[8:9]
	v_add_u32_e32 v32, s4, v34
	v_lshl_add_u64 v[14:15], v[32:33], 4, s[8:9]
	global_load_dwordx4 v[4:7], v[12:13], off
	global_load_dwordx4 v[8:11], v[14:15], off
	v_add_u32_e32 v32, s5, v18
	v_lshl_add_u64 v[12:13], v[32:33], 4, s[8:9]
	v_add_u32_e32 v32, s5, v34
	v_lshl_add_u64 v[16:17], v[32:33], 4, s[8:9]
	v_add_u32_e32 v32, s12, v18
	s_waitcnt vmcnt(0)
	v_fma_f64 v[8:9], -v[0:1], v[4:5], v[8:9]
	v_fma_f64 v[4:5], -v[2:3], v[4:5], v[10:11]
	v_fmac_f64_e32 v[8:9], v[2:3], v[6:7]
	v_fma_f64 v[10:11], -v[0:1], v[6:7], v[4:5]
	global_store_dwordx4 v[14:15], v[8:11], off
	global_load_dwordx4 v[4:7], v[12:13], off
	s_nop 0
	global_load_dwordx4 v[8:11], v[16:17], off
	v_lshl_add_u64 v[12:13], v[32:33], 4, s[8:9]
	v_add_u32_e32 v32, s12, v34
	v_lshl_add_u64 v[14:15], v[32:33], 4, s[8:9]
	v_add_u32_e32 v32, s13, v18
	s_waitcnt vmcnt(0)
	v_fma_f64 v[8:9], -v[0:1], v[4:5], v[8:9]
	v_fma_f64 v[4:5], -v[2:3], v[4:5], v[10:11]
	v_fmac_f64_e32 v[8:9], v[2:3], v[6:7]
	v_fma_f64 v[10:11], -v[0:1], v[6:7], v[4:5]
	global_store_dwordx4 v[16:17], v[8:11], off
	global_load_dwordx4 v[4:7], v[12:13], off
	s_nop 0
	global_load_dwordx4 v[8:11], v[14:15], off
	;; [unrolled: 13-line block ×6, first 2 shown]
	v_lshl_add_u64 v[12:13], v[32:33], 4, s[8:9]
	v_add_u32_e32 v32, s17, v34
	v_lshl_add_u64 v[16:17], v[32:33], 4, s[8:9]
	s_waitcnt vmcnt(0)
	v_fma_f64 v[8:9], -v[0:1], v[4:5], v[8:9]
	v_fma_f64 v[4:5], -v[2:3], v[4:5], v[10:11]
	v_fmac_f64_e32 v[8:9], v[2:3], v[6:7]
	v_fma_f64 v[10:11], -v[0:1], v[6:7], v[4:5]
	global_store_dwordx4 v[14:15], v[8:11], off
	global_load_dwordx4 v[4:7], v[12:13], off
	s_nop 0
	global_load_dwordx4 v[8:11], v[16:17], off
	s_waitcnt vmcnt(0)
	v_fma_f64 v[8:9], -v[0:1], v[4:5], v[8:9]
	v_fma_f64 v[4:5], -v[2:3], v[4:5], v[10:11]
	v_fmac_f64_e32 v[8:9], v[2:3], v[6:7]
	v_fma_f64 v[10:11], -v[0:1], v[6:7], v[4:5]
	v_mov_b32_e32 v4, s22
	global_store_dwordx4 v[16:17], v[8:11], off
	s_branch .LBB308_24
.LBB308_29:
	s_endpgm
	.section	.rodata,"a",@progbits
	.p2align	6, 0x0
	.amdhsa_kernel _ZN9rocsparseL19gtsv_LBM_rhs_kernelILj256ELj16ELj8E21rocsparse_complex_numIdEEEviiiPKT2_S5_S5_PS3_S5_PKi
		.amdhsa_group_segment_fixed_size 0
		.amdhsa_private_segment_fixed_size 0
		.amdhsa_kernarg_size 64
		.amdhsa_user_sgpr_count 2
		.amdhsa_user_sgpr_dispatch_ptr 0
		.amdhsa_user_sgpr_queue_ptr 0
		.amdhsa_user_sgpr_kernarg_segment_ptr 1
		.amdhsa_user_sgpr_dispatch_id 0
		.amdhsa_user_sgpr_kernarg_preload_length 0
		.amdhsa_user_sgpr_kernarg_preload_offset 0
		.amdhsa_user_sgpr_private_segment_size 0
		.amdhsa_uses_dynamic_stack 0
		.amdhsa_enable_private_segment 0
		.amdhsa_system_sgpr_workgroup_id_x 1
		.amdhsa_system_sgpr_workgroup_id_y 1
		.amdhsa_system_sgpr_workgroup_id_z 0
		.amdhsa_system_sgpr_workgroup_info 0
		.amdhsa_system_vgpr_workitem_id 0
		.amdhsa_next_free_vgpr 156
		.amdhsa_next_free_sgpr 37
		.amdhsa_accum_offset 156
		.amdhsa_reserve_vcc 1
		.amdhsa_float_round_mode_32 0
		.amdhsa_float_round_mode_16_64 0
		.amdhsa_float_denorm_mode_32 3
		.amdhsa_float_denorm_mode_16_64 3
		.amdhsa_dx10_clamp 1
		.amdhsa_ieee_mode 1
		.amdhsa_fp16_overflow 0
		.amdhsa_tg_split 0
		.amdhsa_exception_fp_ieee_invalid_op 0
		.amdhsa_exception_fp_denorm_src 0
		.amdhsa_exception_fp_ieee_div_zero 0
		.amdhsa_exception_fp_ieee_overflow 0
		.amdhsa_exception_fp_ieee_underflow 0
		.amdhsa_exception_fp_ieee_inexact 0
		.amdhsa_exception_int_div_zero 0
	.end_amdhsa_kernel
	.section	.text._ZN9rocsparseL19gtsv_LBM_rhs_kernelILj256ELj16ELj8E21rocsparse_complex_numIdEEEviiiPKT2_S5_S5_PS3_S5_PKi,"axG",@progbits,_ZN9rocsparseL19gtsv_LBM_rhs_kernelILj256ELj16ELj8E21rocsparse_complex_numIdEEEviiiPKT2_S5_S5_PS3_S5_PKi,comdat
.Lfunc_end308:
	.size	_ZN9rocsparseL19gtsv_LBM_rhs_kernelILj256ELj16ELj8E21rocsparse_complex_numIdEEEviiiPKT2_S5_S5_PS3_S5_PKi, .Lfunc_end308-_ZN9rocsparseL19gtsv_LBM_rhs_kernelILj256ELj16ELj8E21rocsparse_complex_numIdEEEviiiPKT2_S5_S5_PS3_S5_PKi
                                        ; -- End function
	.set _ZN9rocsparseL19gtsv_LBM_rhs_kernelILj256ELj16ELj8E21rocsparse_complex_numIdEEEviiiPKT2_S5_S5_PS3_S5_PKi.num_vgpr, 156
	.set _ZN9rocsparseL19gtsv_LBM_rhs_kernelILj256ELj16ELj8E21rocsparse_complex_numIdEEEviiiPKT2_S5_S5_PS3_S5_PKi.num_agpr, 0
	.set _ZN9rocsparseL19gtsv_LBM_rhs_kernelILj256ELj16ELj8E21rocsparse_complex_numIdEEEviiiPKT2_S5_S5_PS3_S5_PKi.numbered_sgpr, 37
	.set _ZN9rocsparseL19gtsv_LBM_rhs_kernelILj256ELj16ELj8E21rocsparse_complex_numIdEEEviiiPKT2_S5_S5_PS3_S5_PKi.num_named_barrier, 0
	.set _ZN9rocsparseL19gtsv_LBM_rhs_kernelILj256ELj16ELj8E21rocsparse_complex_numIdEEEviiiPKT2_S5_S5_PS3_S5_PKi.private_seg_size, 0
	.set _ZN9rocsparseL19gtsv_LBM_rhs_kernelILj256ELj16ELj8E21rocsparse_complex_numIdEEEviiiPKT2_S5_S5_PS3_S5_PKi.uses_vcc, 1
	.set _ZN9rocsparseL19gtsv_LBM_rhs_kernelILj256ELj16ELj8E21rocsparse_complex_numIdEEEviiiPKT2_S5_S5_PS3_S5_PKi.uses_flat_scratch, 0
	.set _ZN9rocsparseL19gtsv_LBM_rhs_kernelILj256ELj16ELj8E21rocsparse_complex_numIdEEEviiiPKT2_S5_S5_PS3_S5_PKi.has_dyn_sized_stack, 0
	.set _ZN9rocsparseL19gtsv_LBM_rhs_kernelILj256ELj16ELj8E21rocsparse_complex_numIdEEEviiiPKT2_S5_S5_PS3_S5_PKi.has_recursion, 0
	.set _ZN9rocsparseL19gtsv_LBM_rhs_kernelILj256ELj16ELj8E21rocsparse_complex_numIdEEEviiiPKT2_S5_S5_PS3_S5_PKi.has_indirect_call, 0
	.section	.AMDGPU.csdata,"",@progbits
; Kernel info:
; codeLenInByte = 7028
; TotalNumSgprs: 43
; NumVgprs: 156
; NumAgprs: 0
; TotalNumVgprs: 156
; ScratchSize: 0
; MemoryBound: 1
; FloatMode: 240
; IeeeMode: 1
; LDSByteSize: 0 bytes/workgroup (compile time only)
; SGPRBlocks: 5
; VGPRBlocks: 19
; NumSGPRsForWavesPerEU: 43
; NumVGPRsForWavesPerEU: 156
; AccumOffset: 156
; Occupancy: 3
; WaveLimiterHint : 0
; COMPUTE_PGM_RSRC2:SCRATCH_EN: 0
; COMPUTE_PGM_RSRC2:USER_SGPR: 2
; COMPUTE_PGM_RSRC2:TRAP_HANDLER: 0
; COMPUTE_PGM_RSRC2:TGID_X_EN: 1
; COMPUTE_PGM_RSRC2:TGID_Y_EN: 1
; COMPUTE_PGM_RSRC2:TGID_Z_EN: 0
; COMPUTE_PGM_RSRC2:TIDIG_COMP_CNT: 0
; COMPUTE_PGM_RSRC3_GFX90A:ACCUM_OFFSET: 38
; COMPUTE_PGM_RSRC3_GFX90A:TG_SPLIT: 0
	.section	.text._ZN9rocsparseL19gtsv_LBM_rhs_kernelILj256ELj16ELj4E21rocsparse_complex_numIdEEEviiiPKT2_S5_S5_PS3_S5_PKi,"axG",@progbits,_ZN9rocsparseL19gtsv_LBM_rhs_kernelILj256ELj16ELj4E21rocsparse_complex_numIdEEEviiiPKT2_S5_S5_PS3_S5_PKi,comdat
	.globl	_ZN9rocsparseL19gtsv_LBM_rhs_kernelILj256ELj16ELj4E21rocsparse_complex_numIdEEEviiiPKT2_S5_S5_PS3_S5_PKi ; -- Begin function _ZN9rocsparseL19gtsv_LBM_rhs_kernelILj256ELj16ELj4E21rocsparse_complex_numIdEEEviiiPKT2_S5_S5_PS3_S5_PKi
	.p2align	8
	.type	_ZN9rocsparseL19gtsv_LBM_rhs_kernelILj256ELj16ELj4E21rocsparse_complex_numIdEEEviiiPKT2_S5_S5_PS3_S5_PKi,@function
_ZN9rocsparseL19gtsv_LBM_rhs_kernelILj256ELj16ELj4E21rocsparse_complex_numIdEEEviiiPKT2_S5_S5_PS3_S5_PKi: ; @_ZN9rocsparseL19gtsv_LBM_rhs_kernelILj256ELj16ELj4E21rocsparse_complex_numIdEEEviiiPKT2_S5_S5_PS3_S5_PKi
; %bb.0:
	s_load_dword s23, s[0:1], 0x0
	v_lshl_or_b32 v28, s2, 8, v0
	s_waitcnt lgkmcnt(0)
	s_lshr_b32 s22, s23, 4
	v_cmp_gt_i32_e32 vcc, s22, v28
	s_and_saveexec_b64 s[4:5], vcc
	s_cbranch_execz .LBB309_29
; %bb.1:
	s_load_dwordx4 s[8:11], s[0:1], 0x28
	s_load_dwordx2 s[6:7], s[0:1], 0x38
	s_cmp_lt_i32 s23, 1
	v_add_u32_e32 v64, s22, v28
	s_mul_i32 s24, s3, s23
	s_cbranch_scc1 .LBB309_21
; %bb.2:
	s_load_dwordx4 s[12:15], s[0:1], 0x10
	s_load_dwordx2 s[16:17], s[0:1], 0x20
	v_ashrrev_i32_e32 v29, 31, v28
	s_lshl_b32 s28, s24, 2
	s_add_i32 s29, s28, s23
	s_waitcnt lgkmcnt(0)
	v_lshl_add_u64 v[0:1], v[28:29], 4, s[14:15]
	global_load_dwordx4 v[0:3], v[0:1], off
	s_add_i32 s30, s29, s23
	s_mul_i32 s25, s22, 15
	s_mul_i32 s26, s22, 14
	s_lshl_b32 s27, s22, 1
	v_add_u32_e32 v65, s22, v64
	s_add_i32 s31, s30, s23
	v_mov_b32_e32 v31, 0
	s_mov_b64 s[18:19], 0
	v_mov_b32_e32 v29, 0
	s_branch .LBB309_5
.LBB309_3:                              ;   in Loop: Header=BB309_5 Depth=1
	s_or_b64 exec, exec, s[4:5]
	v_fmac_f64_e32 v[34:35], v[4:5], v[8:9]
	v_fmac_f64_e32 v[32:33], v[6:7], v[8:9]
	v_mul_f64 v[0:1], v[36:37], -v[32:33]
	v_mul_f64 v[2:3], v[36:37], v[34:35]
	v_fmac_f64_e32 v[0:1], v[34:35], v[10:11]
	v_fmac_f64_e32 v[2:3], v[32:33], v[10:11]
	v_add_f64 v[0:1], v[12:13], -v[0:1]
	v_add_f64 v[2:3], v[14:15], -v[2:3]
	v_mov_b32_e32 v10, s22
.LBB309_4:                              ;   in Loop: Header=BB309_5 Depth=1
	s_or_b64 exec, exec, s[2:3]
	v_add_u32_e32 v29, v10, v29
	v_cmp_le_i32_e32 vcc, s23, v29
	s_or_b64 s[18:19], vcc, s[18:19]
	s_andn2_b64 exec, exec, s[18:19]
	s_cbranch_execz .LBB309_20
.LBB309_5:                              ; =>This Inner Loop Header: Depth=1
	v_add_u32_e32 v24, v29, v28
	v_ashrrev_i32_e32 v25, 31, v24
	v_lshl_add_u64 v[4:5], v[24:25], 4, s[16:17]
	global_load_dwordx4 v[8:11], v[4:5], off
	v_cmp_gt_u32_e64 s[0:1], s25, v29
	v_mov_b64_e32 v[12:13], 0
	v_mov_b64_e32 v[4:5], 0
	;; [unrolled: 1-line block ×3, first 2 shown]
	s_and_saveexec_b64 s[2:3], s[0:1]
	s_cbranch_execz .LBB309_7
; %bb.6:                                ;   in Loop: Header=BB309_5 Depth=1
	v_add_u32_e32 v4, v64, v29
	v_ashrrev_i32_e32 v5, 31, v4
	v_lshl_add_u64 v[4:5], v[4:5], 4, s[12:13]
	global_load_dwordx4 v[4:7], v[4:5], off
.LBB309_7:                              ;   in Loop: Header=BB309_5 Depth=1
	s_or_b64 exec, exec, s[2:3]
	v_mov_b64_e32 v[14:15], 0
	s_and_saveexec_b64 s[2:3], s[0:1]
	s_cbranch_execz .LBB309_9
; %bb.8:                                ;   in Loop: Header=BB309_5 Depth=1
	v_add_u32_e32 v12, v64, v29
	v_ashrrev_i32_e32 v13, 31, v12
	v_lshl_add_u64 v[12:13], v[12:13], 4, s[14:15]
	global_load_dwordx4 v[12:15], v[12:13], off
.LBB309_9:                              ;   in Loop: Header=BB309_5 Depth=1
	s_or_b64 exec, exec, s[2:3]
	v_mov_b64_e32 v[20:21], 0
	v_mov_b64_e32 v[16:17], 0
	;; [unrolled: 1-line block ×3, first 2 shown]
	s_and_saveexec_b64 s[2:3], s[0:1]
	s_cbranch_execz .LBB309_11
; %bb.10:                               ;   in Loop: Header=BB309_5 Depth=1
	v_add_u32_e32 v16, v64, v29
	v_ashrrev_i32_e32 v17, 31, v16
	v_lshl_add_u64 v[16:17], v[16:17], 4, s[16:17]
	global_load_dwordx4 v[16:19], v[16:17], off
.LBB309_11:                             ;   in Loop: Header=BB309_5 Depth=1
	s_or_b64 exec, exec, s[2:3]
	v_cmp_gt_u32_e64 s[2:3], s26, v29
	v_mov_b64_e32 v[22:23], 0
	s_and_saveexec_b64 s[4:5], s[2:3]
	s_cbranch_execz .LBB309_13
; %bb.12:                               ;   in Loop: Header=BB309_5 Depth=1
	v_add_u32_e32 v20, v65, v29
	v_ashrrev_i32_e32 v21, 31, v20
	v_lshl_add_u64 v[20:21], v[20:21], 4, s[12:13]
	global_load_dwordx4 v[20:23], v[20:21], off
.LBB309_13:                             ;   in Loop: Header=BB309_5 Depth=1
	s_or_b64 exec, exec, s[4:5]
	v_lshl_add_u64 v[26:27], v[24:25], 2, s[6:7]
	global_load_dword v25, v[26:27], off
	v_cmp_ne_u32_e32 vcc, s25, v29
	s_waitcnt vmcnt(1)
	v_mul_f64 v[34:35], v[10:11], -v[6:7]
	v_mul_f64 v[32:33], v[10:11], v[4:5]
	v_add_u32_e32 v30, s28, v24
	v_add_u32_e32 v42, s29, v24
	;; [unrolled: 1-line block ×4, first 2 shown]
	s_waitcnt vmcnt(0)
	v_cmp_ne_u32_e64 s[4:5], 1, v25
	s_and_b64 s[4:5], vcc, s[4:5]
	s_and_saveexec_b64 s[20:21], s[4:5]
	s_xor_b64 s[4:5], exec, s[20:21]
	s_cbranch_execz .LBB309_17
; %bb.14:                               ;   in Loop: Header=BB309_5 Depth=1
	v_add_u32_e32 v44, v64, v29
	v_lshl_add_u64 v[40:41], v[30:31], 4, s[8:9]
	v_add_u32_e32 v30, s28, v44
	v_mov_b32_e32 v43, v31
	v_lshl_add_u64 v[48:49], v[42:43], 4, s[8:9]
	v_lshl_add_u64 v[82:83], v[30:31], 4, s[8:9]
	v_add_u32_e32 v30, s29, v44
	global_load_dwordx4 v[24:27], v[40:41], off
	global_load_dwordx4 v[52:55], v[48:49], off
	global_load_dwordx4 v[56:59], v[82:83], off
	v_lshl_add_u64 v[84:85], v[30:31], 4, s[8:9]
	global_load_dwordx4 v[60:63], v[84:85], off
	v_mov_b32_e32 v39, v31
	v_add_u32_e32 v30, s30, v44
	v_lshl_add_u64 v[86:87], v[38:39], 4, s[8:9]
	v_lshl_add_u64 v[88:89], v[30:31], 4, s[8:9]
	global_load_dwordx4 v[66:69], v[86:87], off
	global_load_dwordx4 v[70:73], v[88:89], off
	v_mov_b32_e32 v37, v31
	v_lshl_add_u64 v[90:91], v[36:37], 4, s[8:9]
	global_load_dwordx4 v[74:77], v[90:91], off
	v_add_u32_e32 v30, s31, v44
	v_lshl_add_u64 v[92:93], v[30:31], 4, s[8:9]
	global_load_dwordx4 v[78:81], v[92:93], off
	v_mul_f64 v[42:43], v[0:1], v[14:15]
	v_mul_f64 v[38:39], v[14:15], -v[2:3]
	v_fmac_f64_e32 v[32:33], v[6:7], v[8:9]
	v_fmac_f64_e32 v[42:43], v[2:3], v[12:13]
	;; [unrolled: 1-line block ×4, first 2 shown]
	v_add_f64 v[32:33], v[42:43], -v[32:33]
	v_add_f64 v[34:35], v[38:39], -v[34:35]
	v_mul_f64 v[36:37], v[32:33], v[32:33]
	v_fmac_f64_e32 v[36:37], v[34:35], v[34:35]
	v_div_scale_f64 v[42:43], s[20:21], v[36:37], v[36:37], 1.0
	v_rcp_f64_e32 v[44:45], v[42:43]
	v_fma_f64 v[38:39], 0, v[32:33], v[34:35]
	v_fma_f64 v[34:35], v[34:35], 0, -v[32:33]
	v_div_scale_f64 v[32:33], vcc, 1.0, v[36:37], 1.0
	v_fma_f64 v[46:47], -v[42:43], v[44:45], 1.0
	v_fmac_f64_e32 v[44:45], v[44:45], v[46:47]
	v_fma_f64 v[46:47], -v[42:43], v[44:45], 1.0
	v_fmac_f64_e32 v[44:45], v[44:45], v[46:47]
	v_mul_f64 v[46:47], v[32:33], v[44:45]
	v_fma_f64 v[32:33], -v[42:43], v[46:47], v[32:33]
	v_div_fmas_f64 v[32:33], v[32:33], v[44:45], v[46:47]
	v_div_fixup_f64 v[36:37], v[32:33], v[36:37], 1.0
	v_mul_f64 v[34:35], v[34:35], v[36:37]
	v_mul_f64 v[32:33], v[38:39], v[36:37]
	s_waitcnt vmcnt(7)
	v_mul_f64 v[36:37], v[34:35], -v[26:27]
	v_mul_f64 v[42:43], v[34:35], v[24:25]
	s_waitcnt vmcnt(6)
	v_mul_f64 v[46:47], v[34:35], v[52:53]
	s_waitcnt vmcnt(5)
	v_mul_f64 v[50:51], v[34:35], v[56:57]
	v_fmac_f64_e32 v[36:37], v[24:25], v[32:33]
	v_fmac_f64_e32 v[42:43], v[26:27], v[32:33]
	v_mul_f64 v[24:25], v[34:35], -v[54:55]
	v_mul_f64 v[38:39], v[34:35], -v[58:59]
	v_fmac_f64_e32 v[46:47], v[54:55], v[32:33]
	v_fmac_f64_e32 v[50:51], v[58:59], v[32:33]
	s_waitcnt vmcnt(4)
	v_mul_f64 v[54:55], v[34:35], v[60:61]
	v_mul_f64 v[26:27], v[42:43], -v[14:15]
	v_mul_f64 v[94:95], v[12:13], v[42:43]
	v_fmac_f64_e32 v[38:39], v[56:57], v[32:33]
	v_mul_f64 v[44:45], v[34:35], -v[62:63]
	v_mul_f64 v[56:57], v[50:51], -v[10:11]
	v_mul_f64 v[58:59], v[8:9], v[50:51]
	v_fmac_f64_e32 v[54:55], v[62:63], v[32:33]
	v_fmac_f64_e32 v[24:25], v[52:53], v[32:33]
	;; [unrolled: 1-line block ×4, first 2 shown]
	v_mul_f64 v[52:53], v[46:47], -v[14:15]
	v_mul_f64 v[96:97], v[12:13], v[46:47]
	v_fmac_f64_e32 v[44:45], v[60:61], v[32:33]
	v_fmac_f64_e32 v[56:57], v[8:9], v[38:39]
	;; [unrolled: 1-line block ×3, first 2 shown]
	v_mul_f64 v[60:61], v[54:55], -v[10:11]
	v_mul_f64 v[62:63], v[8:9], v[54:55]
	v_fmac_f64_e32 v[52:53], v[12:13], v[24:25]
	v_fmac_f64_e32 v[96:97], v[14:15], v[24:25]
	v_add_f64 v[56:57], v[26:27], -v[56:57]
	v_add_f64 v[58:59], v[94:95], -v[58:59]
	v_fmac_f64_e32 v[60:61], v[8:9], v[44:45]
	v_fmac_f64_e32 v[62:63], v[10:11], v[44:45]
	global_store_dwordx4 v[40:41], v[56:59], off
	s_waitcnt vmcnt(4)
	v_mul_f64 v[26:27], v[34:35], -v[68:69]
	s_waitcnt vmcnt(3)
	v_mul_f64 v[40:41], v[34:35], -v[72:73]
	v_add_f64 v[56:57], v[52:53], -v[60:61]
	v_add_f64 v[58:59], v[96:97], -v[62:63]
	global_store_dwordx4 v[48:49], v[56:59], off
	v_mul_f64 v[48:49], v[34:35], v[66:67]
	v_mul_f64 v[52:53], v[34:35], v[70:71]
	v_fmac_f64_e32 v[48:49], v[68:69], v[32:33]
	v_fmac_f64_e32 v[52:53], v[72:73], v[32:33]
	;; [unrolled: 1-line block ×4, first 2 shown]
	v_mul_f64 v[56:57], v[48:49], -v[14:15]
	v_mul_f64 v[58:59], v[12:13], v[48:49]
	v_mul_f64 v[60:61], v[52:53], -v[10:11]
	v_mul_f64 v[62:63], v[8:9], v[52:53]
	v_fmac_f64_e32 v[56:57], v[12:13], v[26:27]
	v_fmac_f64_e32 v[58:59], v[14:15], v[26:27]
	;; [unrolled: 1-line block ×4, first 2 shown]
	v_add_f64 v[56:57], v[56:57], -v[60:61]
	v_add_f64 v[58:59], v[58:59], -v[62:63]
	s_waitcnt vmcnt(3)
	v_mul_f64 v[60:61], v[34:35], v[74:75]
	global_store_dwordx4 v[86:87], v[56:59], off
	v_fmac_f64_e32 v[60:61], v[76:77], v[32:33]
	s_waitcnt vmcnt(3)
	v_mul_f64 v[62:63], v[34:35], v[78:79]
	v_mul_f64 v[56:57], v[34:35], -v[76:77]
	v_fmac_f64_e32 v[56:57], v[74:75], v[32:33]
	v_mul_f64 v[66:67], v[60:61], -v[14:15]
	v_mul_f64 v[58:59], v[34:35], -v[80:81]
	v_fmac_f64_e32 v[62:63], v[80:81], v[32:33]
	v_fmac_f64_e32 v[66:67], v[12:13], v[56:57]
	v_mul_f64 v[12:13], v[12:13], v[60:61]
	v_fmac_f64_e32 v[58:59], v[78:79], v[32:33]
	v_fmac_f64_e32 v[12:13], v[14:15], v[56:57]
	v_mul_f64 v[14:15], v[62:63], -v[10:11]
	v_mul_f64 v[68:69], v[8:9], v[62:63]
	v_fmac_f64_e32 v[14:15], v[8:9], v[58:59]
	v_fmac_f64_e32 v[68:69], v[10:11], v[58:59]
	v_add_f64 v[8:9], v[66:67], -v[14:15]
	v_add_f64 v[10:11], v[12:13], -v[68:69]
	global_store_dwordx4 v[90:91], v[8:11], off
	v_mul_f64 v[12:13], v[50:51], -v[2:3]
	v_mul_f64 v[14:15], v[0:1], v[50:51]
	v_mul_f64 v[8:9], v[6:7], v[42:43]
	v_mul_f64 v[10:11], v[42:43], -v[4:5]
	v_fma_f64 v[8:9], -v[4:5], v[36:37], v[8:9]
	v_fma_f64 v[10:11], -v[6:7], v[36:37], v[10:11]
	v_fmac_f64_e32 v[12:13], v[0:1], v[38:39]
	v_fmac_f64_e32 v[14:15], v[2:3], v[38:39]
	v_add_f64 v[8:9], v[8:9], v[12:13]
	v_add_f64 v[10:11], v[10:11], v[14:15]
	global_store_dwordx4 v[82:83], v[8:11], off
	v_mul_f64 v[12:13], v[54:55], -v[2:3]
	v_mul_f64 v[14:15], v[0:1], v[54:55]
	v_mul_f64 v[8:9], v[6:7], v[46:47]
	v_mul_f64 v[10:11], v[46:47], -v[4:5]
	v_fma_f64 v[8:9], -v[4:5], v[24:25], v[8:9]
	v_fma_f64 v[10:11], -v[6:7], v[24:25], v[10:11]
	v_fmac_f64_e32 v[12:13], v[0:1], v[44:45]
	v_fmac_f64_e32 v[14:15], v[2:3], v[44:45]
	v_add_f64 v[8:9], v[8:9], v[12:13]
	v_add_f64 v[10:11], v[10:11], v[14:15]
	global_store_dwordx4 v[84:85], v[8:11], off
	v_mul_f64 v[14:15], v[0:1], v[52:53]
	v_fmac_f64_e32 v[14:15], v[2:3], v[40:41]
	v_mul_f64 v[10:11], v[48:49], -v[4:5]
	v_mul_f64 v[8:9], v[6:7], v[48:49]
	v_fma_f64 v[12:13], -v[6:7], v[26:27], v[10:11]
	v_mul_f64 v[10:11], v[52:53], -v[2:3]
	v_fma_f64 v[8:9], -v[4:5], v[26:27], v[8:9]
	v_fmac_f64_e32 v[10:11], v[0:1], v[40:41]
	v_add_f64 v[10:11], v[8:9], v[10:11]
	v_add_f64 v[12:13], v[12:13], v[14:15]
	global_store_dwordx4 v[88:89], v[10:13], off
	v_mul_f64 v[14:15], v[62:63], -v[2:3]
	v_mul_f64 v[66:67], v[0:1], v[62:63]
	v_mul_f64 v[10:11], v[6:7], v[60:61]
	v_mul_f64 v[12:13], v[60:61], -v[4:5]
	v_fma_f64 v[10:11], -v[4:5], v[56:57], v[10:11]
	v_fma_f64 v[12:13], -v[6:7], v[56:57], v[12:13]
	v_fmac_f64_e32 v[14:15], v[0:1], v[58:59]
	v_fmac_f64_e32 v[66:67], v[2:3], v[58:59]
	v_add_f64 v[10:11], v[10:11], v[14:15]
	v_add_f64 v[12:13], v[12:13], v[66:67]
	v_mov_b64_e32 v[8:9], 0
	global_store_dwordx4 v[92:93], v[10:13], off
	s_nop 1
	v_mov_b64_e32 v[10:11], 0
	s_and_saveexec_b64 s[20:21], s[2:3]
	s_cbranch_execz .LBB309_16
; %bb.15:                               ;   in Loop: Header=BB309_5 Depth=1
	v_add_u32_e32 v66, v65, v29
	v_add_u32_e32 v30, s28, v66
	v_lshl_add_u64 v[68:69], v[30:31], 4, s[8:9]
	v_add_u32_e32 v30, s29, v66
	global_load_dwordx4 v[8:11], v[68:69], off
	v_lshl_add_u64 v[70:71], v[30:31], 4, s[8:9]
	global_load_dwordx4 v[12:15], v[70:71], off
	v_mul_f64 v[72:73], v[6:7], v[22:23]
	v_mul_f64 v[74:75], v[22:23], -v[4:5]
	v_mul_f64 v[76:77], v[22:23], -v[2:3]
	v_mul_f64 v[78:79], v[0:1], v[22:23]
	v_fma_f64 v[72:73], -v[4:5], v[20:21], v[72:73]
	v_fma_f64 v[74:75], -v[6:7], v[20:21], v[74:75]
	v_fmac_f64_e32 v[76:77], v[0:1], v[20:21]
	v_fmac_f64_e32 v[78:79], v[2:3], v[20:21]
	v_mul_f64 v[4:5], v[74:75], v[42:43]
	v_mul_f64 v[6:7], v[42:43], -v[72:73]
	v_mul_f64 v[42:43], v[50:51], -v[78:79]
	v_mul_f64 v[50:51], v[76:77], v[50:51]
	v_mul_f64 v[80:81], v[74:75], v[46:47]
	v_mul_f64 v[46:47], v[46:47], -v[72:73]
	v_mul_f64 v[82:83], v[54:55], -v[78:79]
	v_mul_f64 v[54:55], v[76:77], v[54:55]
	v_fma_f64 v[86:87], -v[72:73], v[36:37], v[4:5]
	v_fma_f64 v[36:37], -v[74:75], v[36:37], v[6:7]
	v_fmac_f64_e32 v[42:43], v[76:77], v[38:39]
	v_fmac_f64_e32 v[50:51], v[78:79], v[38:39]
	v_fma_f64 v[38:39], -v[72:73], v[24:25], v[80:81]
	v_fma_f64 v[24:25], -v[74:75], v[24:25], v[46:47]
	v_fmac_f64_e32 v[82:83], v[76:77], v[44:45]
	v_fmac_f64_e32 v[54:55], v[78:79], v[44:45]
	v_add_f64 v[42:43], v[86:87], -v[42:43]
	v_add_f64 v[36:37], v[36:37], -v[50:51]
	v_add_u32_e32 v30, s30, v66
	v_add_f64 v[38:39], v[38:39], -v[82:83]
	v_add_f64 v[24:25], v[24:25], -v[54:55]
	v_ashrrev_i32_e32 v67, 31, v66
	v_lshl_add_u64 v[44:45], v[30:31], 4, s[8:9]
	v_add_u32_e32 v30, s31, v66
	v_lshl_add_u64 v[84:85], v[66:67], 4, s[14:15]
	v_lshl_add_u64 v[46:47], v[30:31], 4, s[8:9]
	global_load_dwordx4 v[4:7], v[84:85], off
	v_mul_f64 v[50:51], v[76:77], v[62:63]
	v_fmac_f64_e32 v[50:51], v[78:79], v[58:59]
	s_waitcnt vmcnt(2)
	v_add_f64 v[8:9], v[42:43], v[8:9]
	v_add_f64 v[10:11], v[36:37], v[10:11]
	global_store_dwordx4 v[68:69], v[8:11], off
	v_mul_f64 v[42:43], v[60:61], -v[72:73]
	s_waitcnt vmcnt(2)
	v_add_f64 v[8:9], v[38:39], v[12:13]
	v_add_f64 v[10:11], v[24:25], v[14:15]
	global_load_dwordx4 v[36:39], v[44:45], off
	v_mul_f64 v[24:25], v[74:75], v[60:61]
	global_store_dwordx4 v[70:71], v[8:11], off
	global_load_dwordx4 v[12:15], v[46:47], off
	v_fma_f64 v[24:25], -v[72:73], v[56:57], v[24:25]
	v_mul_f64 v[8:9], v[2:3], -v[22:23]
	v_mul_f64 v[2:3], v[2:3], v[20:21]
	v_fmac_f64_e32 v[8:9], v[20:21], v[0:1]
	v_fmac_f64_e32 v[2:3], v[22:23], v[0:1]
	v_mul_f64 v[0:1], v[74:75], v[48:49]
	v_mul_f64 v[10:11], v[48:49], -v[72:73]
	v_mul_f64 v[20:21], v[52:53], -v[78:79]
	v_mul_f64 v[22:23], v[76:77], v[52:53]
	v_mul_f64 v[52:53], v[18:19], -v[2:3]
	v_mul_f64 v[18:19], v[18:19], v[8:9]
	v_mul_f64 v[48:49], v[62:63], -v[78:79]
	v_fma_f64 v[0:1], -v[72:73], v[26:27], v[0:1]
	v_fma_f64 v[10:11], -v[74:75], v[26:27], v[10:11]
	v_fmac_f64_e32 v[20:21], v[76:77], v[40:41]
	v_fmac_f64_e32 v[22:23], v[78:79], v[40:41]
	;; [unrolled: 1-line block ×4, first 2 shown]
	v_fma_f64 v[26:27], -v[74:75], v[56:57], v[42:43]
	v_fmac_f64_e32 v[48:49], v[76:77], v[58:59]
	v_add_f64 v[0:1], v[0:1], -v[20:21]
	v_add_f64 v[2:3], v[10:11], -v[22:23]
	v_mul_f64 v[10:11], v[34:35], -v[18:19]
	v_mul_f64 v[20:21], v[34:35], v[52:53]
	v_add_f64 v[8:9], v[24:25], -v[48:49]
	v_add_f64 v[16:17], v[26:27], -v[50:51]
	v_fmac_f64_e32 v[10:11], v[52:53], v[32:33]
	v_fmac_f64_e32 v[20:21], v[18:19], v[32:33]
	s_waitcnt vmcnt(4)
	v_add_f64 v[10:11], v[4:5], -v[10:11]
	s_waitcnt vmcnt(2)
	v_add_f64 v[0:1], v[0:1], v[36:37]
	v_add_f64 v[2:3], v[2:3], v[38:39]
	global_store_dwordx4 v[44:45], v[0:3], off
	s_waitcnt vmcnt(1)
	s_nop 0
	v_add_f64 v[0:1], v[8:9], v[12:13]
	v_add_f64 v[2:3], v[16:17], v[14:15]
	v_add_f64 v[8:9], v[6:7], -v[20:21]
	global_store_dwordx4 v[46:47], v[0:3], off
.LBB309_16:                             ;   in Loop: Header=BB309_5 Depth=1
	s_or_b64 exec, exec, s[20:21]
	s_nop 0
	v_mov_b64_e32 v[2:3], v[8:9]
	v_mov_b64_e32 v[0:1], v[10:11]
                                        ; implicit-def: $vgpr4_vgpr5
                                        ; implicit-def: $vgpr12_vgpr13
                                        ; implicit-def: $vgpr8_vgpr9
                                        ; implicit-def: $vgpr34_vgpr35
                                        ; implicit-def: $vgpr32_vgpr33
                                        ; implicit-def: $vgpr42
                                        ; implicit-def: $vgpr38
                                        ; implicit-def: $vgpr36
.LBB309_17:                             ;   in Loop: Header=BB309_5 Depth=1
	s_or_saveexec_b64 s[2:3], s[4:5]
	v_mov_b32_e32 v10, s27
	s_xor_b64 exec, exec, s[2:3]
	s_cbranch_execz .LBB309_4
; %bb.18:                               ;   in Loop: Header=BB309_5 Depth=1
	v_lshl_add_u64 v[52:53], v[30:31], 4, s[8:9]
	v_mov_b32_e32 v43, v31
	v_mov_b32_e32 v39, v31
	;; [unrolled: 1-line block ×3, first 2 shown]
	global_load_dwordx4 v[16:19], v[52:53], off
	v_lshl_add_u64 v[54:55], v[42:43], 4, s[8:9]
	v_lshl_add_u64 v[38:39], v[38:39], 4, s[8:9]
	;; [unrolled: 1-line block ×3, first 2 shown]
	global_load_dwordx4 v[40:43], v[54:55], off
	global_load_dwordx4 v[48:51], v[56:57], off
	;; [unrolled: 1-line block ×3, first 2 shown]
	v_mul_f64 v[10:11], v[2:3], v[2:3]
	v_fmac_f64_e32 v[10:11], v[0:1], v[0:1]
	v_div_scale_f64 v[22:23], s[4:5], v[10:11], v[10:11], 1.0
	v_rcp_f64_e32 v[24:25], v[22:23]
	v_fma_f64 v[20:21], 0, v[2:3], v[0:1]
	v_fma_f64 v[0:1], v[0:1], 0, -v[2:3]
	v_div_scale_f64 v[2:3], vcc, 1.0, v[10:11], 1.0
	v_fma_f64 v[26:27], -v[22:23], v[24:25], 1.0
	v_fmac_f64_e32 v[24:25], v[24:25], v[26:27]
	v_fma_f64 v[26:27], -v[22:23], v[24:25], 1.0
	v_fmac_f64_e32 v[24:25], v[24:25], v[26:27]
	v_mul_f64 v[26:27], v[2:3], v[24:25]
	v_fma_f64 v[2:3], -v[22:23], v[26:27], v[2:3]
	v_div_fmas_f64 v[2:3], v[2:3], v[24:25], v[26:27]
	v_div_fixup_f64 v[2:3], v[2:3], v[10:11], 1.0
	v_mul_f64 v[36:37], v[0:1], v[2:3]
	v_mul_f64 v[10:11], v[20:21], v[2:3]
	s_waitcnt vmcnt(3)
	v_mul_f64 v[24:25], v[36:37], -v[18:19]
	v_mul_f64 v[26:27], v[36:37], v[16:17]
	v_fmac_f64_e32 v[24:25], v[16:17], v[10:11]
	v_fmac_f64_e32 v[26:27], v[18:19], v[10:11]
	s_waitcnt vmcnt(2)
	v_mul_f64 v[20:21], v[36:37], -v[42:43]
	v_mul_f64 v[22:23], v[36:37], v[40:41]
	s_waitcnt vmcnt(0)
	v_mul_f64 v[16:17], v[36:37], -v[46:47]
	v_mul_f64 v[18:19], v[36:37], v[44:45]
	v_mul_f64 v[0:1], v[36:37], -v[50:51]
	v_mul_f64 v[2:3], v[36:37], v[48:49]
	v_fmac_f64_e32 v[20:21], v[40:41], v[10:11]
	v_fmac_f64_e32 v[22:23], v[42:43], v[10:11]
	v_fmac_f64_e32 v[16:17], v[44:45], v[10:11]
	v_fmac_f64_e32 v[18:19], v[46:47], v[10:11]
	v_fmac_f64_e32 v[0:1], v[48:49], v[10:11]
	v_fmac_f64_e32 v[2:3], v[50:51], v[10:11]
	global_store_dwordx4 v[52:53], v[24:27], off
	global_store_dwordx4 v[54:55], v[20:23], off
	;; [unrolled: 1-line block ×4, first 2 shown]
	s_and_saveexec_b64 s[4:5], s[0:1]
	s_cbranch_execz .LBB309_3
; %bb.19:                               ;   in Loop: Header=BB309_5 Depth=1
	v_add_u32_e32 v52, v64, v29
	v_add_u32_e32 v30, s28, v52
	v_lshl_add_u64 v[46:47], v[30:31], 4, s[8:9]
	v_add_u32_e32 v30, s29, v52
	global_load_dwordx4 v[38:41], v[46:47], off
	v_lshl_add_u64 v[48:49], v[30:31], 4, s[8:9]
	global_load_dwordx4 v[42:45], v[48:49], off
	v_add_u32_e32 v30, s30, v52
	v_lshl_add_u64 v[50:51], v[30:31], 4, s[8:9]
	v_add_u32_e32 v30, s31, v52
	v_lshl_add_u64 v[52:53], v[30:31], 4, s[8:9]
	s_waitcnt vmcnt(1)
	v_fma_f64 v[38:39], -v[4:5], v[24:25], v[38:39]
	v_fma_f64 v[24:25], -v[6:7], v[24:25], v[40:41]
	v_fmac_f64_e32 v[38:39], v[6:7], v[26:27]
	v_fma_f64 v[40:41], -v[4:5], v[26:27], v[24:25]
	s_waitcnt vmcnt(0)
	v_fma_f64 v[24:25], -v[4:5], v[20:21], v[42:43]
	v_fma_f64 v[20:21], -v[6:7], v[20:21], v[44:45]
	global_store_dwordx4 v[46:47], v[38:41], off
	v_fmac_f64_e32 v[24:25], v[6:7], v[22:23]
	v_fma_f64 v[26:27], -v[4:5], v[22:23], v[20:21]
	global_load_dwordx4 v[38:41], v[50:51], off
	s_nop 0
	global_store_dwordx4 v[48:49], v[24:27], off
	global_load_dwordx4 v[20:23], v[52:53], off
	s_waitcnt vmcnt(2)
	v_fma_f64 v[24:25], -v[4:5], v[16:17], v[38:39]
	v_fma_f64 v[16:17], -v[6:7], v[16:17], v[40:41]
	;; [unrolled: 1-line block ×3, first 2 shown]
	s_waitcnt vmcnt(0)
	v_fma_f64 v[16:17], -v[4:5], v[0:1], v[20:21]
	v_fma_f64 v[0:1], -v[6:7], v[0:1], v[22:23]
	v_fmac_f64_e32 v[24:25], v[6:7], v[18:19]
	v_fmac_f64_e32 v[16:17], v[6:7], v[2:3]
	v_fma_f64 v[18:19], -v[4:5], v[2:3], v[0:1]
	global_store_dwordx4 v[50:51], v[24:27], off
	global_store_dwordx4 v[52:53], v[16:19], off
	s_branch .LBB309_3
.LBB309_20:
	s_or_b64 exec, exec, s[18:19]
	s_branch .LBB309_22
.LBB309_21:
	v_mov_b32_e32 v29, 0
.LBB309_22:
	v_subrev_u32_e32 v2, s22, v29
	v_add_u32_e32 v0, v2, v28
	v_ashrrev_i32_e32 v1, 31, v0
	s_waitcnt lgkmcnt(0)
	v_lshl_add_u64 v[0:1], v[0:1], 2, s[6:7]
	buffer_wbl2 sc1
	s_waitcnt vmcnt(0)
	buffer_inv sc1
	global_load_dword v0, v[0:1], off
	s_waitcnt vmcnt(0)
	v_mul_lo_u32 v0, v0, s22
	v_sub_u32_e32 v8, v2, v0
	v_cmp_lt_i32_e32 vcc, -1, v8
	s_and_b64 exec, exec, vcc
	s_cbranch_execz .LBB309_29
; %bb.23:
	s_lshl_b32 s4, s24, 2
	s_add_i32 s5, s4, s23
	s_add_i32 s12, s5, s23
	;; [unrolled: 1-line block ×3, first 2 shown]
	s_lshl_b32 s14, s22, 1
	s_mov_b64 s[0:1], 0
	v_mov_b32_e32 v5, 0
	s_branch .LBB309_25
.LBB309_24:                             ;   in Loop: Header=BB309_25 Depth=1
	s_or_b64 exec, exec, s[2:3]
	v_sub_u32_e32 v8, v8, v4
	v_cmp_gt_i32_e32 vcc, 0, v8
	s_or_b64 s[0:1], vcc, s[0:1]
	s_andn2_b64 exec, exec, s[0:1]
	s_cbranch_execz .LBB309_29
.LBB309_25:                             ; =>This Inner Loop Header: Depth=1
	v_add_u32_e32 v6, v8, v28
	v_ashrrev_i32_e32 v7, 31, v6
	s_waitcnt vmcnt(0)
	v_lshl_add_u64 v[0:1], v[6:7], 2, s[6:7]
	global_load_dword v4, v[0:1], off
	v_lshl_add_u64 v[0:1], v[6:7], 4, s[10:11]
	global_load_dwordx4 v[0:3], v[0:1], off
	s_waitcnt vmcnt(1)
	v_cmp_ne_u32_e32 vcc, 1, v4
	s_and_saveexec_b64 s[2:3], vcc
	s_xor_b64 s[2:3], exec, s[2:3]
	s_cbranch_execz .LBB309_27
; %bb.26:                               ;   in Loop: Header=BB309_25 Depth=1
	v_add_u32_e32 v7, v64, v8
	v_add_u32_e32 v4, s4, v7
	v_lshl_add_u64 v[26:27], v[4:5], 4, s[8:9]
	v_add_u32_e32 v4, s5, v7
	v_lshl_add_u64 v[34:35], v[4:5], 4, s[8:9]
	;; [unrolled: 2-line block ×5, first 2 shown]
	global_load_dwordx4 v[10:13], v[40:41], off
	global_load_dwordx4 v[14:17], v[26:27], off
	;; [unrolled: 1-line block ×5, first 2 shown]
	v_add_u32_e32 v4, s5, v6
	v_lshl_add_u64 v[26:27], v[4:5], 4, s[8:9]
	v_add_u32_e32 v4, s12, v6
	v_lshl_add_u64 v[34:35], v[4:5], 4, s[8:9]
	;; [unrolled: 2-line block ×3, first 2 shown]
	v_subrev_u32_e32 v4, s22, v8
	s_waitcnt vmcnt(3)
	v_fma_f64 v[10:11], -v[0:1], v[14:15], v[10:11]
	v_fma_f64 v[12:13], -v[2:3], v[14:15], v[12:13]
	v_fmac_f64_e32 v[10:11], v[2:3], v[16:17]
	v_fma_f64 v[12:13], -v[0:1], v[16:17], v[12:13]
	global_store_dwordx4 v[40:41], v[10:13], off
	global_load_dwordx4 v[10:13], v[26:27], off
	s_waitcnt vmcnt(0)
	v_fma_f64 v[10:11], -v[0:1], v[18:19], v[10:11]
	v_fma_f64 v[12:13], -v[2:3], v[18:19], v[12:13]
	v_fmac_f64_e32 v[10:11], v[2:3], v[20:21]
	v_fma_f64 v[12:13], -v[0:1], v[20:21], v[12:13]
	global_store_dwordx4 v[26:27], v[10:13], off
	global_load_dwordx4 v[10:13], v[34:35], off
	v_add_u32_e32 v26, v4, v28
	v_ashrrev_i32_e32 v27, 31, v26
	v_add_u32_e32 v4, s4, v26
	v_lshl_add_u64 v[38:39], v[4:5], 4, s[8:9]
	v_add_u32_e32 v4, s5, v26
	s_waitcnt vmcnt(0)
	v_fma_f64 v[10:11], -v[0:1], v[22:23], v[10:11]
	v_fma_f64 v[12:13], -v[2:3], v[22:23], v[12:13]
	v_fmac_f64_e32 v[10:11], v[2:3], v[24:25]
	v_fma_f64 v[12:13], -v[0:1], v[24:25], v[12:13]
	global_store_dwordx4 v[34:35], v[10:13], off
	global_load_dwordx4 v[10:13], v[6:7], off
	v_lshl_add_u64 v[34:35], v[26:27], 4, s[10:11]
	global_load_dwordx4 v[34:37], v[34:35], off
	s_waitcnt vmcnt(1)
	v_fma_f64 v[10:11], -v[0:1], v[30:31], v[10:11]
	v_fma_f64 v[12:13], -v[2:3], v[30:31], v[12:13]
	v_fmac_f64_e32 v[10:11], v[2:3], v[32:33]
	v_fma_f64 v[12:13], -v[0:1], v[32:33], v[12:13]
	global_store_dwordx4 v[6:7], v[10:13], off
	global_load_dwordx4 v[0:3], v[38:39], off
	v_lshl_add_u64 v[6:7], v[4:5], 4, s[8:9]
	v_add_u32_e32 v4, s12, v26
	v_lshl_add_u64 v[10:11], v[4:5], 4, s[8:9]
	v_add_u32_e32 v4, s13, v26
	s_waitcnt vmcnt(0)
	v_fma_f64 v[0:1], -v[34:35], v[14:15], v[0:1]
	v_fma_f64 v[2:3], -v[36:37], v[14:15], v[2:3]
	v_fmac_f64_e32 v[0:1], v[36:37], v[16:17]
	v_fma_f64 v[2:3], -v[34:35], v[16:17], v[2:3]
	global_store_dwordx4 v[38:39], v[0:3], off
	global_load_dwordx4 v[0:3], v[6:7], off
	s_waitcnt vmcnt(0)
	v_fma_f64 v[0:1], -v[34:35], v[18:19], v[0:1]
	v_fma_f64 v[2:3], -v[36:37], v[18:19], v[2:3]
	v_fmac_f64_e32 v[0:1], v[36:37], v[20:21]
	v_fma_f64 v[2:3], -v[34:35], v[20:21], v[2:3]
	global_store_dwordx4 v[6:7], v[0:3], off
	global_load_dwordx4 v[0:3], v[10:11], off
	v_lshl_add_u64 v[6:7], v[4:5], 4, s[8:9]
	s_waitcnt vmcnt(0)
	v_fma_f64 v[0:1], -v[34:35], v[22:23], v[0:1]
	v_fma_f64 v[2:3], -v[36:37], v[22:23], v[2:3]
	v_fmac_f64_e32 v[0:1], v[36:37], v[24:25]
	v_fma_f64 v[2:3], -v[34:35], v[24:25], v[2:3]
	global_store_dwordx4 v[10:11], v[0:3], off
	global_load_dwordx4 v[0:3], v[6:7], off
	s_waitcnt vmcnt(0)
	v_fma_f64 v[0:1], -v[34:35], v[30:31], v[0:1]
	v_fma_f64 v[2:3], -v[36:37], v[30:31], v[2:3]
	v_fmac_f64_e32 v[0:1], v[36:37], v[32:33]
	v_fma_f64 v[2:3], -v[34:35], v[32:33], v[2:3]
	global_store_dwordx4 v[6:7], v[0:3], off
                                        ; implicit-def: $vgpr6
                                        ; implicit-def: $vgpr0_vgpr1
.LBB309_27:                             ;   in Loop: Header=BB309_25 Depth=1
	s_or_saveexec_b64 s[2:3], s[2:3]
	v_mov_b32_e32 v4, s14
	s_xor_b64 exec, exec, s[2:3]
	s_cbranch_execz .LBB309_24
; %bb.28:                               ;   in Loop: Header=BB309_25 Depth=1
	v_add_u32_e32 v7, v64, v8
	v_add_u32_e32 v4, s4, v7
	v_lshl_add_u64 v[18:19], v[4:5], 4, s[8:9]
	v_add_u32_e32 v4, s4, v6
	v_lshl_add_u64 v[20:21], v[4:5], 4, s[8:9]
	global_load_dwordx4 v[10:13], v[18:19], off
	global_load_dwordx4 v[14:17], v[20:21], off
	v_add_u32_e32 v4, s5, v7
	v_lshl_add_u64 v[18:19], v[4:5], 4, s[8:9]
	v_add_u32_e32 v4, s5, v6
	v_lshl_add_u64 v[22:23], v[4:5], 4, s[8:9]
	v_add_u32_e32 v4, s12, v7
	s_waitcnt vmcnt(0)
	v_fma_f64 v[14:15], -v[0:1], v[10:11], v[14:15]
	v_fma_f64 v[10:11], -v[2:3], v[10:11], v[16:17]
	v_fmac_f64_e32 v[14:15], v[2:3], v[12:13]
	v_fma_f64 v[16:17], -v[0:1], v[12:13], v[10:11]
	global_store_dwordx4 v[20:21], v[14:17], off
	global_load_dwordx4 v[10:13], v[18:19], off
	s_nop 0
	global_load_dwordx4 v[14:17], v[22:23], off
	v_lshl_add_u64 v[18:19], v[4:5], 4, s[8:9]
	v_add_u32_e32 v4, s12, v6
	v_lshl_add_u64 v[20:21], v[4:5], 4, s[8:9]
	v_add_u32_e32 v4, s13, v7
	s_waitcnt vmcnt(0)
	v_fma_f64 v[14:15], -v[0:1], v[10:11], v[14:15]
	v_fma_f64 v[10:11], -v[2:3], v[10:11], v[16:17]
	v_fmac_f64_e32 v[14:15], v[2:3], v[12:13]
	v_fma_f64 v[16:17], -v[0:1], v[12:13], v[10:11]
	global_store_dwordx4 v[22:23], v[14:17], off
	global_load_dwordx4 v[10:13], v[18:19], off
	s_nop 0
	global_load_dwordx4 v[14:17], v[20:21], off
	v_lshl_add_u64 v[18:19], v[4:5], 4, s[8:9]
	v_add_u32_e32 v4, s13, v6
	v_lshl_add_u64 v[6:7], v[4:5], 4, s[8:9]
	v_mov_b32_e32 v4, s22
	s_waitcnt vmcnt(0)
	v_fma_f64 v[14:15], -v[0:1], v[10:11], v[14:15]
	v_fma_f64 v[10:11], -v[2:3], v[10:11], v[16:17]
	v_fmac_f64_e32 v[14:15], v[2:3], v[12:13]
	v_fma_f64 v[16:17], -v[0:1], v[12:13], v[10:11]
	global_store_dwordx4 v[20:21], v[14:17], off
	global_load_dwordx4 v[10:13], v[18:19], off
	s_nop 0
	global_load_dwordx4 v[14:17], v[6:7], off
	s_waitcnt vmcnt(0)
	v_fma_f64 v[14:15], -v[0:1], v[10:11], v[14:15]
	v_fma_f64 v[10:11], -v[2:3], v[10:11], v[16:17]
	v_fmac_f64_e32 v[14:15], v[2:3], v[12:13]
	v_fma_f64 v[16:17], -v[0:1], v[12:13], v[10:11]
	global_store_dwordx4 v[6:7], v[14:17], off
	s_branch .LBB309_24
.LBB309_29:
	s_endpgm
	.section	.rodata,"a",@progbits
	.p2align	6, 0x0
	.amdhsa_kernel _ZN9rocsparseL19gtsv_LBM_rhs_kernelILj256ELj16ELj4E21rocsparse_complex_numIdEEEviiiPKT2_S5_S5_PS3_S5_PKi
		.amdhsa_group_segment_fixed_size 0
		.amdhsa_private_segment_fixed_size 0
		.amdhsa_kernarg_size 64
		.amdhsa_user_sgpr_count 2
		.amdhsa_user_sgpr_dispatch_ptr 0
		.amdhsa_user_sgpr_queue_ptr 0
		.amdhsa_user_sgpr_kernarg_segment_ptr 1
		.amdhsa_user_sgpr_dispatch_id 0
		.amdhsa_user_sgpr_kernarg_preload_length 0
		.amdhsa_user_sgpr_kernarg_preload_offset 0
		.amdhsa_user_sgpr_private_segment_size 0
		.amdhsa_uses_dynamic_stack 0
		.amdhsa_enable_private_segment 0
		.amdhsa_system_sgpr_workgroup_id_x 1
		.amdhsa_system_sgpr_workgroup_id_y 1
		.amdhsa_system_sgpr_workgroup_id_z 0
		.amdhsa_system_sgpr_workgroup_info 0
		.amdhsa_system_vgpr_workitem_id 0
		.amdhsa_next_free_vgpr 98
		.amdhsa_next_free_sgpr 32
		.amdhsa_accum_offset 100
		.amdhsa_reserve_vcc 1
		.amdhsa_float_round_mode_32 0
		.amdhsa_float_round_mode_16_64 0
		.amdhsa_float_denorm_mode_32 3
		.amdhsa_float_denorm_mode_16_64 3
		.amdhsa_dx10_clamp 1
		.amdhsa_ieee_mode 1
		.amdhsa_fp16_overflow 0
		.amdhsa_tg_split 0
		.amdhsa_exception_fp_ieee_invalid_op 0
		.amdhsa_exception_fp_denorm_src 0
		.amdhsa_exception_fp_ieee_div_zero 0
		.amdhsa_exception_fp_ieee_overflow 0
		.amdhsa_exception_fp_ieee_underflow 0
		.amdhsa_exception_fp_ieee_inexact 0
		.amdhsa_exception_int_div_zero 0
	.end_amdhsa_kernel
	.section	.text._ZN9rocsparseL19gtsv_LBM_rhs_kernelILj256ELj16ELj4E21rocsparse_complex_numIdEEEviiiPKT2_S5_S5_PS3_S5_PKi,"axG",@progbits,_ZN9rocsparseL19gtsv_LBM_rhs_kernelILj256ELj16ELj4E21rocsparse_complex_numIdEEEviiiPKT2_S5_S5_PS3_S5_PKi,comdat
.Lfunc_end309:
	.size	_ZN9rocsparseL19gtsv_LBM_rhs_kernelILj256ELj16ELj4E21rocsparse_complex_numIdEEEviiiPKT2_S5_S5_PS3_S5_PKi, .Lfunc_end309-_ZN9rocsparseL19gtsv_LBM_rhs_kernelILj256ELj16ELj4E21rocsparse_complex_numIdEEEviiiPKT2_S5_S5_PS3_S5_PKi
                                        ; -- End function
	.set _ZN9rocsparseL19gtsv_LBM_rhs_kernelILj256ELj16ELj4E21rocsparse_complex_numIdEEEviiiPKT2_S5_S5_PS3_S5_PKi.num_vgpr, 98
	.set _ZN9rocsparseL19gtsv_LBM_rhs_kernelILj256ELj16ELj4E21rocsparse_complex_numIdEEEviiiPKT2_S5_S5_PS3_S5_PKi.num_agpr, 0
	.set _ZN9rocsparseL19gtsv_LBM_rhs_kernelILj256ELj16ELj4E21rocsparse_complex_numIdEEEviiiPKT2_S5_S5_PS3_S5_PKi.numbered_sgpr, 32
	.set _ZN9rocsparseL19gtsv_LBM_rhs_kernelILj256ELj16ELj4E21rocsparse_complex_numIdEEEviiiPKT2_S5_S5_PS3_S5_PKi.num_named_barrier, 0
	.set _ZN9rocsparseL19gtsv_LBM_rhs_kernelILj256ELj16ELj4E21rocsparse_complex_numIdEEEviiiPKT2_S5_S5_PS3_S5_PKi.private_seg_size, 0
	.set _ZN9rocsparseL19gtsv_LBM_rhs_kernelILj256ELj16ELj4E21rocsparse_complex_numIdEEEviiiPKT2_S5_S5_PS3_S5_PKi.uses_vcc, 1
	.set _ZN9rocsparseL19gtsv_LBM_rhs_kernelILj256ELj16ELj4E21rocsparse_complex_numIdEEEviiiPKT2_S5_S5_PS3_S5_PKi.uses_flat_scratch, 0
	.set _ZN9rocsparseL19gtsv_LBM_rhs_kernelILj256ELj16ELj4E21rocsparse_complex_numIdEEEviiiPKT2_S5_S5_PS3_S5_PKi.has_dyn_sized_stack, 0
	.set _ZN9rocsparseL19gtsv_LBM_rhs_kernelILj256ELj16ELj4E21rocsparse_complex_numIdEEEviiiPKT2_S5_S5_PS3_S5_PKi.has_recursion, 0
	.set _ZN9rocsparseL19gtsv_LBM_rhs_kernelILj256ELj16ELj4E21rocsparse_complex_numIdEEEviiiPKT2_S5_S5_PS3_S5_PKi.has_indirect_call, 0
	.section	.AMDGPU.csdata,"",@progbits
; Kernel info:
; codeLenInByte = 4168
; TotalNumSgprs: 38
; NumVgprs: 98
; NumAgprs: 0
; TotalNumVgprs: 98
; ScratchSize: 0
; MemoryBound: 1
; FloatMode: 240
; IeeeMode: 1
; LDSByteSize: 0 bytes/workgroup (compile time only)
; SGPRBlocks: 4
; VGPRBlocks: 12
; NumSGPRsForWavesPerEU: 38
; NumVGPRsForWavesPerEU: 98
; AccumOffset: 100
; Occupancy: 4
; WaveLimiterHint : 0
; COMPUTE_PGM_RSRC2:SCRATCH_EN: 0
; COMPUTE_PGM_RSRC2:USER_SGPR: 2
; COMPUTE_PGM_RSRC2:TRAP_HANDLER: 0
; COMPUTE_PGM_RSRC2:TGID_X_EN: 1
; COMPUTE_PGM_RSRC2:TGID_Y_EN: 1
; COMPUTE_PGM_RSRC2:TGID_Z_EN: 0
; COMPUTE_PGM_RSRC2:TIDIG_COMP_CNT: 0
; COMPUTE_PGM_RSRC3_GFX90A:ACCUM_OFFSET: 24
; COMPUTE_PGM_RSRC3_GFX90A:TG_SPLIT: 0
	.section	.text._ZN9rocsparseL19gtsv_LBM_rhs_kernelILj256ELj16ELj2E21rocsparse_complex_numIdEEEviiiPKT2_S5_S5_PS3_S5_PKi,"axG",@progbits,_ZN9rocsparseL19gtsv_LBM_rhs_kernelILj256ELj16ELj2E21rocsparse_complex_numIdEEEviiiPKT2_S5_S5_PS3_S5_PKi,comdat
	.globl	_ZN9rocsparseL19gtsv_LBM_rhs_kernelILj256ELj16ELj2E21rocsparse_complex_numIdEEEviiiPKT2_S5_S5_PS3_S5_PKi ; -- Begin function _ZN9rocsparseL19gtsv_LBM_rhs_kernelILj256ELj16ELj2E21rocsparse_complex_numIdEEEviiiPKT2_S5_S5_PS3_S5_PKi
	.p2align	8
	.type	_ZN9rocsparseL19gtsv_LBM_rhs_kernelILj256ELj16ELj2E21rocsparse_complex_numIdEEEviiiPKT2_S5_S5_PS3_S5_PKi,@function
_ZN9rocsparseL19gtsv_LBM_rhs_kernelILj256ELj16ELj2E21rocsparse_complex_numIdEEEviiiPKT2_S5_S5_PS3_S5_PKi: ; @_ZN9rocsparseL19gtsv_LBM_rhs_kernelILj256ELj16ELj2E21rocsparse_complex_numIdEEEviiiPKT2_S5_S5_PS3_S5_PKi
; %bb.0:
	s_load_dword s23, s[0:1], 0x0
	v_lshl_or_b32 v24, s2, 8, v0
	s_waitcnt lgkmcnt(0)
	s_lshr_b32 s22, s23, 4
	v_cmp_gt_i32_e32 vcc, s22, v24
	s_and_saveexec_b64 s[4:5], vcc
	s_cbranch_execz .LBB310_29
; %bb.1:
	s_load_dwordx4 s[8:11], s[0:1], 0x28
	s_load_dwordx2 s[6:7], s[0:1], 0x38
	s_cmp_lt_i32 s23, 1
	v_add_u32_e32 v58, s22, v24
	s_mul_i32 s24, s3, s23
	s_cbranch_scc1 .LBB310_21
; %bb.2:
	s_load_dwordx4 s[12:15], s[0:1], 0x10
	s_load_dwordx2 s[16:17], s[0:1], 0x20
	v_ashrrev_i32_e32 v25, 31, v24
	s_lshl_b32 s28, s24, 1
	s_mul_i32 s25, s22, 15
	s_waitcnt lgkmcnt(0)
	v_lshl_add_u64 v[0:1], v[24:25], 4, s[14:15]
	global_load_dwordx4 v[4:7], v[0:1], off
	s_mul_i32 s26, s22, 14
	s_lshl_b32 s27, s22, 1
	v_add_u32_e32 v59, s22, v58
	s_add_i32 s29, s28, s23
	v_mov_b32_e32 v27, 0
	s_mov_b64 s[18:19], 0
	v_mov_b32_e32 v25, 0
	s_branch .LBB310_5
.LBB310_3:                              ;   in Loop: Header=BB310_5 Depth=1
	s_or_b64 exec, exec, s[4:5]
	v_fmac_f64_e32 v[30:31], v[0:1], v[8:9]
	v_fmac_f64_e32 v[28:29], v[2:3], v[8:9]
	v_mul_f64 v[0:1], v[20:21], -v[28:29]
	v_mul_f64 v[2:3], v[20:21], v[30:31]
	v_fmac_f64_e32 v[0:1], v[30:31], v[10:11]
	v_fmac_f64_e32 v[2:3], v[28:29], v[10:11]
	v_add_f64 v[4:5], v[12:13], -v[0:1]
	v_add_f64 v[6:7], v[14:15], -v[2:3]
	v_mov_b32_e32 v10, s22
.LBB310_4:                              ;   in Loop: Header=BB310_5 Depth=1
	s_or_b64 exec, exec, s[2:3]
	v_add_u32_e32 v25, v10, v25
	v_cmp_le_i32_e32 vcc, s23, v25
	s_or_b64 s[18:19], vcc, s[18:19]
	s_andn2_b64 exec, exec, s[18:19]
	s_cbranch_execz .LBB310_20
.LBB310_5:                              ; =>This Inner Loop Header: Depth=1
	v_add_u32_e32 v32, v25, v24
	v_ashrrev_i32_e32 v33, 31, v32
	v_lshl_add_u64 v[0:1], v[32:33], 4, s[16:17]
	global_load_dwordx4 v[8:11], v[0:1], off
	v_cmp_gt_u32_e64 s[0:1], s25, v25
	v_mov_b64_e32 v[12:13], 0
	v_mov_b64_e32 v[0:1], 0
	;; [unrolled: 1-line block ×3, first 2 shown]
	s_and_saveexec_b64 s[2:3], s[0:1]
	s_cbranch_execz .LBB310_7
; %bb.6:                                ;   in Loop: Header=BB310_5 Depth=1
	v_add_u32_e32 v0, v58, v25
	v_ashrrev_i32_e32 v1, 31, v0
	v_lshl_add_u64 v[0:1], v[0:1], 4, s[12:13]
	global_load_dwordx4 v[0:3], v[0:1], off
.LBB310_7:                              ;   in Loop: Header=BB310_5 Depth=1
	s_or_b64 exec, exec, s[2:3]
	v_mov_b64_e32 v[14:15], 0
	s_and_saveexec_b64 s[2:3], s[0:1]
	s_cbranch_execz .LBB310_9
; %bb.8:                                ;   in Loop: Header=BB310_5 Depth=1
	v_add_u32_e32 v12, v58, v25
	v_ashrrev_i32_e32 v13, 31, v12
	v_lshl_add_u64 v[12:13], v[12:13], 4, s[14:15]
	global_load_dwordx4 v[12:15], v[12:13], off
.LBB310_9:                              ;   in Loop: Header=BB310_5 Depth=1
	s_or_b64 exec, exec, s[2:3]
	v_mov_b64_e32 v[20:21], 0
	v_mov_b64_e32 v[16:17], 0
	;; [unrolled: 1-line block ×3, first 2 shown]
	s_and_saveexec_b64 s[2:3], s[0:1]
	s_cbranch_execz .LBB310_11
; %bb.10:                               ;   in Loop: Header=BB310_5 Depth=1
	v_add_u32_e32 v16, v58, v25
	v_ashrrev_i32_e32 v17, 31, v16
	v_lshl_add_u64 v[16:17], v[16:17], 4, s[16:17]
	global_load_dwordx4 v[16:19], v[16:17], off
.LBB310_11:                             ;   in Loop: Header=BB310_5 Depth=1
	s_or_b64 exec, exec, s[2:3]
	v_cmp_gt_u32_e64 s[2:3], s26, v25
	v_mov_b64_e32 v[22:23], 0
	s_and_saveexec_b64 s[4:5], s[2:3]
	s_cbranch_execz .LBB310_13
; %bb.12:                               ;   in Loop: Header=BB310_5 Depth=1
	v_add_u32_e32 v20, v59, v25
	v_ashrrev_i32_e32 v21, 31, v20
	v_lshl_add_u64 v[20:21], v[20:21], 4, s[12:13]
	global_load_dwordx4 v[20:23], v[20:21], off
.LBB310_13:                             ;   in Loop: Header=BB310_5 Depth=1
	s_or_b64 exec, exec, s[4:5]
	v_lshl_add_u64 v[28:29], v[32:33], 2, s[6:7]
	global_load_dword v33, v[28:29], off
	v_cmp_ne_u32_e32 vcc, s25, v25
	s_waitcnt vmcnt(1)
	v_mul_f64 v[30:31], v[10:11], -v[2:3]
	v_mul_f64 v[28:29], v[10:11], v[0:1]
	v_add_u32_e32 v26, s28, v32
	v_add_u32_e32 v32, s29, v32
	s_waitcnt vmcnt(0)
	v_cmp_ne_u32_e64 s[4:5], 1, v33
	s_and_b64 s[4:5], vcc, s[4:5]
	s_and_saveexec_b64 s[20:21], s[4:5]
	s_xor_b64 s[4:5], exec, s[20:21]
	s_cbranch_execz .LBB310_17
; %bb.14:                               ;   in Loop: Header=BB310_5 Depth=1
	v_mov_b32_e32 v33, v27
	v_lshl_add_u64 v[38:39], v[26:27], 4, s[8:9]
	v_lshl_add_u64 v[34:35], v[32:33], 4, s[8:9]
	v_add_u32_e32 v32, v58, v25
	global_load_dwordx4 v[42:45], v[38:39], off
	v_add_u32_e32 v26, s28, v32
	global_load_dwordx4 v[52:55], v[34:35], off
	v_lshl_add_u64 v[36:37], v[26:27], 4, s[8:9]
	global_load_dwordx4 v[60:63], v[36:37], off
	v_add_u32_e32 v26, s29, v32
	v_lshl_add_u64 v[32:33], v[26:27], 4, s[8:9]
	global_load_dwordx4 v[64:67], v[32:33], off
	v_mul_f64 v[46:47], v[4:5], v[14:15]
	v_mul_f64 v[40:41], v[14:15], -v[6:7]
	v_fmac_f64_e32 v[28:29], v[2:3], v[8:9]
	v_fmac_f64_e32 v[46:47], v[6:7], v[12:13]
	;; [unrolled: 1-line block ×4, first 2 shown]
	v_add_f64 v[28:29], v[46:47], -v[28:29]
	v_add_f64 v[30:31], v[40:41], -v[30:31]
	v_mul_f64 v[40:41], v[28:29], v[28:29]
	v_fmac_f64_e32 v[40:41], v[30:31], v[30:31]
	v_div_scale_f64 v[48:49], s[20:21], v[40:41], v[40:41], 1.0
	v_rcp_f64_e32 v[50:51], v[48:49]
	v_fma_f64 v[46:47], 0, v[28:29], v[30:31]
	v_fma_f64 v[30:31], v[30:31], 0, -v[28:29]
	v_div_scale_f64 v[28:29], vcc, 1.0, v[40:41], 1.0
	v_fma_f64 v[68:69], -v[48:49], v[50:51], 1.0
	v_fmac_f64_e32 v[50:51], v[50:51], v[68:69]
	v_fma_f64 v[68:69], -v[48:49], v[50:51], 1.0
	v_fmac_f64_e32 v[50:51], v[50:51], v[68:69]
	v_mul_f64 v[68:69], v[28:29], v[50:51]
	v_fma_f64 v[28:29], -v[48:49], v[68:69], v[28:29]
	v_div_fmas_f64 v[28:29], v[28:29], v[50:51], v[68:69]
	v_div_fixup_f64 v[40:41], v[28:29], v[40:41], 1.0
	v_mul_f64 v[30:31], v[30:31], v[40:41]
	v_mul_f64 v[28:29], v[46:47], v[40:41]
	v_mov_b64_e32 v[56:57], 0
	s_waitcnt vmcnt(3)
	v_mul_f64 v[40:41], v[30:31], -v[44:45]
	v_mul_f64 v[48:49], v[30:31], v[42:43]
	v_fmac_f64_e32 v[40:41], v[42:43], v[28:29]
	s_waitcnt vmcnt(2)
	v_mul_f64 v[42:43], v[30:31], -v[54:55]
	v_mul_f64 v[50:51], v[30:31], v[52:53]
	v_fmac_f64_e32 v[48:49], v[44:45], v[28:29]
	v_fmac_f64_e32 v[42:43], v[52:53], v[28:29]
	;; [unrolled: 1-line block ×3, first 2 shown]
	s_waitcnt vmcnt(1)
	v_mul_f64 v[44:45], v[30:31], -v[62:63]
	v_mul_f64 v[52:53], v[30:31], v[60:61]
	v_mul_f64 v[68:69], v[48:49], -v[14:15]
	v_fmac_f64_e32 v[44:45], v[60:61], v[28:29]
	v_fmac_f64_e32 v[52:53], v[62:63], v[28:29]
	v_mul_f64 v[60:61], v[50:51], -v[14:15]
	v_mul_f64 v[70:71], v[12:13], v[48:49]
	s_waitcnt vmcnt(0)
	v_mul_f64 v[54:55], v[30:31], v[64:65]
	v_fmac_f64_e32 v[68:69], v[12:13], v[40:41]
	v_mul_f64 v[62:63], v[12:13], v[50:51]
	v_fmac_f64_e32 v[60:61], v[12:13], v[42:43]
	v_mul_f64 v[12:13], v[52:53], -v[10:11]
	v_mul_f64 v[46:47], v[30:31], -v[66:67]
	v_fmac_f64_e32 v[70:71], v[14:15], v[40:41]
	v_fmac_f64_e32 v[54:55], v[66:67], v[28:29]
	;; [unrolled: 1-line block ×3, first 2 shown]
	v_mul_f64 v[14:15], v[8:9], v[52:53]
	v_fmac_f64_e32 v[12:13], v[8:9], v[44:45]
	v_mul_f64 v[72:73], v[2:3], v[48:49]
	v_mul_f64 v[74:75], v[48:49], -v[0:1]
	v_fmac_f64_e32 v[46:47], v[64:65], v[28:29]
	v_mul_f64 v[64:65], v[52:53], -v[6:7]
	v_mul_f64 v[66:67], v[4:5], v[52:53]
	v_fmac_f64_e32 v[14:15], v[10:11], v[44:45]
	v_mul_f64 v[76:77], v[54:55], -v[10:11]
	v_add_f64 v[12:13], v[68:69], -v[12:13]
	v_mul_f64 v[68:69], v[8:9], v[54:55]
	v_fma_f64 v[72:73], -v[0:1], v[40:41], v[72:73]
	v_fma_f64 v[74:75], -v[2:3], v[40:41], v[74:75]
	v_add_f64 v[14:15], v[70:71], -v[14:15]
	v_fmac_f64_e32 v[64:65], v[4:5], v[44:45]
	v_fmac_f64_e32 v[66:67], v[6:7], v[44:45]
	;; [unrolled: 1-line block ×4, first 2 shown]
	v_add_f64 v[8:9], v[72:73], v[64:65]
	v_add_f64 v[10:11], v[74:75], v[66:67]
	global_store_dwordx4 v[38:39], v[12:15], off
	s_nop 1
	v_add_f64 v[12:13], v[60:61], -v[76:77]
	v_add_f64 v[14:15], v[62:63], -v[68:69]
	global_store_dwordx4 v[34:35], v[12:15], off
	global_store_dwordx4 v[36:37], v[8:11], off
	s_nop 0
	v_mul_f64 v[12:13], v[54:55], -v[6:7]
	v_mul_f64 v[8:9], v[2:3], v[50:51]
	v_mul_f64 v[10:11], v[50:51], -v[0:1]
	v_mul_f64 v[14:15], v[4:5], v[54:55]
	v_fma_f64 v[8:9], -v[0:1], v[42:43], v[8:9]
	v_fma_f64 v[10:11], -v[2:3], v[42:43], v[10:11]
	v_fmac_f64_e32 v[12:13], v[4:5], v[46:47]
	v_fmac_f64_e32 v[14:15], v[6:7], v[46:47]
	v_add_f64 v[8:9], v[8:9], v[12:13]
	v_add_f64 v[10:11], v[10:11], v[14:15]
	global_store_dwordx4 v[32:33], v[8:11], off
	s_nop 1
	v_mov_b64_e32 v[8:9], 0
	s_and_saveexec_b64 s[20:21], s[2:3]
	s_cbranch_execz .LBB310_16
; %bb.15:                               ;   in Loop: Header=BB310_5 Depth=1
	v_add_u32_e32 v12, v59, v25
	v_add_u32_e32 v26, s28, v12
	v_lshl_add_u64 v[36:37], v[26:27], 4, s[8:9]
	v_add_u32_e32 v26, s29, v12
	v_ashrrev_i32_e32 v13, 31, v12
	global_load_dwordx4 v[8:11], v[36:37], off
	v_lshl_add_u64 v[12:13], v[12:13], 4, s[14:15]
	v_lshl_add_u64 v[38:39], v[26:27], 4, s[8:9]
	global_load_dwordx4 v[12:15], v[12:13], off
	v_mul_f64 v[56:57], v[2:3], v[22:23]
	global_load_dwordx4 v[32:35], v[38:39], off
	v_mul_f64 v[60:61], v[22:23], -v[0:1]
	v_mul_f64 v[62:63], v[22:23], -v[6:7]
	v_mul_f64 v[64:65], v[4:5], v[22:23]
	v_mul_f64 v[66:67], v[6:7], -v[22:23]
	v_mul_f64 v[68:69], v[6:7], v[20:21]
	v_fma_f64 v[0:1], -v[0:1], v[20:21], v[56:57]
	v_fma_f64 v[2:3], -v[2:3], v[20:21], v[60:61]
	v_fmac_f64_e32 v[62:63], v[4:5], v[20:21]
	v_fmac_f64_e32 v[64:65], v[6:7], v[20:21]
	;; [unrolled: 1-line block ×4, first 2 shown]
	v_mul_f64 v[4:5], v[2:3], v[48:49]
	v_mul_f64 v[6:7], v[48:49], -v[0:1]
	v_mul_f64 v[20:21], v[52:53], -v[64:65]
	v_mul_f64 v[22:23], v[62:63], v[52:53]
	v_mul_f64 v[56:57], v[18:19], -v[68:69]
	v_mul_f64 v[18:19], v[18:19], v[66:67]
	v_mul_f64 v[48:49], v[2:3], v[50:51]
	v_mul_f64 v[50:51], v[50:51], -v[0:1]
	v_mul_f64 v[52:53], v[54:55], -v[64:65]
	v_mul_f64 v[54:55], v[62:63], v[54:55]
	v_fma_f64 v[4:5], -v[0:1], v[40:41], v[4:5]
	v_fma_f64 v[6:7], -v[2:3], v[40:41], v[6:7]
	v_fmac_f64_e32 v[20:21], v[62:63], v[44:45]
	v_fmac_f64_e32 v[22:23], v[64:65], v[44:45]
	;; [unrolled: 1-line block ×4, first 2 shown]
	v_fma_f64 v[0:1], -v[0:1], v[42:43], v[48:49]
	v_fma_f64 v[2:3], -v[2:3], v[42:43], v[50:51]
	v_fmac_f64_e32 v[52:53], v[62:63], v[46:47]
	v_fmac_f64_e32 v[54:55], v[64:65], v[46:47]
	v_add_f64 v[4:5], v[4:5], -v[20:21]
	v_add_f64 v[6:7], v[6:7], -v[22:23]
	v_mul_f64 v[22:23], v[30:31], -v[18:19]
	v_mul_f64 v[30:31], v[30:31], v[56:57]
	v_add_f64 v[16:17], v[0:1], -v[52:53]
	v_add_f64 v[20:21], v[2:3], -v[54:55]
	v_fmac_f64_e32 v[22:23], v[56:57], v[28:29]
	v_fmac_f64_e32 v[30:31], v[18:19], v[28:29]
	s_waitcnt vmcnt(2)
	v_add_f64 v[0:1], v[4:5], v[8:9]
	v_add_f64 v[2:3], v[6:7], v[10:11]
	global_store_dwordx4 v[36:37], v[0:3], off
	s_waitcnt vmcnt(2)
	v_add_f64 v[8:9], v[12:13], -v[22:23]
	v_add_f64 v[56:57], v[14:15], -v[30:31]
	s_waitcnt vmcnt(1)
	v_add_f64 v[0:1], v[16:17], v[32:33]
	v_add_f64 v[2:3], v[20:21], v[34:35]
	global_store_dwordx4 v[38:39], v[0:3], off
.LBB310_16:                             ;   in Loop: Header=BB310_5 Depth=1
	s_or_b64 exec, exec, s[20:21]
	v_mov_b64_e32 v[6:7], v[56:57]
	v_mov_b64_e32 v[4:5], v[8:9]
                                        ; implicit-def: $vgpr0_vgpr1
                                        ; implicit-def: $vgpr12_vgpr13
                                        ; implicit-def: $vgpr8_vgpr9
                                        ; implicit-def: $vgpr30_vgpr31
                                        ; implicit-def: $vgpr28_vgpr29
                                        ; implicit-def: $vgpr32
.LBB310_17:                             ;   in Loop: Header=BB310_5 Depth=1
	s_or_saveexec_b64 s[2:3], s[4:5]
	v_mov_b32_e32 v10, s27
	s_xor_b64 exec, exec, s[2:3]
	s_cbranch_execz .LBB310_4
; %bb.18:                               ;   in Loop: Header=BB310_5 Depth=1
	v_mov_b32_e32 v33, v27
	v_lshl_add_u64 v[22:23], v[26:27], 4, s[8:9]
	v_lshl_add_u64 v[32:33], v[32:33], 4, s[8:9]
	global_load_dwordx4 v[34:37], v[22:23], off
	global_load_dwordx4 v[38:41], v[32:33], off
	v_mul_f64 v[10:11], v[6:7], v[6:7]
	v_fmac_f64_e32 v[10:11], v[4:5], v[4:5]
	v_div_scale_f64 v[18:19], s[4:5], v[10:11], v[10:11], 1.0
	v_rcp_f64_e32 v[20:21], v[18:19]
	v_fma_f64 v[16:17], 0, v[6:7], v[4:5]
	v_fma_f64 v[4:5], v[4:5], 0, -v[6:7]
	v_div_scale_f64 v[6:7], vcc, 1.0, v[10:11], 1.0
	v_fma_f64 v[42:43], -v[18:19], v[20:21], 1.0
	v_fmac_f64_e32 v[20:21], v[20:21], v[42:43]
	v_fma_f64 v[42:43], -v[18:19], v[20:21], 1.0
	v_fmac_f64_e32 v[20:21], v[20:21], v[42:43]
	v_mul_f64 v[42:43], v[6:7], v[20:21]
	v_fma_f64 v[6:7], -v[18:19], v[42:43], v[6:7]
	v_div_fmas_f64 v[6:7], v[6:7], v[20:21], v[42:43]
	v_div_fixup_f64 v[6:7], v[6:7], v[10:11], 1.0
	v_mul_f64 v[20:21], v[4:5], v[6:7]
	v_mul_f64 v[10:11], v[16:17], v[6:7]
	s_waitcnt vmcnt(1)
	v_mul_f64 v[16:17], v[20:21], -v[36:37]
	v_mul_f64 v[18:19], v[20:21], v[34:35]
	s_waitcnt vmcnt(0)
	v_mul_f64 v[4:5], v[20:21], -v[40:41]
	v_mul_f64 v[6:7], v[20:21], v[38:39]
	v_fmac_f64_e32 v[16:17], v[34:35], v[10:11]
	v_fmac_f64_e32 v[18:19], v[36:37], v[10:11]
	;; [unrolled: 1-line block ×4, first 2 shown]
	global_store_dwordx4 v[22:23], v[16:19], off
	global_store_dwordx4 v[32:33], v[4:7], off
	s_and_saveexec_b64 s[4:5], s[0:1]
	s_cbranch_execz .LBB310_3
; %bb.19:                               ;   in Loop: Header=BB310_5 Depth=1
	v_add_u32_e32 v36, v58, v25
	v_add_u32_e32 v26, s28, v36
	v_lshl_add_u64 v[22:23], v[26:27], 4, s[8:9]
	v_add_u32_e32 v26, s29, v36
	global_load_dwordx4 v[32:35], v[22:23], off
	v_lshl_add_u64 v[40:41], v[26:27], 4, s[8:9]
	global_load_dwordx4 v[36:39], v[40:41], off
	s_waitcnt vmcnt(1)
	v_fma_f64 v[32:33], -v[0:1], v[16:17], v[32:33]
	v_fma_f64 v[16:17], -v[2:3], v[16:17], v[34:35]
	;; [unrolled: 1-line block ×3, first 2 shown]
	s_waitcnt vmcnt(0)
	v_fma_f64 v[16:17], -v[0:1], v[4:5], v[36:37]
	v_fma_f64 v[4:5], -v[2:3], v[4:5], v[38:39]
	v_fmac_f64_e32 v[32:33], v[2:3], v[18:19]
	v_fmac_f64_e32 v[16:17], v[2:3], v[6:7]
	v_fma_f64 v[18:19], -v[0:1], v[6:7], v[4:5]
	global_store_dwordx4 v[22:23], v[32:35], off
	global_store_dwordx4 v[40:41], v[16:19], off
	s_branch .LBB310_3
.LBB310_20:
	s_or_b64 exec, exec, s[18:19]
	s_branch .LBB310_22
.LBB310_21:
	v_mov_b32_e32 v25, 0
.LBB310_22:
	v_subrev_u32_e32 v2, s22, v25
	v_add_u32_e32 v0, v2, v24
	v_ashrrev_i32_e32 v1, 31, v0
	s_waitcnt lgkmcnt(0)
	v_lshl_add_u64 v[0:1], v[0:1], 2, s[6:7]
	buffer_wbl2 sc1
	s_waitcnt vmcnt(0)
	buffer_inv sc1
	global_load_dword v0, v[0:1], off
	s_waitcnt vmcnt(0)
	v_mul_lo_u32 v0, v0, s22
	v_sub_u32_e32 v8, v2, v0
	v_cmp_lt_i32_e32 vcc, -1, v8
	s_and_b64 exec, exec, vcc
	s_cbranch_execz .LBB310_29
; %bb.23:
	s_lshl_b32 s4, s24, 1
	s_add_i32 s5, s4, s23
	s_lshl_b32 s12, s22, 1
	s_mov_b64 s[0:1], 0
	v_mov_b32_e32 v5, 0
	s_branch .LBB310_25
.LBB310_24:                             ;   in Loop: Header=BB310_25 Depth=1
	s_or_b64 exec, exec, s[2:3]
	v_sub_u32_e32 v8, v8, v4
	v_cmp_gt_i32_e32 vcc, 0, v8
	s_or_b64 s[0:1], vcc, s[0:1]
	s_andn2_b64 exec, exec, s[0:1]
	s_cbranch_execz .LBB310_29
.LBB310_25:                             ; =>This Inner Loop Header: Depth=1
	v_add_u32_e32 v6, v8, v24
	v_ashrrev_i32_e32 v7, 31, v6
	s_waitcnt vmcnt(0)
	v_lshl_add_u64 v[0:1], v[6:7], 2, s[6:7]
	global_load_dword v4, v[0:1], off
	v_lshl_add_u64 v[0:1], v[6:7], 4, s[10:11]
	global_load_dwordx4 v[0:3], v[0:1], off
	s_waitcnt vmcnt(1)
	v_cmp_ne_u32_e32 vcc, 1, v4
	s_and_saveexec_b64 s[2:3], vcc
	s_xor_b64 s[2:3], exec, s[2:3]
	s_cbranch_execz .LBB310_27
; %bb.26:                               ;   in Loop: Header=BB310_25 Depth=1
	v_add_u32_e32 v7, v58, v8
	v_add_u32_e32 v4, s4, v7
	v_lshl_add_u64 v[22:23], v[4:5], 4, s[8:9]
	v_add_u32_e32 v4, s5, v7
	v_lshl_add_u64 v[26:27], v[4:5], 4, s[8:9]
	;; [unrolled: 2-line block ×3, first 2 shown]
	global_load_dwordx4 v[10:13], v[28:29], off
	global_load_dwordx4 v[14:17], v[22:23], off
	;; [unrolled: 1-line block ×3, first 2 shown]
	v_add_u32_e32 v4, s5, v6
	v_lshl_add_u64 v[6:7], v[4:5], 4, s[8:9]
	v_subrev_u32_e32 v4, s22, v8
	v_add_u32_e32 v22, v4, v24
	v_ashrrev_i32_e32 v23, 31, v22
	v_add_u32_e32 v4, s4, v22
	v_lshl_add_u64 v[26:27], v[22:23], 4, s[10:11]
	v_lshl_add_u64 v[30:31], v[4:5], 4, s[8:9]
	v_add_u32_e32 v4, s5, v22
	s_waitcnt vmcnt(1)
	v_fma_f64 v[10:11], -v[0:1], v[14:15], v[10:11]
	v_fma_f64 v[12:13], -v[2:3], v[14:15], v[12:13]
	v_fmac_f64_e32 v[10:11], v[2:3], v[16:17]
	v_fma_f64 v[12:13], -v[0:1], v[16:17], v[12:13]
	global_store_dwordx4 v[28:29], v[10:13], off
	global_load_dwordx4 v[10:13], v[6:7], off
	s_nop 0
	global_load_dwordx4 v[26:29], v[26:27], off
	s_waitcnt vmcnt(1)
	v_fma_f64 v[10:11], -v[0:1], v[18:19], v[10:11]
	v_fma_f64 v[12:13], -v[2:3], v[18:19], v[12:13]
	v_fmac_f64_e32 v[10:11], v[2:3], v[20:21]
	v_fma_f64 v[12:13], -v[0:1], v[20:21], v[12:13]
	global_store_dwordx4 v[6:7], v[10:13], off
	global_load_dwordx4 v[0:3], v[30:31], off
	v_lshl_add_u64 v[6:7], v[4:5], 4, s[8:9]
	s_waitcnt vmcnt(0)
	v_fma_f64 v[0:1], -v[26:27], v[14:15], v[0:1]
	v_fma_f64 v[2:3], -v[28:29], v[14:15], v[2:3]
	v_fmac_f64_e32 v[0:1], v[28:29], v[16:17]
	v_fma_f64 v[2:3], -v[26:27], v[16:17], v[2:3]
	global_store_dwordx4 v[30:31], v[0:3], off
	global_load_dwordx4 v[0:3], v[6:7], off
	s_waitcnt vmcnt(0)
	v_fma_f64 v[0:1], -v[26:27], v[18:19], v[0:1]
	v_fma_f64 v[2:3], -v[28:29], v[18:19], v[2:3]
	v_fmac_f64_e32 v[0:1], v[28:29], v[20:21]
	v_fma_f64 v[2:3], -v[26:27], v[20:21], v[2:3]
	global_store_dwordx4 v[6:7], v[0:3], off
                                        ; implicit-def: $vgpr6
                                        ; implicit-def: $vgpr0_vgpr1
.LBB310_27:                             ;   in Loop: Header=BB310_25 Depth=1
	s_or_saveexec_b64 s[2:3], s[2:3]
	v_mov_b32_e32 v4, s12
	s_xor_b64 exec, exec, s[2:3]
	s_cbranch_execz .LBB310_24
; %bb.28:                               ;   in Loop: Header=BB310_25 Depth=1
	v_add_u32_e32 v7, v58, v8
	v_add_u32_e32 v4, s4, v7
	v_lshl_add_u64 v[18:19], v[4:5], 4, s[8:9]
	v_add_u32_e32 v4, s4, v6
	v_lshl_add_u64 v[20:21], v[4:5], 4, s[8:9]
	global_load_dwordx4 v[10:13], v[18:19], off
	global_load_dwordx4 v[14:17], v[20:21], off
	v_add_u32_e32 v4, s5, v7
	v_lshl_add_u64 v[18:19], v[4:5], 4, s[8:9]
	v_add_u32_e32 v4, s5, v6
	v_lshl_add_u64 v[6:7], v[4:5], 4, s[8:9]
	v_mov_b32_e32 v4, s22
	s_waitcnt vmcnt(0)
	v_fma_f64 v[14:15], -v[0:1], v[10:11], v[14:15]
	v_fma_f64 v[10:11], -v[2:3], v[10:11], v[16:17]
	v_fmac_f64_e32 v[14:15], v[2:3], v[12:13]
	v_fma_f64 v[16:17], -v[0:1], v[12:13], v[10:11]
	global_store_dwordx4 v[20:21], v[14:17], off
	global_load_dwordx4 v[10:13], v[18:19], off
	s_nop 0
	global_load_dwordx4 v[14:17], v[6:7], off
	s_waitcnt vmcnt(0)
	v_fma_f64 v[14:15], -v[0:1], v[10:11], v[14:15]
	v_fma_f64 v[10:11], -v[2:3], v[10:11], v[16:17]
	v_fmac_f64_e32 v[14:15], v[2:3], v[12:13]
	v_fma_f64 v[16:17], -v[0:1], v[12:13], v[10:11]
	global_store_dwordx4 v[6:7], v[14:17], off
	s_branch .LBB310_24
.LBB310_29:
	s_endpgm
	.section	.rodata,"a",@progbits
	.p2align	6, 0x0
	.amdhsa_kernel _ZN9rocsparseL19gtsv_LBM_rhs_kernelILj256ELj16ELj2E21rocsparse_complex_numIdEEEviiiPKT2_S5_S5_PS3_S5_PKi
		.amdhsa_group_segment_fixed_size 0
		.amdhsa_private_segment_fixed_size 0
		.amdhsa_kernarg_size 64
		.amdhsa_user_sgpr_count 2
		.amdhsa_user_sgpr_dispatch_ptr 0
		.amdhsa_user_sgpr_queue_ptr 0
		.amdhsa_user_sgpr_kernarg_segment_ptr 1
		.amdhsa_user_sgpr_dispatch_id 0
		.amdhsa_user_sgpr_kernarg_preload_length 0
		.amdhsa_user_sgpr_kernarg_preload_offset 0
		.amdhsa_user_sgpr_private_segment_size 0
		.amdhsa_uses_dynamic_stack 0
		.amdhsa_enable_private_segment 0
		.amdhsa_system_sgpr_workgroup_id_x 1
		.amdhsa_system_sgpr_workgroup_id_y 1
		.amdhsa_system_sgpr_workgroup_id_z 0
		.amdhsa_system_sgpr_workgroup_info 0
		.amdhsa_system_vgpr_workitem_id 0
		.amdhsa_next_free_vgpr 78
		.amdhsa_next_free_sgpr 30
		.amdhsa_accum_offset 80
		.amdhsa_reserve_vcc 1
		.amdhsa_float_round_mode_32 0
		.amdhsa_float_round_mode_16_64 0
		.amdhsa_float_denorm_mode_32 3
		.amdhsa_float_denorm_mode_16_64 3
		.amdhsa_dx10_clamp 1
		.amdhsa_ieee_mode 1
		.amdhsa_fp16_overflow 0
		.amdhsa_tg_split 0
		.amdhsa_exception_fp_ieee_invalid_op 0
		.amdhsa_exception_fp_denorm_src 0
		.amdhsa_exception_fp_ieee_div_zero 0
		.amdhsa_exception_fp_ieee_overflow 0
		.amdhsa_exception_fp_ieee_underflow 0
		.amdhsa_exception_fp_ieee_inexact 0
		.amdhsa_exception_int_div_zero 0
	.end_amdhsa_kernel
	.section	.text._ZN9rocsparseL19gtsv_LBM_rhs_kernelILj256ELj16ELj2E21rocsparse_complex_numIdEEEviiiPKT2_S5_S5_PS3_S5_PKi,"axG",@progbits,_ZN9rocsparseL19gtsv_LBM_rhs_kernelILj256ELj16ELj2E21rocsparse_complex_numIdEEEviiiPKT2_S5_S5_PS3_S5_PKi,comdat
.Lfunc_end310:
	.size	_ZN9rocsparseL19gtsv_LBM_rhs_kernelILj256ELj16ELj2E21rocsparse_complex_numIdEEEviiiPKT2_S5_S5_PS3_S5_PKi, .Lfunc_end310-_ZN9rocsparseL19gtsv_LBM_rhs_kernelILj256ELj16ELj2E21rocsparse_complex_numIdEEEviiiPKT2_S5_S5_PS3_S5_PKi
                                        ; -- End function
	.set _ZN9rocsparseL19gtsv_LBM_rhs_kernelILj256ELj16ELj2E21rocsparse_complex_numIdEEEviiiPKT2_S5_S5_PS3_S5_PKi.num_vgpr, 78
	.set _ZN9rocsparseL19gtsv_LBM_rhs_kernelILj256ELj16ELj2E21rocsparse_complex_numIdEEEviiiPKT2_S5_S5_PS3_S5_PKi.num_agpr, 0
	.set _ZN9rocsparseL19gtsv_LBM_rhs_kernelILj256ELj16ELj2E21rocsparse_complex_numIdEEEviiiPKT2_S5_S5_PS3_S5_PKi.numbered_sgpr, 30
	.set _ZN9rocsparseL19gtsv_LBM_rhs_kernelILj256ELj16ELj2E21rocsparse_complex_numIdEEEviiiPKT2_S5_S5_PS3_S5_PKi.num_named_barrier, 0
	.set _ZN9rocsparseL19gtsv_LBM_rhs_kernelILj256ELj16ELj2E21rocsparse_complex_numIdEEEviiiPKT2_S5_S5_PS3_S5_PKi.private_seg_size, 0
	.set _ZN9rocsparseL19gtsv_LBM_rhs_kernelILj256ELj16ELj2E21rocsparse_complex_numIdEEEviiiPKT2_S5_S5_PS3_S5_PKi.uses_vcc, 1
	.set _ZN9rocsparseL19gtsv_LBM_rhs_kernelILj256ELj16ELj2E21rocsparse_complex_numIdEEEviiiPKT2_S5_S5_PS3_S5_PKi.uses_flat_scratch, 0
	.set _ZN9rocsparseL19gtsv_LBM_rhs_kernelILj256ELj16ELj2E21rocsparse_complex_numIdEEEviiiPKT2_S5_S5_PS3_S5_PKi.has_dyn_sized_stack, 0
	.set _ZN9rocsparseL19gtsv_LBM_rhs_kernelILj256ELj16ELj2E21rocsparse_complex_numIdEEEviiiPKT2_S5_S5_PS3_S5_PKi.has_recursion, 0
	.set _ZN9rocsparseL19gtsv_LBM_rhs_kernelILj256ELj16ELj2E21rocsparse_complex_numIdEEEviiiPKT2_S5_S5_PS3_S5_PKi.has_indirect_call, 0
	.section	.AMDGPU.csdata,"",@progbits
; Kernel info:
; codeLenInByte = 2732
; TotalNumSgprs: 36
; NumVgprs: 78
; NumAgprs: 0
; TotalNumVgprs: 78
; ScratchSize: 0
; MemoryBound: 1
; FloatMode: 240
; IeeeMode: 1
; LDSByteSize: 0 bytes/workgroup (compile time only)
; SGPRBlocks: 4
; VGPRBlocks: 9
; NumSGPRsForWavesPerEU: 36
; NumVGPRsForWavesPerEU: 78
; AccumOffset: 80
; Occupancy: 6
; WaveLimiterHint : 0
; COMPUTE_PGM_RSRC2:SCRATCH_EN: 0
; COMPUTE_PGM_RSRC2:USER_SGPR: 2
; COMPUTE_PGM_RSRC2:TRAP_HANDLER: 0
; COMPUTE_PGM_RSRC2:TGID_X_EN: 1
; COMPUTE_PGM_RSRC2:TGID_Y_EN: 1
; COMPUTE_PGM_RSRC2:TGID_Z_EN: 0
; COMPUTE_PGM_RSRC2:TIDIG_COMP_CNT: 0
; COMPUTE_PGM_RSRC3_GFX90A:ACCUM_OFFSET: 19
; COMPUTE_PGM_RSRC3_GFX90A:TG_SPLIT: 0
	.section	.text._ZN9rocsparseL19gtsv_LBM_rhs_kernelILj256ELj16ELj1E21rocsparse_complex_numIdEEEviiiPKT2_S5_S5_PS3_S5_PKi,"axG",@progbits,_ZN9rocsparseL19gtsv_LBM_rhs_kernelILj256ELj16ELj1E21rocsparse_complex_numIdEEEviiiPKT2_S5_S5_PS3_S5_PKi,comdat
	.globl	_ZN9rocsparseL19gtsv_LBM_rhs_kernelILj256ELj16ELj1E21rocsparse_complex_numIdEEEviiiPKT2_S5_S5_PS3_S5_PKi ; -- Begin function _ZN9rocsparseL19gtsv_LBM_rhs_kernelILj256ELj16ELj1E21rocsparse_complex_numIdEEEviiiPKT2_S5_S5_PS3_S5_PKi
	.p2align	8
	.type	_ZN9rocsparseL19gtsv_LBM_rhs_kernelILj256ELj16ELj1E21rocsparse_complex_numIdEEEviiiPKT2_S5_S5_PS3_S5_PKi,@function
_ZN9rocsparseL19gtsv_LBM_rhs_kernelILj256ELj16ELj1E21rocsparse_complex_numIdEEEviiiPKT2_S5_S5_PS3_S5_PKi: ; @_ZN9rocsparseL19gtsv_LBM_rhs_kernelILj256ELj16ELj1E21rocsparse_complex_numIdEEEviiiPKT2_S5_S5_PS3_S5_PKi
; %bb.0:
	s_load_dword s24, s[0:1], 0x0
	v_lshl_or_b32 v24, s2, 8, v0
	s_waitcnt lgkmcnt(0)
	s_lshr_b32 s22, s24, 4
	v_cmp_gt_i32_e32 vcc, s22, v24
	s_and_saveexec_b64 s[4:5], vcc
	s_cbranch_execz .LBB311_29
; %bb.1:
	s_load_dwordx4 s[8:11], s[0:1], 0x28
	s_load_dwordx2 s[6:7], s[0:1], 0x38
	s_cmp_lt_i32 s24, 1
	s_mul_i32 s23, s24, s3
	s_cbranch_scc1 .LBB311_21
; %bb.2:
	s_load_dwordx4 s[12:15], s[0:1], 0x10
	s_load_dwordx2 s[16:17], s[0:1], 0x20
	v_ashrrev_i32_e32 v25, 31, v24
	v_add_u32_e32 v42, s22, v24
	s_mul_i32 s25, s22, 15
	s_waitcnt lgkmcnt(0)
	v_lshl_add_u64 v[0:1], v[24:25], 4, s[14:15]
	global_load_dwordx4 v[0:3], v[0:1], off
	s_mul_i32 s26, s22, 14
	s_lshl_b32 s27, s22, 1
	v_add_u32_e32 v43, s22, v42
	v_add_u32_e32 v44, s23, v42
	v_mov_b32_e32 v27, 0
	s_mov_b64 s[18:19], 0
	v_mov_b32_e32 v25, 0
	s_branch .LBB311_5
.LBB311_3:                              ;   in Loop: Header=BB311_5 Depth=1
	s_or_b64 exec, exec, s[4:5]
	v_fmac_f64_e32 v[30:31], v[4:5], v[8:9]
	v_fmac_f64_e32 v[28:29], v[6:7], v[8:9]
	v_mul_f64 v[0:1], v[16:17], -v[28:29]
	v_mul_f64 v[2:3], v[16:17], v[30:31]
	v_fmac_f64_e32 v[0:1], v[30:31], v[10:11]
	v_fmac_f64_e32 v[2:3], v[28:29], v[10:11]
	v_add_f64 v[0:1], v[12:13], -v[0:1]
	v_add_f64 v[2:3], v[14:15], -v[2:3]
	v_mov_b32_e32 v10, s22
.LBB311_4:                              ;   in Loop: Header=BB311_5 Depth=1
	s_or_b64 exec, exec, s[2:3]
	v_add_u32_e32 v25, v10, v25
	v_cmp_le_i32_e32 vcc, s24, v25
	s_or_b64 s[18:19], vcc, s[18:19]
	s_andn2_b64 exec, exec, s[18:19]
	s_cbranch_execz .LBB311_20
.LBB311_5:                              ; =>This Inner Loop Header: Depth=1
	v_add_u32_e32 v32, v25, v24
	v_ashrrev_i32_e32 v33, 31, v32
	v_lshl_add_u64 v[4:5], v[32:33], 4, s[16:17]
	global_load_dwordx4 v[8:11], v[4:5], off
	v_cmp_gt_u32_e64 s[0:1], s25, v25
	v_mov_b64_e32 v[12:13], 0
	v_add_u32_e32 v22, v42, v25
	v_mov_b64_e32 v[4:5], 0
	v_mov_b64_e32 v[6:7], 0
	s_and_saveexec_b64 s[2:3], s[0:1]
	s_cbranch_execz .LBB311_7
; %bb.6:                                ;   in Loop: Header=BB311_5 Depth=1
	v_ashrrev_i32_e32 v23, 31, v22
	v_lshl_add_u64 v[4:5], v[22:23], 4, s[12:13]
	global_load_dwordx4 v[4:7], v[4:5], off
.LBB311_7:                              ;   in Loop: Header=BB311_5 Depth=1
	s_or_b64 exec, exec, s[2:3]
	v_mov_b64_e32 v[14:15], 0
	s_and_saveexec_b64 s[2:3], s[0:1]
	s_cbranch_execz .LBB311_9
; %bb.8:                                ;   in Loop: Header=BB311_5 Depth=1
	v_ashrrev_i32_e32 v23, 31, v22
	v_lshl_add_u64 v[12:13], v[22:23], 4, s[14:15]
	global_load_dwordx4 v[12:15], v[12:13], off
.LBB311_9:                              ;   in Loop: Header=BB311_5 Depth=1
	s_or_b64 exec, exec, s[2:3]
	v_mov_b64_e32 v[20:21], 0
	v_mov_b64_e32 v[16:17], 0
	;; [unrolled: 1-line block ×3, first 2 shown]
	s_and_saveexec_b64 s[2:3], s[0:1]
	s_cbranch_execz .LBB311_11
; %bb.10:                               ;   in Loop: Header=BB311_5 Depth=1
	v_ashrrev_i32_e32 v23, 31, v22
	v_lshl_add_u64 v[16:17], v[22:23], 4, s[16:17]
	global_load_dwordx4 v[16:19], v[16:17], off
.LBB311_11:                             ;   in Loop: Header=BB311_5 Depth=1
	s_or_b64 exec, exec, s[2:3]
	v_cmp_gt_u32_e64 s[2:3], s26, v25
	v_mov_b64_e32 v[22:23], 0
	s_and_saveexec_b64 s[4:5], s[2:3]
	s_cbranch_execz .LBB311_13
; %bb.12:                               ;   in Loop: Header=BB311_5 Depth=1
	v_add_u32_e32 v20, v43, v25
	v_ashrrev_i32_e32 v21, 31, v20
	v_lshl_add_u64 v[20:21], v[20:21], 4, s[12:13]
	global_load_dwordx4 v[20:23], v[20:21], off
.LBB311_13:                             ;   in Loop: Header=BB311_5 Depth=1
	s_or_b64 exec, exec, s[4:5]
	v_lshl_add_u64 v[28:29], v[32:33], 2, s[6:7]
	global_load_dword v26, v[28:29], off
	v_cmp_ne_u32_e32 vcc, s25, v25
	s_waitcnt vmcnt(1)
	v_mul_f64 v[30:31], v[10:11], -v[6:7]
	v_mul_f64 v[28:29], v[10:11], v[4:5]
	s_waitcnt vmcnt(0)
	v_cmp_ne_u32_e64 s[4:5], 1, v26
	s_and_b64 s[4:5], vcc, s[4:5]
	v_add_u32_e32 v26, s23, v32
	s_and_saveexec_b64 s[20:21], s[4:5]
	s_xor_b64 s[4:5], exec, s[20:21]
	s_cbranch_execz .LBB311_17
; %bb.14:                               ;   in Loop: Header=BB311_5 Depth=1
	v_lshl_add_u64 v[54:55], v[26:27], 4, s[8:9]
	v_add_u32_e32 v26, v44, v25
	global_load_dwordx4 v[46:49], v[54:55], off
	v_lshl_add_u64 v[56:57], v[26:27], 4, s[8:9]
	global_load_dwordx4 v[50:53], v[56:57], off
	v_mul_f64 v[34:35], v[0:1], v[14:15]
	v_mul_f64 v[32:33], v[14:15], -v[2:3]
	v_fmac_f64_e32 v[28:29], v[6:7], v[8:9]
	v_fmac_f64_e32 v[34:35], v[2:3], v[12:13]
	;; [unrolled: 1-line block ×4, first 2 shown]
	v_add_f64 v[28:29], v[34:35], -v[28:29]
	v_add_f64 v[30:31], v[32:33], -v[30:31]
	v_mul_f64 v[32:33], v[28:29], v[28:29]
	v_fmac_f64_e32 v[32:33], v[30:31], v[30:31]
	v_div_scale_f64 v[36:37], s[20:21], v[32:33], v[32:33], 1.0
	v_rcp_f64_e32 v[38:39], v[36:37]
	v_fma_f64 v[34:35], 0, v[28:29], v[30:31]
	v_fma_f64 v[30:31], v[30:31], 0, -v[28:29]
	v_div_scale_f64 v[28:29], vcc, 1.0, v[32:33], 1.0
	v_fma_f64 v[58:59], -v[36:37], v[38:39], 1.0
	v_fmac_f64_e32 v[38:39], v[38:39], v[58:59]
	v_fma_f64 v[58:59], -v[36:37], v[38:39], 1.0
	v_fmac_f64_e32 v[38:39], v[38:39], v[58:59]
	v_mul_f64 v[58:59], v[28:29], v[38:39]
	v_fma_f64 v[28:29], -v[36:37], v[58:59], v[28:29]
	v_div_fmas_f64 v[28:29], v[28:29], v[38:39], v[58:59]
	v_div_fixup_f64 v[32:33], v[28:29], v[32:33], 1.0
	v_mul_f64 v[30:31], v[30:31], v[32:33]
	v_mul_f64 v[28:29], v[34:35], v[32:33]
	v_mov_b64_e32 v[40:41], 0
	s_waitcnt vmcnt(1)
	v_mul_f64 v[36:37], v[30:31], v[46:47]
	v_mul_f64 v[32:33], v[30:31], -v[48:49]
	v_fmac_f64_e32 v[36:37], v[48:49], v[28:29]
	s_waitcnt vmcnt(0)
	v_mul_f64 v[38:39], v[30:31], v[50:51]
	v_fmac_f64_e32 v[32:33], v[46:47], v[28:29]
	v_mul_f64 v[34:35], v[30:31], -v[52:53]
	v_fmac_f64_e32 v[38:39], v[52:53], v[28:29]
	v_mul_f64 v[46:47], v[36:37], -v[14:15]
	v_mul_f64 v[48:49], v[12:13], v[36:37]
	v_fmac_f64_e32 v[34:35], v[50:51], v[28:29]
	v_fmac_f64_e32 v[46:47], v[12:13], v[32:33]
	;; [unrolled: 1-line block ×3, first 2 shown]
	v_mul_f64 v[12:13], v[38:39], -v[10:11]
	v_mul_f64 v[14:15], v[8:9], v[38:39]
	v_mul_f64 v[50:51], v[6:7], v[36:37]
	v_mul_f64 v[52:53], v[36:37], -v[4:5]
	v_mul_f64 v[58:59], v[38:39], -v[2:3]
	v_mul_f64 v[60:61], v[0:1], v[38:39]
	v_fmac_f64_e32 v[12:13], v[8:9], v[34:35]
	v_fmac_f64_e32 v[14:15], v[10:11], v[34:35]
	v_fma_f64 v[50:51], -v[4:5], v[32:33], v[50:51]
	v_fma_f64 v[52:53], -v[6:7], v[32:33], v[52:53]
	v_fmac_f64_e32 v[58:59], v[0:1], v[34:35]
	v_fmac_f64_e32 v[60:61], v[2:3], v[34:35]
	v_add_f64 v[8:9], v[46:47], -v[12:13]
	v_add_f64 v[10:11], v[48:49], -v[14:15]
	v_add_f64 v[12:13], v[50:51], v[58:59]
	v_add_f64 v[14:15], v[52:53], v[60:61]
	global_store_dwordx4 v[54:55], v[8:11], off
	global_store_dwordx4 v[56:57], v[12:15], off
	s_nop 0
	v_mov_b64_e32 v[8:9], 0
	s_and_saveexec_b64 s[20:21], s[2:3]
	s_cbranch_execz .LBB311_16
; %bb.15:                               ;   in Loop: Header=BB311_5 Depth=1
	v_add_u32_e32 v12, v43, v25
	v_add_u32_e32 v26, s23, v12
	v_lshl_add_u64 v[40:41], v[26:27], 4, s[8:9]
	v_ashrrev_i32_e32 v13, 31, v12
	global_load_dwordx4 v[8:11], v[40:41], off
	v_lshl_add_u64 v[12:13], v[12:13], 4, s[14:15]
	global_load_dwordx4 v[12:15], v[12:13], off
	v_mul_f64 v[46:47], v[6:7], v[22:23]
	v_mul_f64 v[48:49], v[22:23], -v[4:5]
	v_mul_f64 v[50:51], v[22:23], -v[2:3]
	v_mul_f64 v[52:53], v[0:1], v[22:23]
	v_mul_f64 v[54:55], v[2:3], -v[22:23]
	v_mul_f64 v[56:57], v[2:3], v[20:21]
	v_fma_f64 v[4:5], -v[4:5], v[20:21], v[46:47]
	v_fma_f64 v[6:7], -v[6:7], v[20:21], v[48:49]
	v_fmac_f64_e32 v[50:51], v[0:1], v[20:21]
	v_fmac_f64_e32 v[52:53], v[2:3], v[20:21]
	;; [unrolled: 1-line block ×4, first 2 shown]
	v_mul_f64 v[0:1], v[6:7], v[36:37]
	v_mul_f64 v[2:3], v[36:37], -v[4:5]
	v_mul_f64 v[20:21], v[38:39], -v[52:53]
	v_mul_f64 v[22:23], v[50:51], v[38:39]
	v_mul_f64 v[36:37], v[18:19], -v[56:57]
	v_mul_f64 v[18:19], v[18:19], v[54:55]
	v_fma_f64 v[0:1], -v[4:5], v[32:33], v[0:1]
	v_fma_f64 v[2:3], -v[6:7], v[32:33], v[2:3]
	v_fmac_f64_e32 v[20:21], v[50:51], v[34:35]
	v_fmac_f64_e32 v[22:23], v[52:53], v[34:35]
	v_fmac_f64_e32 v[36:37], v[54:55], v[16:17]
	v_fmac_f64_e32 v[18:19], v[56:57], v[16:17]
	v_add_f64 v[0:1], v[0:1], -v[20:21]
	v_add_f64 v[2:3], v[2:3], -v[22:23]
	v_mul_f64 v[4:5], v[30:31], -v[18:19]
	v_mul_f64 v[6:7], v[30:31], v[36:37]
	v_fmac_f64_e32 v[4:5], v[36:37], v[28:29]
	v_fmac_f64_e32 v[6:7], v[18:19], v[28:29]
	s_waitcnt vmcnt(1)
	v_add_f64 v[0:1], v[0:1], v[8:9]
	v_add_f64 v[2:3], v[2:3], v[10:11]
	s_waitcnt vmcnt(0)
	v_add_f64 v[8:9], v[12:13], -v[4:5]
	global_store_dwordx4 v[40:41], v[0:3], off
	v_add_f64 v[40:41], v[14:15], -v[6:7]
.LBB311_16:                             ;   in Loop: Header=BB311_5 Depth=1
	s_or_b64 exec, exec, s[20:21]
	v_mov_b64_e32 v[2:3], v[40:41]
	v_mov_b64_e32 v[0:1], v[8:9]
                                        ; implicit-def: $vgpr4_vgpr5
                                        ; implicit-def: $vgpr12_vgpr13
                                        ; implicit-def: $vgpr8_vgpr9
                                        ; implicit-def: $vgpr30_vgpr31
                                        ; implicit-def: $vgpr28_vgpr29
.LBB311_17:                             ;   in Loop: Header=BB311_5 Depth=1
	s_or_saveexec_b64 s[2:3], s[4:5]
	v_mov_b32_e32 v10, s27
	s_xor_b64 exec, exec, s[2:3]
	s_cbranch_execz .LBB311_4
; %bb.18:                               ;   in Loop: Header=BB311_5 Depth=1
	v_lshl_add_u64 v[22:23], v[26:27], 4, s[8:9]
	global_load_dwordx4 v[18:21], v[22:23], off
	v_mul_f64 v[10:11], v[2:3], v[2:3]
	v_fmac_f64_e32 v[10:11], v[0:1], v[0:1]
	v_div_scale_f64 v[32:33], s[4:5], v[10:11], v[10:11], 1.0
	v_rcp_f64_e32 v[34:35], v[32:33]
	v_fma_f64 v[16:17], 0, v[2:3], v[0:1]
	v_fma_f64 v[0:1], v[0:1], 0, -v[2:3]
	v_div_scale_f64 v[2:3], vcc, 1.0, v[10:11], 1.0
	v_fma_f64 v[36:37], -v[32:33], v[34:35], 1.0
	v_fmac_f64_e32 v[34:35], v[34:35], v[36:37]
	v_fma_f64 v[36:37], -v[32:33], v[34:35], 1.0
	v_fmac_f64_e32 v[34:35], v[34:35], v[36:37]
	v_mul_f64 v[36:37], v[2:3], v[34:35]
	v_fma_f64 v[2:3], -v[32:33], v[36:37], v[2:3]
	v_div_fmas_f64 v[2:3], v[2:3], v[34:35], v[36:37]
	v_div_fixup_f64 v[2:3], v[2:3], v[10:11], 1.0
	v_mul_f64 v[10:11], v[16:17], v[2:3]
	v_mul_f64 v[16:17], v[0:1], v[2:3]
	s_waitcnt vmcnt(0)
	v_mul_f64 v[0:1], v[16:17], -v[20:21]
	v_mul_f64 v[2:3], v[16:17], v[18:19]
	v_fmac_f64_e32 v[0:1], v[18:19], v[10:11]
	v_fmac_f64_e32 v[2:3], v[20:21], v[10:11]
	global_store_dwordx4 v[22:23], v[0:3], off
	s_and_saveexec_b64 s[4:5], s[0:1]
	s_cbranch_execz .LBB311_3
; %bb.19:                               ;   in Loop: Header=BB311_5 Depth=1
	v_add_u32_e32 v26, v44, v25
	v_lshl_add_u64 v[22:23], v[26:27], 4, s[8:9]
	global_load_dwordx4 v[18:21], v[22:23], off
	s_waitcnt vmcnt(0)
	v_fma_f64 v[18:19], -v[4:5], v[0:1], v[18:19]
	v_fma_f64 v[0:1], -v[6:7], v[0:1], v[20:21]
	v_fmac_f64_e32 v[18:19], v[6:7], v[2:3]
	v_fma_f64 v[20:21], -v[4:5], v[2:3], v[0:1]
	global_store_dwordx4 v[22:23], v[18:21], off
	s_branch .LBB311_3
.LBB311_20:
	s_or_b64 exec, exec, s[18:19]
	s_branch .LBB311_22
.LBB311_21:
	v_mov_b32_e32 v25, 0
.LBB311_22:
	v_subrev_u32_e32 v2, s22, v25
	v_add_u32_e32 v0, v2, v24
	v_ashrrev_i32_e32 v1, 31, v0
	s_waitcnt lgkmcnt(0)
	v_lshl_add_u64 v[0:1], v[0:1], 2, s[6:7]
	buffer_wbl2 sc1
	s_waitcnt vmcnt(0)
	buffer_inv sc1
	global_load_dword v0, v[0:1], off
	s_waitcnt vmcnt(0)
	v_mul_lo_u32 v0, v0, s22
	v_sub_u32_e32 v8, v2, v0
	v_cmp_lt_i32_e32 vcc, -1, v8
	s_and_b64 exec, exec, vcc
	s_cbranch_execz .LBB311_29
; %bb.23:
	s_add_i32 s0, s23, s22
	v_add_u32_e32 v9, s0, v24
	s_lshl_b32 s4, s22, 1
	s_mov_b64 s[0:1], 0
	v_mov_b32_e32 v5, 0
	s_branch .LBB311_25
.LBB311_24:                             ;   in Loop: Header=BB311_25 Depth=1
	s_or_b64 exec, exec, s[2:3]
	v_sub_u32_e32 v8, v8, v4
	v_cmp_gt_i32_e32 vcc, 0, v8
	s_or_b64 s[0:1], vcc, s[0:1]
	s_andn2_b64 exec, exec, s[0:1]
	s_cbranch_execz .LBB311_29
.LBB311_25:                             ; =>This Inner Loop Header: Depth=1
	v_add_u32_e32 v6, v8, v24
	v_ashrrev_i32_e32 v7, 31, v6
	s_waitcnt vmcnt(0)
	v_lshl_add_u64 v[0:1], v[6:7], 2, s[6:7]
	global_load_dword v4, v[0:1], off
	v_lshl_add_u64 v[0:1], v[6:7], 4, s[10:11]
	global_load_dwordx4 v[0:3], v[0:1], off
	s_waitcnt vmcnt(1)
	v_cmp_ne_u32_e32 vcc, 1, v4
	s_and_saveexec_b64 s[2:3], vcc
	s_xor_b64 s[2:3], exec, s[2:3]
	s_cbranch_execz .LBB311_27
; %bb.26:                               ;   in Loop: Header=BB311_25 Depth=1
	v_add_u32_e32 v4, v9, v8
	v_lshl_add_u64 v[18:19], v[4:5], 4, s[8:9]
	v_add_u32_e32 v4, s23, v6
	v_lshl_add_u64 v[6:7], v[4:5], 4, s[8:9]
	global_load_dwordx4 v[10:13], v[18:19], off
	global_load_dwordx4 v[14:17], v[6:7], off
	v_subrev_u32_e32 v4, s22, v8
	v_add_u32_e32 v18, v4, v24
	v_ashrrev_i32_e32 v19, 31, v18
	v_add_u32_e32 v4, s23, v18
	v_lshl_add_u64 v[18:19], v[18:19], 4, s[10:11]
	v_lshl_add_u64 v[22:23], v[4:5], 4, s[8:9]
	global_load_dwordx4 v[18:21], v[18:19], off
	s_waitcnt vmcnt(1)
	v_fma_f64 v[14:15], -v[0:1], v[10:11], v[14:15]
	v_fma_f64 v[16:17], -v[2:3], v[10:11], v[16:17]
	v_fmac_f64_e32 v[14:15], v[2:3], v[12:13]
	v_fma_f64 v[16:17], -v[0:1], v[12:13], v[16:17]
	global_store_dwordx4 v[6:7], v[14:17], off
	global_load_dwordx4 v[0:3], v[22:23], off
                                        ; implicit-def: $vgpr6
	s_waitcnt vmcnt(0)
	v_fma_f64 v[0:1], -v[18:19], v[10:11], v[0:1]
	v_fma_f64 v[2:3], -v[20:21], v[10:11], v[2:3]
	v_fmac_f64_e32 v[0:1], v[20:21], v[12:13]
	v_fma_f64 v[2:3], -v[18:19], v[12:13], v[2:3]
	global_store_dwordx4 v[22:23], v[0:3], off
                                        ; implicit-def: $vgpr0_vgpr1
.LBB311_27:                             ;   in Loop: Header=BB311_25 Depth=1
	s_or_saveexec_b64 s[2:3], s[2:3]
	v_mov_b32_e32 v4, s4
	s_xor_b64 exec, exec, s[2:3]
	s_cbranch_execz .LBB311_24
; %bb.28:                               ;   in Loop: Header=BB311_25 Depth=1
	v_add_u32_e32 v4, v9, v8
	v_lshl_add_u64 v[18:19], v[4:5], 4, s[8:9]
	v_add_u32_e32 v4, s23, v6
	v_lshl_add_u64 v[6:7], v[4:5], 4, s[8:9]
	global_load_dwordx4 v[10:13], v[18:19], off
	global_load_dwordx4 v[14:17], v[6:7], off
	v_mov_b32_e32 v4, s22
	s_waitcnt vmcnt(0)
	v_fma_f64 v[14:15], -v[0:1], v[10:11], v[14:15]
	v_fma_f64 v[10:11], -v[2:3], v[10:11], v[16:17]
	v_fmac_f64_e32 v[14:15], v[2:3], v[12:13]
	v_fma_f64 v[16:17], -v[0:1], v[12:13], v[10:11]
	global_store_dwordx4 v[6:7], v[14:17], off
	s_branch .LBB311_24
.LBB311_29:
	s_endpgm
	.section	.rodata,"a",@progbits
	.p2align	6, 0x0
	.amdhsa_kernel _ZN9rocsparseL19gtsv_LBM_rhs_kernelILj256ELj16ELj1E21rocsparse_complex_numIdEEEviiiPKT2_S5_S5_PS3_S5_PKi
		.amdhsa_group_segment_fixed_size 0
		.amdhsa_private_segment_fixed_size 0
		.amdhsa_kernarg_size 64
		.amdhsa_user_sgpr_count 2
		.amdhsa_user_sgpr_dispatch_ptr 0
		.amdhsa_user_sgpr_queue_ptr 0
		.amdhsa_user_sgpr_kernarg_segment_ptr 1
		.amdhsa_user_sgpr_dispatch_id 0
		.amdhsa_user_sgpr_kernarg_preload_length 0
		.amdhsa_user_sgpr_kernarg_preload_offset 0
		.amdhsa_user_sgpr_private_segment_size 0
		.amdhsa_uses_dynamic_stack 0
		.amdhsa_enable_private_segment 0
		.amdhsa_system_sgpr_workgroup_id_x 1
		.amdhsa_system_sgpr_workgroup_id_y 1
		.amdhsa_system_sgpr_workgroup_id_z 0
		.amdhsa_system_sgpr_workgroup_info 0
		.amdhsa_system_vgpr_workitem_id 0
		.amdhsa_next_free_vgpr 62
		.amdhsa_next_free_sgpr 28
		.amdhsa_accum_offset 64
		.amdhsa_reserve_vcc 1
		.amdhsa_float_round_mode_32 0
		.amdhsa_float_round_mode_16_64 0
		.amdhsa_float_denorm_mode_32 3
		.amdhsa_float_denorm_mode_16_64 3
		.amdhsa_dx10_clamp 1
		.amdhsa_ieee_mode 1
		.amdhsa_fp16_overflow 0
		.amdhsa_tg_split 0
		.amdhsa_exception_fp_ieee_invalid_op 0
		.amdhsa_exception_fp_denorm_src 0
		.amdhsa_exception_fp_ieee_div_zero 0
		.amdhsa_exception_fp_ieee_overflow 0
		.amdhsa_exception_fp_ieee_underflow 0
		.amdhsa_exception_fp_ieee_inexact 0
		.amdhsa_exception_int_div_zero 0
	.end_amdhsa_kernel
	.section	.text._ZN9rocsparseL19gtsv_LBM_rhs_kernelILj256ELj16ELj1E21rocsparse_complex_numIdEEEviiiPKT2_S5_S5_PS3_S5_PKi,"axG",@progbits,_ZN9rocsparseL19gtsv_LBM_rhs_kernelILj256ELj16ELj1E21rocsparse_complex_numIdEEEviiiPKT2_S5_S5_PS3_S5_PKi,comdat
.Lfunc_end311:
	.size	_ZN9rocsparseL19gtsv_LBM_rhs_kernelILj256ELj16ELj1E21rocsparse_complex_numIdEEEviiiPKT2_S5_S5_PS3_S5_PKi, .Lfunc_end311-_ZN9rocsparseL19gtsv_LBM_rhs_kernelILj256ELj16ELj1E21rocsparse_complex_numIdEEEviiiPKT2_S5_S5_PS3_S5_PKi
                                        ; -- End function
	.set _ZN9rocsparseL19gtsv_LBM_rhs_kernelILj256ELj16ELj1E21rocsparse_complex_numIdEEEviiiPKT2_S5_S5_PS3_S5_PKi.num_vgpr, 62
	.set _ZN9rocsparseL19gtsv_LBM_rhs_kernelILj256ELj16ELj1E21rocsparse_complex_numIdEEEviiiPKT2_S5_S5_PS3_S5_PKi.num_agpr, 0
	.set _ZN9rocsparseL19gtsv_LBM_rhs_kernelILj256ELj16ELj1E21rocsparse_complex_numIdEEEviiiPKT2_S5_S5_PS3_S5_PKi.numbered_sgpr, 28
	.set _ZN9rocsparseL19gtsv_LBM_rhs_kernelILj256ELj16ELj1E21rocsparse_complex_numIdEEEviiiPKT2_S5_S5_PS3_S5_PKi.num_named_barrier, 0
	.set _ZN9rocsparseL19gtsv_LBM_rhs_kernelILj256ELj16ELj1E21rocsparse_complex_numIdEEEviiiPKT2_S5_S5_PS3_S5_PKi.private_seg_size, 0
	.set _ZN9rocsparseL19gtsv_LBM_rhs_kernelILj256ELj16ELj1E21rocsparse_complex_numIdEEEviiiPKT2_S5_S5_PS3_S5_PKi.uses_vcc, 1
	.set _ZN9rocsparseL19gtsv_LBM_rhs_kernelILj256ELj16ELj1E21rocsparse_complex_numIdEEEviiiPKT2_S5_S5_PS3_S5_PKi.uses_flat_scratch, 0
	.set _ZN9rocsparseL19gtsv_LBM_rhs_kernelILj256ELj16ELj1E21rocsparse_complex_numIdEEEviiiPKT2_S5_S5_PS3_S5_PKi.has_dyn_sized_stack, 0
	.set _ZN9rocsparseL19gtsv_LBM_rhs_kernelILj256ELj16ELj1E21rocsparse_complex_numIdEEEviiiPKT2_S5_S5_PS3_S5_PKi.has_recursion, 0
	.set _ZN9rocsparseL19gtsv_LBM_rhs_kernelILj256ELj16ELj1E21rocsparse_complex_numIdEEEviiiPKT2_S5_S5_PS3_S5_PKi.has_indirect_call, 0
	.section	.AMDGPU.csdata,"",@progbits
; Kernel info:
; codeLenInByte = 1980
; TotalNumSgprs: 34
; NumVgprs: 62
; NumAgprs: 0
; TotalNumVgprs: 62
; ScratchSize: 0
; MemoryBound: 1
; FloatMode: 240
; IeeeMode: 1
; LDSByteSize: 0 bytes/workgroup (compile time only)
; SGPRBlocks: 4
; VGPRBlocks: 7
; NumSGPRsForWavesPerEU: 34
; NumVGPRsForWavesPerEU: 62
; AccumOffset: 64
; Occupancy: 8
; WaveLimiterHint : 0
; COMPUTE_PGM_RSRC2:SCRATCH_EN: 0
; COMPUTE_PGM_RSRC2:USER_SGPR: 2
; COMPUTE_PGM_RSRC2:TRAP_HANDLER: 0
; COMPUTE_PGM_RSRC2:TGID_X_EN: 1
; COMPUTE_PGM_RSRC2:TGID_Y_EN: 1
; COMPUTE_PGM_RSRC2:TGID_Z_EN: 0
; COMPUTE_PGM_RSRC2:TIDIG_COMP_CNT: 0
; COMPUTE_PGM_RSRC3_GFX90A:ACCUM_OFFSET: 15
; COMPUTE_PGM_RSRC3_GFX90A:TG_SPLIT: 0
	.section	.text._ZN9rocsparseL29gtsv_spike_block_level_kernelILj256ELj16E21rocsparse_complex_numIdEEEviiiPT1_PKS3_S6_S4_S4_S4_S4_S4_,"axG",@progbits,_ZN9rocsparseL29gtsv_spike_block_level_kernelILj256ELj16E21rocsparse_complex_numIdEEEviiiPT1_PKS3_S6_S4_S4_S4_S4_S4_,comdat
	.globl	_ZN9rocsparseL29gtsv_spike_block_level_kernelILj256ELj16E21rocsparse_complex_numIdEEEviiiPT1_PKS3_S6_S4_S4_S4_S4_S4_ ; -- Begin function _ZN9rocsparseL29gtsv_spike_block_level_kernelILj256ELj16E21rocsparse_complex_numIdEEEviiiPT1_PKS3_S6_S4_S4_S4_S4_S4_
	.p2align	8
	.type	_ZN9rocsparseL29gtsv_spike_block_level_kernelILj256ELj16E21rocsparse_complex_numIdEEEviiiPT1_PKS3_S6_S4_S4_S4_S4_S4_,@function
_ZN9rocsparseL29gtsv_spike_block_level_kernelILj256ELj16E21rocsparse_complex_numIdEEEviiiPT1_PKS3_S6_S4_S4_S4_S4_S4_: ; @_ZN9rocsparseL29gtsv_spike_block_level_kernelILj256ELj16E21rocsparse_complex_numIdEEEviiiPT1_PKS3_S6_S4_S4_S4_S4_S4_
; %bb.0:
	s_load_dword s12, s[0:1], 0x0
	s_load_dwordx2 s[8:9], s[0:1], 0x18
	v_lshl_or_b32 v6, s2, 8, v0
	v_mov_b64_e32 v[2:3], 0
	v_mov_b64_e32 v[12:13], 0
	s_waitcnt lgkmcnt(0)
	s_lshr_b32 s20, s12, 4
	v_cmp_gt_i32_e64 s[4:5], s20, v6
	v_mov_b64_e32 v[14:15], 0
	s_and_saveexec_b64 s[6:7], s[4:5]
	s_cbranch_execz .LBB312_2
; %bb.1:
	v_ashrrev_i32_e32 v7, 31, v6
	v_lshl_add_u64 v[4:5], v[6:7], 4, s[8:9]
	global_load_dwordx4 v[12:15], v[4:5], off
.LBB312_2:
	s_or_b64 exec, exec, s[6:7]
	s_load_dwordx2 s[6:7], s[0:1], 0x20
	v_lshlrev_b32_e32 v1, 4, v0
	v_or_b32_e32 v10, 0x2000, v1
	v_mov_b64_e32 v[4:5], 0
	s_waitcnt vmcnt(0)
	ds_write_b128 v1, v[12:15] offset:8192
	s_and_saveexec_b64 s[10:11], s[4:5]
	s_cbranch_execz .LBB312_4
; %bb.3:
	v_mad_u64_u32 v[2:3], s[14:15], s20, 15, v[6:7]
	v_mov_b32_e32 v3, 0
	v_lshl_add_u64 v[2:3], v[2:3], 4, s[8:9]
	global_load_dwordx4 v[2:5], v[2:3], off
.LBB312_4:
	s_or_b64 exec, exec, s[10:11]
	s_waitcnt vmcnt(0)
	ds_write_b128 v10, v[2:5] offset:4096
	v_mov_b64_e32 v[2:3], 0
	v_mov_b64_e32 v[12:13], 0
	;; [unrolled: 1-line block ×3, first 2 shown]
	s_and_saveexec_b64 s[8:9], s[4:5]
	s_cbranch_execz .LBB312_6
; %bb.5:
	v_ashrrev_i32_e32 v7, 31, v6
	s_waitcnt lgkmcnt(0)
	v_lshl_add_u64 v[4:5], v[6:7], 4, s[6:7]
	global_load_dwordx4 v[12:15], v[4:5], off
.LBB312_6:
	s_or_b64 exec, exec, s[8:9]
	s_load_dwordx2 s[16:17], s[0:1], 0x10
	v_mov_b64_e32 v[4:5], 0
	s_waitcnt vmcnt(0)
	ds_write_b128 v1, v[12:15]
	s_and_saveexec_b64 s[8:9], s[4:5]
	s_cbranch_execz .LBB312_8
; %bb.7:
	v_mad_u64_u32 v[2:3], s[10:11], s20, 15, v[6:7]
	v_mov_b32_e32 v3, 0
	s_waitcnt lgkmcnt(0)
	v_lshl_add_u64 v[2:3], v[2:3], 4, s[6:7]
	global_load_dwordx4 v[2:5], v[2:3], off
.LBB312_8:
	s_or_b64 exec, exec, s[8:9]
	s_mul_i32 s14, s12, s3
	s_waitcnt vmcnt(0)
	ds_write_b128 v1, v[2:5] offset:4096
	v_mov_b64_e32 v[2:3], 0
	v_add_u32_e32 v8, s14, v6
	v_mov_b64_e32 v[12:13], 0
	v_mov_b64_e32 v[14:15], 0
	s_waitcnt lgkmcnt(0)
	s_and_saveexec_b64 s[6:7], s[4:5]
	s_cbranch_execz .LBB312_10
; %bb.9:
	v_ashrrev_i32_e32 v9, 31, v8
	v_lshl_add_u64 v[4:5], v[8:9], 4, s[16:17]
	global_load_dwordx4 v[12:15], v[4:5], off
.LBB312_10:
	s_or_b64 exec, exec, s[6:7]
	s_load_dwordx2 s[6:7], s[0:1], 0x48
	s_load_dwordx4 s[8:11], s[0:1], 0x38
	v_or_b32_e32 v9, 0x4000, v1
	s_mul_i32 s21, s20, 15
	v_mov_b64_e32 v[4:5], 0
	s_waitcnt vmcnt(0)
	ds_write_b128 v1, v[12:15] offset:16384
	s_and_saveexec_b64 s[12:13], s[4:5]
	s_cbranch_execz .LBB312_12
; %bb.11:
	s_mul_i32 s15, s20, 15
	s_add_i32 s15, s15, s14
	v_add_u32_e32 v2, s15, v6
	v_mov_b32_e32 v3, 0
	v_lshl_add_u64 v[2:3], v[2:3], 4, s[16:17]
	global_load_dwordx4 v[2:5], v[2:3], off
.LBB312_12:
	s_or_b64 exec, exec, s[12:13]
	s_load_dwordx4 s[12:15], s[0:1], 0x28
	v_add_u32_e32 v13, 0x1000, v10
	v_or_b32_e32 v12, 0x1000, v1
	v_add_u32_e32 v11, 0x1000, v9
	s_mov_b32 s22, 2
	s_waitcnt vmcnt(0)
	ds_write_b128 v9, v[2:5] offset:4096
	s_waitcnt lgkmcnt(0)
	s_barrier
	s_branch .LBB312_14
.LBB312_13:                             ;   in Loop: Header=BB312_14 Depth=1
	s_or_b64 exec, exec, s[18:19]
	s_lshl_b32 s18, s22, 1
	s_cmpk_lt_u32 s22, 0x81
	s_mov_b32 s22, s18
	s_waitcnt lgkmcnt(0)
	s_barrier
	s_cbranch_scc0 .LBB312_16
.LBB312_14:                             ; =>This Inner Loop Header: Depth=1
	s_ff1_i32_b32 s18, s22
	s_lshr_b32 s18, 0x100, s18
	v_cmp_gt_u32_e32 vcc, s18, v0
	s_and_saveexec_b64 s[18:19], vcc
	s_cbranch_execz .LBB312_13
; %bb.15:                               ;   in Loop: Header=BB312_14 Depth=1
	v_mul_lo_u32 v7, s22, v0
	s_lshr_b32 s23, s22, 1
	v_add_u32_e32 v46, s23, v7
	v_lshlrev_b32_e32 v47, 4, v46
	ds_read_b128 v[14:17], v47 offset:8192
	ds_read_b128 v[2:5], v47 offset:4080
	ds_read_b128 v[18:21], v47
	ds_read_b128 v[22:25], v47 offset:12272
	v_lshlrev_b32_e32 v7, 4, v7
	v_add_lshl_u32 v46, v46, s23, 4
	s_waitcnt lgkmcnt(2)
	v_mul_f64 v[28:29], v[4:5], v[14:15]
	v_mul_f64 v[26:27], v[4:5], -v[16:17]
	v_fmac_f64_e32 v[28:29], v[16:17], v[2:3]
	v_fmac_f64_e32 v[26:27], v[14:15], v[2:3]
	v_add_f64 v[36:37], -v[28:29], 0
	v_add_f64 v[34:35], -v[26:27], 1.0
	v_mul_f64 v[26:27], v[36:37], v[36:37]
	v_fmac_f64_e32 v[26:27], v[34:35], v[34:35]
	v_div_scale_f64 v[28:29], s[24:25], v[26:27], v[26:27], 1.0
	v_rcp_f64_e32 v[30:31], v[28:29]
	v_fma_f64 v[40:41], 0, v[36:37], v[34:35]
	v_fma_f64 v[34:35], v[34:35], 0, -v[36:37]
	v_fma_f64 v[32:33], -v[28:29], v[30:31], 1.0
	v_fmac_f64_e32 v[30:31], v[30:31], v[32:33]
	v_fma_f64 v[32:33], -v[28:29], v[30:31], 1.0
	v_fmac_f64_e32 v[30:31], v[30:31], v[32:33]
	v_div_scale_f64 v[32:33], vcc, 1.0, v[26:27], 1.0
	v_mul_f64 v[38:39], v[32:33], v[30:31]
	v_fma_f64 v[28:29], -v[28:29], v[38:39], v[32:33]
	s_nop 1
	v_div_fmas_f64 v[28:29], v[28:29], v[30:31], v[38:39]
	v_div_fixup_f64 v[38:39], v[28:29], v[26:27], 1.0
	ds_read_b128 v[26:29], v47 offset:20464
	ds_read_b128 v[30:33], v47 offset:16384
	v_mul_f64 v[44:45], v[34:35], v[38:39]
	v_mul_f64 v[42:43], v[40:41], v[38:39]
	s_waitcnt lgkmcnt(0)
	v_mul_f64 v[34:35], v[32:33], -v[4:5]
	v_mul_f64 v[36:37], v[2:3], v[32:33]
	v_fmac_f64_e32 v[34:35], v[2:3], v[30:31]
	v_fmac_f64_e32 v[36:37], v[4:5], v[30:31]
	v_add_f64 v[38:39], v[26:27], -v[34:35]
	v_add_f64 v[40:41], v[28:29], -v[36:37]
	v_mul_f64 v[34:35], v[44:45], -v[40:41]
	v_mul_f64 v[36:37], v[44:45], v[38:39]
	v_fmac_f64_e32 v[34:35], v[38:39], v[42:43]
	v_fmac_f64_e32 v[36:37], v[40:41], v[42:43]
	ds_write_b128 v47, v[34:37] offset:20464
	v_mul_f64 v[34:35], v[16:17], -v[28:29]
	v_fmac_f64_e32 v[34:35], v[26:27], v[14:15]
	v_mul_f64 v[26:27], v[16:17], v[26:27]
	v_fmac_f64_e32 v[26:27], v[28:29], v[14:15]
	v_add_f64 v[28:29], v[30:31], -v[34:35]
	v_add_f64 v[30:31], v[32:33], -v[26:27]
	v_mul_f64 v[26:27], v[44:45], -v[30:31]
	v_fmac_f64_e32 v[26:27], v[28:29], v[42:43]
	v_mul_f64 v[28:29], v[28:29], v[44:45]
	v_mul_f64 v[38:39], v[16:17], -v[24:25]
	v_mul_f64 v[16:17], v[16:17], v[22:23]
	v_fmac_f64_e32 v[28:29], v[30:31], v[42:43]
	ds_read_b128 v[30:33], v7
	v_fmac_f64_e32 v[16:17], v[24:25], v[14:15]
	v_fmac_f64_e32 v[38:39], v[22:23], v[14:15]
	v_mul_f64 v[14:15], v[44:45], v[16:17]
	v_mul_f64 v[16:17], v[16:17], -v[42:43]
	v_fma_f64 v[14:15], -v[42:43], v[38:39], v[14:15]
	v_fma_f64 v[16:17], -v[44:45], v[38:39], v[16:17]
	v_mul_f64 v[38:39], v[24:25], -v[44:45]
	v_mul_f64 v[40:41], v[42:43], v[24:25]
	v_fmac_f64_e32 v[38:39], v[42:43], v[22:23]
	v_fmac_f64_e32 v[40:41], v[44:45], v[22:23]
	ds_read_b128 v[34:37], v46 offset:12272
	ds_write_b128 v47, v[14:17] offset:8192
	ds_write_b128 v47, v[38:41] offset:12272
	ds_read_b128 v[22:25], v7 offset:8192
	s_waitcnt lgkmcnt(4)
	v_mul_f64 v[38:39], v[28:29], -v[32:33]
	v_fmac_f64_e32 v[38:39], v[30:31], v[26:27]
	v_mul_f64 v[30:31], v[28:29], v[30:31]
	v_mul_f64 v[40:41], v[2:3], v[20:21]
	ds_write_b128 v47, v[26:29] offset:16384
	v_fmac_f64_e32 v[30:31], v[32:33], v[26:27]
	v_mul_f64 v[32:33], v[20:21], -v[4:5]
	v_fmac_f64_e32 v[40:41], v[4:5], v[18:19]
	ds_read_b128 v[26:29], v7 offset:16384
	v_fmac_f64_e32 v[32:33], v[2:3], v[18:19]
	v_mul_f64 v[2:3], v[44:45], v[40:41]
	v_mul_f64 v[4:5], v[40:41], -v[42:43]
	v_fma_f64 v[2:3], -v[42:43], v[32:33], v[2:3]
	v_fma_f64 v[4:5], -v[44:45], v[32:33], v[4:5]
	ds_write_b128 v47, v[2:5] offset:4080
	v_mul_f64 v[2:3], v[20:21], -v[44:45]
	v_mul_f64 v[4:5], v[42:43], v[20:21]
	v_fmac_f64_e32 v[2:3], v[42:43], v[18:19]
	v_fmac_f64_e32 v[4:5], v[44:45], v[18:19]
	ds_write_b128 v47, v[2:5]
	ds_read_b128 v[18:21], v7
	s_waitcnt lgkmcnt(3)
	v_add_f64 v[26:27], v[26:27], -v[38:39]
	v_add_f64 v[28:29], v[28:29], -v[30:31]
	ds_write_b128 v7, v[26:29] offset:16384
	ds_read_b128 v[26:29], v47 offset:20464
	s_waitcnt lgkmcnt(2)
	v_mul_f64 v[30:31], v[4:5], v[20:21]
	v_mul_f64 v[4:5], v[4:5], -v[18:19]
	v_fma_f64 v[30:31], -v[18:19], v[2:3], v[30:31]
	v_fma_f64 v[32:33], -v[20:21], v[2:3], v[4:5]
	ds_write_b128 v7, v[30:33]
	s_waitcnt lgkmcnt(1)
	v_mul_f64 v[30:31], v[28:29], -v[36:37]
	v_fmac_f64_e32 v[30:31], v[34:35], v[26:27]
	v_mul_f64 v[32:33], v[28:29], v[34:35]
	v_mul_f64 v[34:35], v[16:17], -v[20:21]
	v_mul_f64 v[16:17], v[16:17], v[18:19]
	v_fmac_f64_e32 v[34:35], v[18:19], v[14:15]
	v_fmac_f64_e32 v[16:17], v[20:21], v[14:15]
	ds_read_b128 v[2:5], v46 offset:4080
	v_fmac_f64_e32 v[32:33], v[36:37], v[26:27]
	ds_read_b128 v[26:29], v46 offset:20464
	v_add_f64 v[14:15], v[22:23], -v[34:35]
	v_add_f64 v[16:17], v[24:25], -v[16:17]
	ds_write_b128 v7, v[14:17] offset:8192
	ds_read_b128 v[14:17], v46 offset:12272
	ds_read_b128 v[18:21], v47 offset:4080
	s_waitcnt lgkmcnt(3)
	v_add_f64 v[22:23], v[26:27], -v[30:31]
	v_add_f64 v[24:25], v[28:29], -v[32:33]
	ds_write_b128 v46, v[22:25] offset:20464
	ds_read_b128 v[22:25], v47 offset:12272
	s_waitcnt lgkmcnt(2)
	v_mul_f64 v[26:27], v[16:17], -v[20:21]
	v_fmac_f64_e32 v[26:27], v[18:19], v[14:15]
	v_mul_f64 v[18:19], v[16:17], v[18:19]
	v_fmac_f64_e32 v[18:19], v[20:21], v[14:15]
	v_add_f64 v[2:3], v[2:3], -v[26:27]
	v_add_f64 v[4:5], v[4:5], -v[18:19]
	ds_write_b128 v46, v[2:5] offset:4080
	s_waitcnt lgkmcnt(1)
	v_mul_f64 v[2:3], v[16:17], v[24:25]
	v_mul_f64 v[4:5], v[24:25], -v[14:15]
	v_fma_f64 v[2:3], -v[14:15], v[22:23], v[2:3]
	v_fma_f64 v[4:5], -v[16:17], v[22:23], v[4:5]
	ds_write_b128 v46, v[2:5] offset:12272
	s_branch .LBB312_13
.LBB312_16:
	s_and_saveexec_b64 s[18:19], s[4:5]
	s_cbranch_execnz .LBB312_19
; %bb.17:
	s_or_b64 exec, exec, s[18:19]
	v_cmp_eq_u32_e32 vcc, 0, v0
	s_and_saveexec_b64 s[4:5], vcc
	s_cbranch_execnz .LBB312_23
.LBB312_18:
	s_endpgm
.LBB312_19:
	s_cmp_eq_u32 s3, 0
	s_cbranch_scc1 .LBB312_27
; %bb.20:
	s_mul_i32 s20, s20, 15
	s_cbranch_execnz .LBB312_22
.LBB312_21:
	ds_read2_b64 v[2:5], v10 offset1:1
	ds_read2_b64 v[14:17], v13 offset1:1
	v_ashrrev_i32_e32 v7, 31, v6
	v_lshlrev_b64 v[22:23], 4, v[6:7]
	v_lshl_add_u64 v[18:19], s[12:13], 0, v[22:23]
	s_waitcnt lgkmcnt(1)
	global_store_dwordx4 v[18:19], v[2:5], off
	ds_read2_b64 v[18:21], v12 offset1:1
	v_lshl_add_u64 v[12:13], s[14:15], 0, v[22:23]
	v_add_u32_e32 v2, s21, v6
	v_mov_b32_e32 v3, 0
	v_lshlrev_b64 v[6:7], 4, v[2:3]
	ds_read2_b64 v[2:5], v1 offset1:1
	v_lshl_add_u64 v[24:25], s[12:13], 0, v[6:7]
	s_mov_b32 s20, s21
	s_waitcnt lgkmcnt(2)
	global_store_dwordx4 v[24:25], v[14:17], off
	s_waitcnt lgkmcnt(0)
	global_store_dwordx4 v[12:13], v[2:5], off
	s_nop 1
	v_lshl_add_u64 v[2:3], s[14:15], 0, v[6:7]
	global_store_dwordx4 v[2:3], v[18:21], off
.LBB312_22:
	ds_read2_b64 v[2:5], v9 offset1:1
	ds_read2_b64 v[10:13], v11 offset1:1
	v_ashrrev_i32_e32 v9, 31, v8
	v_add_u32_e32 v6, s20, v8
	v_lshl_add_u64 v[8:9], v[8:9], 4, s[16:17]
	v_mov_b32_e32 v7, 0
	s_waitcnt lgkmcnt(1)
	global_store_dwordx4 v[8:9], v[2:5], off
	s_nop 1
	v_lshl_add_u64 v[2:3], v[6:7], 4, s[16:17]
	s_waitcnt lgkmcnt(0)
	global_store_dwordx4 v[2:3], v[10:13], off
	s_or_b64 exec, exec, s[18:19]
	v_cmp_eq_u32_e32 vcc, 0, v0
	s_and_saveexec_b64 s[4:5], vcc
	s_cbranch_execz .LBB312_18
.LBB312_23:
	s_cmp_eq_u32 s3, 0
	s_cbranch_scc1 .LBB312_28
; %bb.24:
	s_load_dword s12, s[0:1], 0x50
	s_cbranch_execnz .LBB312_26
.LBB312_25:
	v_mov_b32_e32 v8, 0
	ds_read_b128 v[0:3], v8 offset:8192
	ds_read_b128 v[4:7], v8 offset:16368
	s_waitcnt lgkmcnt(0)
	s_load_dword s12, s[0:1], 0x50
	s_mov_b32 s4, s3
	s_ashr_i32 s3, s2, 31
	s_lshl_b64 s[14:15], s[2:3], 4
	s_add_u32 s0, s10, s14
	s_addc_u32 s1, s11, s15
	global_store_dwordx4 v8, v[0:3], s[0:1]
	s_waitcnt lgkmcnt(0)
	s_add_i32 s0, s12, s2
	s_mov_b32 s1, 0
	s_lshl_b64 s[0:1], s[0:1], 4
	s_mov_b32 s3, s4
	s_add_u32 s4, s10, s0
	s_addc_u32 s5, s11, s1
	ds_read_b128 v[0:3], v8
	global_store_dwordx4 v8, v[4:7], s[4:5]
	ds_read_b128 v[4:7], v8 offset:8176
	s_add_u32 s4, s6, s14
	s_addc_u32 s5, s7, s15
	s_add_u32 s0, s6, s0
	s_addc_u32 s1, s7, s1
	s_waitcnt lgkmcnt(1)
	global_store_dwordx4 v8, v[0:3], s[4:5]
	s_waitcnt lgkmcnt(0)
	global_store_dwordx4 v8, v[4:7], s[0:1]
.LBB312_26:
	s_waitcnt lgkmcnt(0)
	s_mul_i32 s0, s12, s3
	s_lshl_b32 s0, s0, 1
	s_add_i32 s0, s0, s2
	s_mov_b32 s1, 0
	v_mov_b32_e32 v8, 0
	s_lshl_b64 s[2:3], s[0:1], 4
	ds_read_b128 v[0:3], v8 offset:16384
	ds_read_b128 v[4:7], v8 offset:24560
	s_add_u32 s2, s8, s2
	s_addc_u32 s3, s9, s3
	s_add_i32 s0, s0, s12
	s_lshl_b64 s[0:1], s[0:1], 4
	s_add_u32 s0, s8, s0
	s_addc_u32 s1, s9, s1
	s_waitcnt lgkmcnt(1)
	global_store_dwordx4 v8, v[0:3], s[2:3]
	s_waitcnt lgkmcnt(0)
	global_store_dwordx4 v8, v[4:7], s[0:1]
	s_endpgm
.LBB312_27:
                                        ; implicit-def: $sgpr20
	s_branch .LBB312_21
.LBB312_28:
                                        ; implicit-def: $sgpr12
	s_branch .LBB312_25
	.section	.rodata,"a",@progbits
	.p2align	6, 0x0
	.amdhsa_kernel _ZN9rocsparseL29gtsv_spike_block_level_kernelILj256ELj16E21rocsparse_complex_numIdEEEviiiPT1_PKS3_S6_S4_S4_S4_S4_S4_
		.amdhsa_group_segment_fixed_size 24576
		.amdhsa_private_segment_fixed_size 0
		.amdhsa_kernarg_size 336
		.amdhsa_user_sgpr_count 2
		.amdhsa_user_sgpr_dispatch_ptr 0
		.amdhsa_user_sgpr_queue_ptr 0
		.amdhsa_user_sgpr_kernarg_segment_ptr 1
		.amdhsa_user_sgpr_dispatch_id 0
		.amdhsa_user_sgpr_kernarg_preload_length 0
		.amdhsa_user_sgpr_kernarg_preload_offset 0
		.amdhsa_user_sgpr_private_segment_size 0
		.amdhsa_uses_dynamic_stack 0
		.amdhsa_enable_private_segment 0
		.amdhsa_system_sgpr_workgroup_id_x 1
		.amdhsa_system_sgpr_workgroup_id_y 1
		.amdhsa_system_sgpr_workgroup_id_z 0
		.amdhsa_system_sgpr_workgroup_info 0
		.amdhsa_system_vgpr_workitem_id 0
		.amdhsa_next_free_vgpr 73
		.amdhsa_next_free_sgpr 91
		.amdhsa_accum_offset 48
		.amdhsa_reserve_vcc 1
		.amdhsa_float_round_mode_32 0
		.amdhsa_float_round_mode_16_64 0
		.amdhsa_float_denorm_mode_32 3
		.amdhsa_float_denorm_mode_16_64 3
		.amdhsa_dx10_clamp 1
		.amdhsa_ieee_mode 1
		.amdhsa_fp16_overflow 0
		.amdhsa_tg_split 0
		.amdhsa_exception_fp_ieee_invalid_op 0
		.amdhsa_exception_fp_denorm_src 0
		.amdhsa_exception_fp_ieee_div_zero 0
		.amdhsa_exception_fp_ieee_overflow 0
		.amdhsa_exception_fp_ieee_underflow 0
		.amdhsa_exception_fp_ieee_inexact 0
		.amdhsa_exception_int_div_zero 0
	.end_amdhsa_kernel
	.section	.text._ZN9rocsparseL29gtsv_spike_block_level_kernelILj256ELj16E21rocsparse_complex_numIdEEEviiiPT1_PKS3_S6_S4_S4_S4_S4_S4_,"axG",@progbits,_ZN9rocsparseL29gtsv_spike_block_level_kernelILj256ELj16E21rocsparse_complex_numIdEEEviiiPT1_PKS3_S6_S4_S4_S4_S4_S4_,comdat
.Lfunc_end312:
	.size	_ZN9rocsparseL29gtsv_spike_block_level_kernelILj256ELj16E21rocsparse_complex_numIdEEEviiiPT1_PKS3_S6_S4_S4_S4_S4_S4_, .Lfunc_end312-_ZN9rocsparseL29gtsv_spike_block_level_kernelILj256ELj16E21rocsparse_complex_numIdEEEviiiPT1_PKS3_S6_S4_S4_S4_S4_S4_
                                        ; -- End function
	.set _ZN9rocsparseL29gtsv_spike_block_level_kernelILj256ELj16E21rocsparse_complex_numIdEEEviiiPT1_PKS3_S6_S4_S4_S4_S4_S4_.num_vgpr, 48
	.set _ZN9rocsparseL29gtsv_spike_block_level_kernelILj256ELj16E21rocsparse_complex_numIdEEEviiiPT1_PKS3_S6_S4_S4_S4_S4_S4_.num_agpr, 0
	.set _ZN9rocsparseL29gtsv_spike_block_level_kernelILj256ELj16E21rocsparse_complex_numIdEEEviiiPT1_PKS3_S6_S4_S4_S4_S4_S4_.numbered_sgpr, 26
	.set _ZN9rocsparseL29gtsv_spike_block_level_kernelILj256ELj16E21rocsparse_complex_numIdEEEviiiPT1_PKS3_S6_S4_S4_S4_S4_S4_.num_named_barrier, 0
	.set _ZN9rocsparseL29gtsv_spike_block_level_kernelILj256ELj16E21rocsparse_complex_numIdEEEviiiPT1_PKS3_S6_S4_S4_S4_S4_S4_.private_seg_size, 0
	.set _ZN9rocsparseL29gtsv_spike_block_level_kernelILj256ELj16E21rocsparse_complex_numIdEEEviiiPT1_PKS3_S6_S4_S4_S4_S4_S4_.uses_vcc, 1
	.set _ZN9rocsparseL29gtsv_spike_block_level_kernelILj256ELj16E21rocsparse_complex_numIdEEEviiiPT1_PKS3_S6_S4_S4_S4_S4_S4_.uses_flat_scratch, 0
	.set _ZN9rocsparseL29gtsv_spike_block_level_kernelILj256ELj16E21rocsparse_complex_numIdEEEviiiPT1_PKS3_S6_S4_S4_S4_S4_S4_.has_dyn_sized_stack, 0
	.set _ZN9rocsparseL29gtsv_spike_block_level_kernelILj256ELj16E21rocsparse_complex_numIdEEEviiiPT1_PKS3_S6_S4_S4_S4_S4_S4_.has_recursion, 0
	.set _ZN9rocsparseL29gtsv_spike_block_level_kernelILj256ELj16E21rocsparse_complex_numIdEEEviiiPT1_PKS3_S6_S4_S4_S4_S4_S4_.has_indirect_call, 0
	.section	.AMDGPU.csdata,"",@progbits
; Kernel info:
; codeLenInByte = 2088
; TotalNumSgprs: 32
; NumVgprs: 48
; NumAgprs: 0
; TotalNumVgprs: 48
; ScratchSize: 0
; MemoryBound: 1
; FloatMode: 240
; IeeeMode: 1
; LDSByteSize: 24576 bytes/workgroup (compile time only)
; SGPRBlocks: 12
; VGPRBlocks: 9
; NumSGPRsForWavesPerEU: 97
; NumVGPRsForWavesPerEU: 73
; AccumOffset: 48
; Occupancy: 6
; WaveLimiterHint : 0
; COMPUTE_PGM_RSRC2:SCRATCH_EN: 0
; COMPUTE_PGM_RSRC2:USER_SGPR: 2
; COMPUTE_PGM_RSRC2:TRAP_HANDLER: 0
; COMPUTE_PGM_RSRC2:TGID_X_EN: 1
; COMPUTE_PGM_RSRC2:TGID_Y_EN: 1
; COMPUTE_PGM_RSRC2:TGID_Z_EN: 0
; COMPUTE_PGM_RSRC2:TIDIG_COMP_CNT: 0
; COMPUTE_PGM_RSRC3_GFX90A:ACCUM_OFFSET: 11
; COMPUTE_PGM_RSRC3_GFX90A:TG_SPLIT: 0
	.section	.text._ZN9rocsparseL33gtsv_solve_spike_propagate_kernelILj256ELj16E21rocsparse_complex_numIdEEEviiiPT1_PKS3_S6_S6_,"axG",@progbits,_ZN9rocsparseL33gtsv_solve_spike_propagate_kernelILj256ELj16E21rocsparse_complex_numIdEEEviiiPT1_PKS3_S6_S6_,comdat
	.globl	_ZN9rocsparseL33gtsv_solve_spike_propagate_kernelILj256ELj16E21rocsparse_complex_numIdEEEviiiPT1_PKS3_S6_S6_ ; -- Begin function _ZN9rocsparseL33gtsv_solve_spike_propagate_kernelILj256ELj16E21rocsparse_complex_numIdEEEviiiPT1_PKS3_S6_S6_
	.p2align	8
	.type	_ZN9rocsparseL33gtsv_solve_spike_propagate_kernelILj256ELj16E21rocsparse_complex_numIdEEEviiiPT1_PKS3_S6_S6_,@function
_ZN9rocsparseL33gtsv_solve_spike_propagate_kernelILj256ELj16E21rocsparse_complex_numIdEEEviiiPT1_PKS3_S6_S6_: ; @_ZN9rocsparseL33gtsv_solve_spike_propagate_kernelILj256ELj16E21rocsparse_complex_numIdEEEviiiPT1_PKS3_S6_S6_
; %bb.0:
	s_load_dword s8, s[0:1], 0x0
	v_lshl_or_b32 v2, s2, 8, v0
	v_lshlrev_b32_e32 v4, 4, v0
	s_waitcnt lgkmcnt(0)
	s_lshr_b32 s20, s8, 4
	v_cmp_gt_i32_e32 vcc, s20, v2
	v_cmp_le_i32_e64 s[4:5], s20, v2
	s_and_saveexec_b64 s[6:7], s[4:5]
	s_xor_b64 s[6:7], exec, s[6:7]
; %bb.1:
	v_mov_b32_e32 v6, 0
	v_mov_b32_e32 v7, v6
	v_mov_b32_e32 v8, v6
	v_mov_b32_e32 v9, v6
	ds_write_b128 v4, v[6:9] offset:16416
; %bb.2:
	s_or_saveexec_b64 s[6:7], s[6:7]
	v_mov_b64_e32 v[6:7], 0
	v_ashrrev_i32_e32 v3, 31, v2
	v_mov_b64_e32 v[8:9], 0
	s_xor_b64 exec, exec, s[6:7]
	s_cbranch_execz .LBB313_4
; %bb.3:
	s_load_dwordx2 s[10:11], s[0:1], 0x18
	v_mad_u64_u32 v[6:7], s[12:13], s20, 15, v[2:3]
	v_mov_b32_e32 v7, 0
	s_waitcnt lgkmcnt(0)
	v_lshl_add_u64 v[14:15], v[2:3], 4, s[10:11]
	v_lshl_add_u64 v[16:17], v[6:7], 4, s[10:11]
	global_load_dwordx4 v[10:13], v[14:15], off
	global_load_dwordx4 v[6:9], v[16:17], off
	s_waitcnt vmcnt(1)
	ds_write_b128 v4, v[10:13] offset:16416
.LBB313_4:
	s_or_b64 exec, exec, s[6:7]
	s_waitcnt vmcnt(0)
	ds_write_b128 v4, v[6:9] offset:20512
	s_and_saveexec_b64 s[6:7], s[4:5]
	s_xor_b64 s[4:5], exec, s[6:7]
; %bb.5:
	v_mov_b32_e32 v6, 0
	v_mov_b32_e32 v7, v6
	;; [unrolled: 1-line block ×4, first 2 shown]
	ds_write_b128 v4, v[6:9] offset:8224
; %bb.6:
	s_or_saveexec_b64 s[4:5], s[4:5]
	s_load_dwordx2 s[6:7], s[0:1], 0x10
	v_mov_b64_e32 v[8:9], 0
	v_mov_b64_e32 v[10:11], 0
	;; [unrolled: 1-line block ×3, first 2 shown]
	s_xor_b64 exec, exec, s[4:5]
	s_cbranch_execz .LBB313_8
; %bb.7:
	s_load_dwordx2 s[10:11], s[0:1], 0x20
	v_mad_u64_u32 v[6:7], s[12:13], s20, 15, v[2:3]
	v_mov_b32_e32 v7, 0
	s_waitcnt lgkmcnt(0)
	v_lshl_add_u64 v[18:19], v[2:3], 4, s[10:11]
	v_lshl_add_u64 v[6:7], v[6:7], 4, s[10:11]
	global_load_dwordx4 v[14:17], v[18:19], off
	global_load_dwordx4 v[10:13], v[6:7], off
	s_waitcnt vmcnt(1)
	ds_write_b128 v4, v[14:17] offset:8224
.LBB313_8:
	s_or_b64 exec, exec, s[4:5]
	s_mul_i32 s8, s8, s3
	v_mov_b64_e32 v[6:7], 0
	s_waitcnt vmcnt(0)
	ds_write_b128 v4, v[10:13] offset:12320
	s_and_saveexec_b64 s[4:5], vcc
	s_cbranch_execz .LBB313_10
; %bb.9:
	s_mul_i32 s9, s20, 15
	s_add_i32 s9, s9, s8
	v_add_u32_e32 v6, s9, v2
	v_mov_b32_e32 v7, 0
	s_waitcnt lgkmcnt(0)
	v_lshl_add_u64 v[6:7], v[6:7], 4, s[6:7]
	global_load_dwordx4 v[6:9], v[6:7], off
.LBB313_10:
	s_or_b64 exec, exec, s[4:5]
	s_waitcnt vmcnt(0)
	ds_write_b128 v4, v[6:9] offset:16
	v_mov_b64_e32 v[8:9], 0
	v_add_u32_e32 v2, s8, v2
	v_mov_b64_e32 v[6:7], 0
	s_and_saveexec_b64 s[4:5], vcc
	s_cbranch_execz .LBB313_12
; %bb.11:
	v_ashrrev_i32_e32 v3, 31, v2
	s_waitcnt lgkmcnt(0)
	v_lshl_add_u64 v[6:7], v[2:3], 4, s[6:7]
	global_load_dwordx4 v[6:9], v[6:7], off
.LBB313_12:
	s_or_b64 exec, exec, s[4:5]
	v_cmp_eq_u32_e64 s[4:5], 0, v0
	s_waitcnt vmcnt(0)
	ds_write_b128 v4, v[6:9] offset:4112
	s_waitcnt lgkmcnt(0)
	s_barrier
	s_and_saveexec_b64 s[16:17], s[4:5]
	s_cbranch_execz .LBB313_18
; %bb.13:
	s_load_dword s21, s[0:1], 0x30
	s_load_dwordx2 s[18:19], s[0:1], 0x28
	s_cmp_lt_i32 s2, 1
	s_mov_b64 s[10:11], 0
	s_mov_b64 s[14:15], 0
	s_waitcnt lgkmcnt(0)
	s_mul_i32 s3, s3, s21
	s_mov_b64 s[12:13], 0
	s_cbranch_scc1 .LBB313_15
; %bb.14:
	s_lshl_b32 s0, s3, 1
	s_add_i32 s1, s2, s21
	s_add_i32 s0, s1, s0
	s_add_i32 s0, s0, -1
	s_mov_b32 s1, 0
	s_lshl_b64 s[0:1], s[0:1], 4
	s_add_u32 s0, s18, s0
	s_addc_u32 s1, s19, s1
	s_load_dwordx4 s[12:15], s[0:1], 0x0
.LBB313_15:
	s_add_i32 s0, s21, -1
	s_waitcnt lgkmcnt(0)
	v_mov_b32_e32 v6, s12
	v_mov_b32_e32 v7, s13
	;; [unrolled: 1-line block ×5, first 2 shown]
	s_cmp_ge_u32 s2, s0
	s_mov_b64 s[8:9], 0
	ds_write_b128 v1, v[6:9]
	s_cbranch_scc1 .LBB313_17
; %bb.16:
	s_lshl_b32 s0, s3, 1
	s_add_i32 s0, s2, s0
	s_add_i32 s0, s0, 1
	s_mov_b32 s1, 0
	s_lshl_b64 s[0:1], s[0:1], 4
	s_add_u32 s0, s18, s0
	s_addc_u32 s1, s19, s1
	s_load_dwordx4 s[8:11], s[0:1], 0x0
.LBB313_17:
	s_lshl_b32 s0, s3, 1
	s_add_i32 s0, s0, s2
	s_mov_b32 s1, 0
	s_lshl_b64 s[2:3], s[0:1], 4
	s_add_u32 s2, s18, s2
	s_addc_u32 s3, s19, s3
	s_add_i32 s0, s0, s21
	s_lshl_b64 s[0:1], s[0:1], 4
	s_add_u32 s0, s18, s0
	s_addc_u32 s1, s19, s1
	global_load_dwordx4 v[6:9], v1, s[2:3]
	global_load_dwordx4 v[10:13], v1, s[0:1]
	s_waitcnt lgkmcnt(0)
	v_mov_b32_e32 v14, s8
	v_mov_b32_e32 v15, s9
	;; [unrolled: 1-line block ×4, first 2 shown]
	ds_write_b128 v1, v[14:17] offset:8208
	s_waitcnt vmcnt(1)
	ds_write_b128 v1, v[6:9] offset:4112
	s_waitcnt vmcnt(0)
	ds_write_b128 v1, v[10:13] offset:4096
.LBB313_18:
	s_or_b64 exec, exec, s[16:17]
	v_add_u32_e32 v1, 16, v4
	v_add_u32_e32 v3, 0x1010, v4
	s_waitcnt lgkmcnt(0)
	s_barrier
	s_and_saveexec_b64 s[0:1], s[4:5]
	s_cbranch_execz .LBB313_20
; %bb.19:
	v_mov_b32_e32 v34, 0
	ds_read_b128 v[4:7], v34 offset:8208
	ds_read_b128 v[8:11], v34 offset:14352
	;; [unrolled: 1-line block ×5, first 2 shown]
	ds_read_b128 v[24:27], v34
	ds_read_b128 v[28:31], v34 offset:22544
	s_waitcnt lgkmcnt(5)
	v_mul_f64 v[32:33], v[6:7], -v[10:11]
	v_fmac_f64_e32 v[32:33], v[8:9], v[4:5]
	v_mul_f64 v[8:9], v[6:7], v[8:9]
	v_fmac_f64_e32 v[8:9], v[10:11], v[4:5]
	s_waitcnt lgkmcnt(4)
	v_add_f64 v[12:13], v[12:13], -v[32:33]
	s_waitcnt lgkmcnt(0)
	v_mul_f64 v[32:33], v[26:27], -v[30:31]
	v_add_f64 v[14:15], v[14:15], -v[8:9]
	ds_read_b128 v[8:11], v34 offset:18464
	v_fmac_f64_e32 v[32:33], v[28:29], v[24:25]
	v_mul_f64 v[28:29], v[26:27], v[28:29]
	v_fmac_f64_e32 v[28:29], v[30:31], v[24:25]
	v_add_f64 v[12:13], v[12:13], -v[32:33]
	v_add_f64 v[14:15], v[14:15], -v[28:29]
	ds_write_b128 v34, v[12:15] offset:2048
	v_mul_f64 v[12:13], v[6:7], -v[18:19]
	v_fmac_f64_e32 v[12:13], v[16:17], v[4:5]
	v_mul_f64 v[6:7], v[6:7], v[16:17]
	v_fmac_f64_e32 v[6:7], v[18:19], v[4:5]
	v_add_f64 v[4:5], v[20:21], -v[12:13]
	s_waitcnt lgkmcnt(1)
	v_mul_f64 v[12:13], v[26:27], -v[10:11]
	v_fmac_f64_e32 v[12:13], v[8:9], v[24:25]
	v_mul_f64 v[8:9], v[26:27], v[8:9]
	v_add_f64 v[6:7], v[22:23], -v[6:7]
	v_fmac_f64_e32 v[8:9], v[10:11], v[24:25]
	v_add_f64 v[4:5], v[4:5], -v[12:13]
	v_add_f64 v[6:7], v[6:7], -v[8:9]
	ds_write_b128 v34, v[4:7] offset:6160
.LBB313_20:
	s_or_b64 exec, exec, s[0:1]
	v_cmp_gt_u32_e64 s[0:1], 2, v0
	s_waitcnt lgkmcnt(0)
	s_barrier
	s_and_saveexec_b64 s[2:3], s[0:1]
	s_cbranch_execz .LBB313_22
; %bb.21:
	v_lshlrev_b32_e32 v34, 11, v0
	ds_read_b128 v[4:7], v34 offset:6160
	ds_read_b128 v[8:11], v34 offset:13328
	ds_read_b128 v[12:15], v34 offset:1024
	ds_read_b128 v[16:19], v34 offset:9248
	ds_read_b128 v[20:23], v34 offset:5136
	ds_read_b128 v[24:27], v34
	ds_read_b128 v[28:31], v34 offset:21520
	s_waitcnt lgkmcnt(5)
	v_mul_f64 v[32:33], v[6:7], -v[10:11]
	v_fmac_f64_e32 v[32:33], v[8:9], v[4:5]
	v_mul_f64 v[8:9], v[6:7], v[8:9]
	v_fmac_f64_e32 v[8:9], v[10:11], v[4:5]
	s_waitcnt lgkmcnt(4)
	v_add_f64 v[12:13], v[12:13], -v[32:33]
	s_waitcnt lgkmcnt(0)
	v_mul_f64 v[32:33], v[26:27], -v[30:31]
	v_add_f64 v[14:15], v[14:15], -v[8:9]
	ds_read_b128 v[8:11], v34 offset:17440
	v_fmac_f64_e32 v[32:33], v[28:29], v[24:25]
	v_mul_f64 v[28:29], v[26:27], v[28:29]
	v_fmac_f64_e32 v[28:29], v[30:31], v[24:25]
	v_add_f64 v[12:13], v[12:13], -v[32:33]
	v_add_f64 v[14:15], v[14:15], -v[28:29]
	ds_write_b128 v34, v[12:15] offset:1024
	v_mul_f64 v[12:13], v[6:7], -v[18:19]
	v_fmac_f64_e32 v[12:13], v[16:17], v[4:5]
	v_mul_f64 v[6:7], v[6:7], v[16:17]
	v_fmac_f64_e32 v[6:7], v[18:19], v[4:5]
	v_add_f64 v[4:5], v[20:21], -v[12:13]
	s_waitcnt lgkmcnt(1)
	v_mul_f64 v[12:13], v[26:27], -v[10:11]
	v_fmac_f64_e32 v[12:13], v[8:9], v[24:25]
	v_mul_f64 v[8:9], v[26:27], v[8:9]
	v_add_f64 v[6:7], v[22:23], -v[6:7]
	v_fmac_f64_e32 v[8:9], v[10:11], v[24:25]
	v_add_f64 v[4:5], v[4:5], -v[12:13]
	v_add_f64 v[6:7], v[6:7], -v[8:9]
	ds_write_b128 v34, v[4:7] offset:5136
.LBB313_22:
	s_or_b64 exec, exec, s[2:3]
	v_cmp_gt_u32_e64 s[0:1], 4, v0
	s_waitcnt lgkmcnt(0)
	s_barrier
	s_and_saveexec_b64 s[2:3], s[0:1]
	s_cbranch_execz .LBB313_24
; %bb.23:
	v_lshlrev_b32_e32 v34, 10, v0
	ds_read_b128 v[4:7], v34 offset:5136
	ds_read_b128 v[8:11], v34 offset:12816
	ds_read_b128 v[12:15], v34 offset:512
	ds_read_b128 v[16:19], v34 offset:8736
	ds_read_b128 v[20:23], v34 offset:4624
	ds_read_b128 v[24:27], v34
	ds_read_b128 v[28:31], v34 offset:21008
	s_waitcnt lgkmcnt(5)
	v_mul_f64 v[32:33], v[6:7], -v[10:11]
	v_fmac_f64_e32 v[32:33], v[8:9], v[4:5]
	v_mul_f64 v[8:9], v[6:7], v[8:9]
	v_fmac_f64_e32 v[8:9], v[10:11], v[4:5]
	s_waitcnt lgkmcnt(4)
	v_add_f64 v[12:13], v[12:13], -v[32:33]
	s_waitcnt lgkmcnt(0)
	v_mul_f64 v[32:33], v[26:27], -v[30:31]
	v_add_f64 v[14:15], v[14:15], -v[8:9]
	ds_read_b128 v[8:11], v34 offset:16928
	v_fmac_f64_e32 v[32:33], v[28:29], v[24:25]
	v_mul_f64 v[28:29], v[26:27], v[28:29]
	v_fmac_f64_e32 v[28:29], v[30:31], v[24:25]
	v_add_f64 v[12:13], v[12:13], -v[32:33]
	v_add_f64 v[14:15], v[14:15], -v[28:29]
	ds_write_b128 v34, v[12:15] offset:512
	v_mul_f64 v[12:13], v[6:7], -v[18:19]
	v_fmac_f64_e32 v[12:13], v[16:17], v[4:5]
	v_mul_f64 v[6:7], v[6:7], v[16:17]
	v_fmac_f64_e32 v[6:7], v[18:19], v[4:5]
	v_add_f64 v[4:5], v[20:21], -v[12:13]
	s_waitcnt lgkmcnt(1)
	v_mul_f64 v[12:13], v[26:27], -v[10:11]
	v_fmac_f64_e32 v[12:13], v[8:9], v[24:25]
	v_mul_f64 v[8:9], v[26:27], v[8:9]
	v_add_f64 v[6:7], v[22:23], -v[6:7]
	v_fmac_f64_e32 v[8:9], v[10:11], v[24:25]
	v_add_f64 v[4:5], v[4:5], -v[12:13]
	v_add_f64 v[6:7], v[6:7], -v[8:9]
	ds_write_b128 v34, v[4:7] offset:4624
.LBB313_24:
	;; [unrolled: 47-line block ×5, first 2 shown]
	s_or_b64 exec, exec, s[2:3]
	v_cmp_gt_u32_e64 s[0:1], 64, v0
	s_waitcnt lgkmcnt(0)
	s_barrier
	s_and_saveexec_b64 s[2:3], s[0:1]
	s_cbranch_execz .LBB313_32
; %bb.31:
	v_lshlrev_b32_e32 v34, 6, v0
	ds_read_b128 v[4:7], v34 offset:4176
	ds_read_b128 v[8:11], v34 offset:12336
	;; [unrolled: 1-line block ×4, first 2 shown]
	ds_read_b128 v[20:23], v34
	ds_read_b128 v[24:27], v34 offset:32
	ds_read_b128 v[28:31], v34 offset:20528
	s_waitcnt lgkmcnt(5)
	v_mul_f64 v[32:33], v[6:7], -v[10:11]
	v_fmac_f64_e32 v[32:33], v[8:9], v[4:5]
	v_mul_f64 v[8:9], v[6:7], v[8:9]
	v_fmac_f64_e32 v[8:9], v[10:11], v[4:5]
	s_waitcnt lgkmcnt(1)
	v_add_f64 v[24:25], v[24:25], -v[32:33]
	v_add_f64 v[26:27], v[26:27], -v[8:9]
	ds_read_b128 v[8:11], v34 offset:16448
	s_waitcnt lgkmcnt(1)
	v_mul_f64 v[32:33], v[22:23], -v[30:31]
	v_fmac_f64_e32 v[32:33], v[28:29], v[20:21]
	v_mul_f64 v[28:29], v[22:23], v[28:29]
	v_fmac_f64_e32 v[28:29], v[30:31], v[20:21]
	v_add_f64 v[24:25], v[24:25], -v[32:33]
	v_add_f64 v[26:27], v[26:27], -v[28:29]
	ds_write_b128 v34, v[24:27] offset:32
	v_mul_f64 v[24:25], v[6:7], -v[14:15]
	v_fmac_f64_e32 v[24:25], v[12:13], v[4:5]
	v_mul_f64 v[6:7], v[6:7], v[12:13]
	s_waitcnt lgkmcnt(1)
	v_mul_f64 v[12:13], v[22:23], -v[10:11]
	v_fmac_f64_e32 v[6:7], v[14:15], v[4:5]
	v_fmac_f64_e32 v[12:13], v[8:9], v[20:21]
	v_mul_f64 v[8:9], v[22:23], v[8:9]
	v_add_f64 v[4:5], v[16:17], -v[24:25]
	v_add_f64 v[6:7], v[18:19], -v[6:7]
	v_fmac_f64_e32 v[8:9], v[10:11], v[20:21]
	v_add_f64 v[4:5], v[4:5], -v[12:13]
	v_add_f64 v[6:7], v[6:7], -v[8:9]
	ds_write_b128 v34, v[4:7] offset:4144
.LBB313_32:
	s_or_b64 exec, exec, s[2:3]
	s_movk_i32 s0, 0x80
	v_cmp_gt_u32_e64 s[0:1], s0, v0
	s_waitcnt lgkmcnt(0)
	s_barrier
	s_and_saveexec_b64 s[2:3], s[0:1]
	s_cbranch_execz .LBB313_34
; %bb.33:
	v_lshlrev_b32_e32 v0, 5, v0
	ds_read_b128 v[4:7], v0 offset:4144
	ds_read_b128 v[8:11], v0 offset:12320
	;; [unrolled: 1-line block ×4, first 2 shown]
	ds_read_b128 v[20:23], v0
	ds_read_b128 v[24:27], v0 offset:16
	ds_read_b128 v[28:31], v0 offset:20512
	s_waitcnt lgkmcnt(5)
	v_mul_f64 v[32:33], v[6:7], -v[10:11]
	v_fmac_f64_e32 v[32:33], v[8:9], v[4:5]
	v_mul_f64 v[8:9], v[6:7], v[8:9]
	v_fmac_f64_e32 v[8:9], v[10:11], v[4:5]
	s_waitcnt lgkmcnt(1)
	v_add_f64 v[24:25], v[24:25], -v[32:33]
	v_add_f64 v[26:27], v[26:27], -v[8:9]
	ds_read_b128 v[8:11], v0 offset:16432
	s_waitcnt lgkmcnt(1)
	v_mul_f64 v[32:33], v[22:23], -v[30:31]
	v_fmac_f64_e32 v[32:33], v[28:29], v[20:21]
	v_mul_f64 v[28:29], v[22:23], v[28:29]
	v_fmac_f64_e32 v[28:29], v[30:31], v[20:21]
	v_add_f64 v[24:25], v[24:25], -v[32:33]
	v_add_f64 v[26:27], v[26:27], -v[28:29]
	ds_write_b128 v0, v[24:27] offset:16
	v_mul_f64 v[24:25], v[6:7], -v[14:15]
	v_fmac_f64_e32 v[24:25], v[12:13], v[4:5]
	v_mul_f64 v[6:7], v[6:7], v[12:13]
	s_waitcnt lgkmcnt(1)
	v_mul_f64 v[12:13], v[22:23], -v[10:11]
	v_fmac_f64_e32 v[6:7], v[14:15], v[4:5]
	v_fmac_f64_e32 v[12:13], v[8:9], v[20:21]
	v_mul_f64 v[8:9], v[22:23], v[8:9]
	v_add_f64 v[4:5], v[16:17], -v[24:25]
	v_add_f64 v[6:7], v[18:19], -v[6:7]
	v_fmac_f64_e32 v[8:9], v[10:11], v[20:21]
	v_add_f64 v[4:5], v[4:5], -v[12:13]
	v_add_f64 v[6:7], v[6:7], -v[8:9]
	ds_write_b128 v0, v[4:7] offset:4128
.LBB313_34:
	s_or_b64 exec, exec, s[2:3]
	s_waitcnt lgkmcnt(0)
	s_barrier
	s_and_saveexec_b64 s[0:1], vcc
	s_cbranch_execz .LBB313_36
; %bb.35:
	ds_read2_b64 v[4:7], v3 offset1:1
	ds_read2_b64 v[8:11], v1 offset1:1
	v_ashrrev_i32_e32 v3, 31, v2
	v_lshl_add_u64 v[0:1], v[2:3], 4, s[6:7]
	s_waitcnt lgkmcnt(1)
	global_store_dwordx4 v[0:1], v[4:7], off
	v_mad_u64_u32 v[0:1], s[0:1], s20, 15, v[2:3]
	v_mov_b32_e32 v1, 0
	v_lshl_add_u64 v[0:1], v[0:1], 4, s[6:7]
	s_waitcnt lgkmcnt(0)
	global_store_dwordx4 v[0:1], v[8:11], off
.LBB313_36:
	s_endpgm
	.section	.rodata,"a",@progbits
	.p2align	6, 0x0
	.amdhsa_kernel _ZN9rocsparseL33gtsv_solve_spike_propagate_kernelILj256ELj16E21rocsparse_complex_numIdEEEviiiPT1_PKS3_S6_S6_
		.amdhsa_group_segment_fixed_size 24608
		.amdhsa_private_segment_fixed_size 0
		.amdhsa_kernarg_size 304
		.amdhsa_user_sgpr_count 2
		.amdhsa_user_sgpr_dispatch_ptr 0
		.amdhsa_user_sgpr_queue_ptr 0
		.amdhsa_user_sgpr_kernarg_segment_ptr 1
		.amdhsa_user_sgpr_dispatch_id 0
		.amdhsa_user_sgpr_kernarg_preload_length 0
		.amdhsa_user_sgpr_kernarg_preload_offset 0
		.amdhsa_user_sgpr_private_segment_size 0
		.amdhsa_uses_dynamic_stack 0
		.amdhsa_enable_private_segment 0
		.amdhsa_system_sgpr_workgroup_id_x 1
		.amdhsa_system_sgpr_workgroup_id_y 1
		.amdhsa_system_sgpr_workgroup_id_z 0
		.amdhsa_system_sgpr_workgroup_info 0
		.amdhsa_system_vgpr_workitem_id 0
		.amdhsa_next_free_vgpr 73
		.amdhsa_next_free_sgpr 91
		.amdhsa_accum_offset 36
		.amdhsa_reserve_vcc 1
		.amdhsa_float_round_mode_32 0
		.amdhsa_float_round_mode_16_64 0
		.amdhsa_float_denorm_mode_32 3
		.amdhsa_float_denorm_mode_16_64 3
		.amdhsa_dx10_clamp 1
		.amdhsa_ieee_mode 1
		.amdhsa_fp16_overflow 0
		.amdhsa_tg_split 0
		.amdhsa_exception_fp_ieee_invalid_op 0
		.amdhsa_exception_fp_denorm_src 0
		.amdhsa_exception_fp_ieee_div_zero 0
		.amdhsa_exception_fp_ieee_overflow 0
		.amdhsa_exception_fp_ieee_underflow 0
		.amdhsa_exception_fp_ieee_inexact 0
		.amdhsa_exception_int_div_zero 0
	.end_amdhsa_kernel
	.section	.text._ZN9rocsparseL33gtsv_solve_spike_propagate_kernelILj256ELj16E21rocsparse_complex_numIdEEEviiiPT1_PKS3_S6_S6_,"axG",@progbits,_ZN9rocsparseL33gtsv_solve_spike_propagate_kernelILj256ELj16E21rocsparse_complex_numIdEEEviiiPT1_PKS3_S6_S6_,comdat
.Lfunc_end313:
	.size	_ZN9rocsparseL33gtsv_solve_spike_propagate_kernelILj256ELj16E21rocsparse_complex_numIdEEEviiiPT1_PKS3_S6_S6_, .Lfunc_end313-_ZN9rocsparseL33gtsv_solve_spike_propagate_kernelILj256ELj16E21rocsparse_complex_numIdEEEviiiPT1_PKS3_S6_S6_
                                        ; -- End function
	.set _ZN9rocsparseL33gtsv_solve_spike_propagate_kernelILj256ELj16E21rocsparse_complex_numIdEEEviiiPT1_PKS3_S6_S6_.num_vgpr, 35
	.set _ZN9rocsparseL33gtsv_solve_spike_propagate_kernelILj256ELj16E21rocsparse_complex_numIdEEEviiiPT1_PKS3_S6_S6_.num_agpr, 0
	.set _ZN9rocsparseL33gtsv_solve_spike_propagate_kernelILj256ELj16E21rocsparse_complex_numIdEEEviiiPT1_PKS3_S6_S6_.numbered_sgpr, 22
	.set _ZN9rocsparseL33gtsv_solve_spike_propagate_kernelILj256ELj16E21rocsparse_complex_numIdEEEviiiPT1_PKS3_S6_S6_.num_named_barrier, 0
	.set _ZN9rocsparseL33gtsv_solve_spike_propagate_kernelILj256ELj16E21rocsparse_complex_numIdEEEviiiPT1_PKS3_S6_S6_.private_seg_size, 0
	.set _ZN9rocsparseL33gtsv_solve_spike_propagate_kernelILj256ELj16E21rocsparse_complex_numIdEEEviiiPT1_PKS3_S6_S6_.uses_vcc, 1
	.set _ZN9rocsparseL33gtsv_solve_spike_propagate_kernelILj256ELj16E21rocsparse_complex_numIdEEEviiiPT1_PKS3_S6_S6_.uses_flat_scratch, 0
	.set _ZN9rocsparseL33gtsv_solve_spike_propagate_kernelILj256ELj16E21rocsparse_complex_numIdEEEviiiPT1_PKS3_S6_S6_.has_dyn_sized_stack, 0
	.set _ZN9rocsparseL33gtsv_solve_spike_propagate_kernelILj256ELj16E21rocsparse_complex_numIdEEEviiiPT1_PKS3_S6_S6_.has_recursion, 0
	.set _ZN9rocsparseL33gtsv_solve_spike_propagate_kernelILj256ELj16E21rocsparse_complex_numIdEEEviiiPT1_PKS3_S6_S6_.has_indirect_call, 0
	.section	.AMDGPU.csdata,"",@progbits
; Kernel info:
; codeLenInByte = 3164
; TotalNumSgprs: 28
; NumVgprs: 35
; NumAgprs: 0
; TotalNumVgprs: 35
; ScratchSize: 0
; MemoryBound: 0
; FloatMode: 240
; IeeeMode: 1
; LDSByteSize: 24608 bytes/workgroup (compile time only)
; SGPRBlocks: 12
; VGPRBlocks: 9
; NumSGPRsForWavesPerEU: 97
; NumVGPRsForWavesPerEU: 73
; AccumOffset: 36
; Occupancy: 6
; WaveLimiterHint : 0
; COMPUTE_PGM_RSRC2:SCRATCH_EN: 0
; COMPUTE_PGM_RSRC2:USER_SGPR: 2
; COMPUTE_PGM_RSRC2:TRAP_HANDLER: 0
; COMPUTE_PGM_RSRC2:TGID_X_EN: 1
; COMPUTE_PGM_RSRC2:TGID_Y_EN: 1
; COMPUTE_PGM_RSRC2:TGID_Z_EN: 0
; COMPUTE_PGM_RSRC2:TIDIG_COMP_CNT: 0
; COMPUTE_PGM_RSRC3_GFX90A:ACCUM_OFFSET: 8
; COMPUTE_PGM_RSRC3_GFX90A:TG_SPLIT: 0
	.section	.text._ZN9rocsparseL39gtsv_spike_backward_substitution_kernelILj256ELj16E21rocsparse_complex_numIdEEEviiiPT1_PKS3_S6_,"axG",@progbits,_ZN9rocsparseL39gtsv_spike_backward_substitution_kernelILj256ELj16E21rocsparse_complex_numIdEEEviiiPT1_PKS3_S6_,comdat
	.globl	_ZN9rocsparseL39gtsv_spike_backward_substitution_kernelILj256ELj16E21rocsparse_complex_numIdEEEviiiPT1_PKS3_S6_ ; -- Begin function _ZN9rocsparseL39gtsv_spike_backward_substitution_kernelILj256ELj16E21rocsparse_complex_numIdEEEviiiPT1_PKS3_S6_
	.p2align	8
	.type	_ZN9rocsparseL39gtsv_spike_backward_substitution_kernelILj256ELj16E21rocsparse_complex_numIdEEEviiiPT1_PKS3_S6_,@function
_ZN9rocsparseL39gtsv_spike_backward_substitution_kernelILj256ELj16E21rocsparse_complex_numIdEEEviiiPT1_PKS3_S6_: ; @_ZN9rocsparseL39gtsv_spike_backward_substitution_kernelILj256ELj16E21rocsparse_complex_numIdEEEviiiPT1_PKS3_S6_
; %bb.0:
	s_load_dword s6, s[0:1], 0x0
	s_lshl_b32 s10, s2, 8
	v_or_b32_e32 v10, s10, v0
	s_waitcnt lgkmcnt(0)
	s_lshr_b32 s11, s6, 4
	v_cmp_gt_i32_e32 vcc, s11, v10
	s_and_saveexec_b64 s[4:5], vcc
	s_cbranch_execz .LBB314_7
; %bb.1:
	s_load_dwordx2 s[8:9], s[0:1], 0x10
	v_cmp_lt_i32_e32 vcc, 0, v10
	v_mov_b64_e32 v[2:3], 0
	s_mul_i32 s2, s6, s3
	v_mov_b64_e32 v[4:5], 0
	s_and_saveexec_b64 s[4:5], vcc
	s_cbranch_execz .LBB314_3
; %bb.2:
	s_mul_i32 s7, s11, 15
	s_mul_i32 s3, s6, s3
	s_add_i32 s7, s7, s3
	v_add3_u32 v2, v10, s7, -1
	v_mov_b32_e32 v3, 0
	s_waitcnt lgkmcnt(0)
	v_lshl_add_u64 v[2:3], v[2:3], 4, s[8:9]
	global_load_dwordx4 v[2:5], v[2:3], off
.LBB314_3:
	s_or_b64 exec, exec, s[4:5]
	v_add_u32_e32 v1, 16, v10
	v_cmp_le_u32_e32 vcc, s6, v1
	s_and_saveexec_b64 s[4:5], vcc
	s_xor_b64 s[4:5], exec, s[4:5]
	s_or_saveexec_b64 s[4:5], s[4:5]
	v_mov_b64_e32 v[6:7], 0
	v_mov_b32_e32 v12, s2
	v_mov_b64_e32 v[8:9], 0
	s_xor_b64 exec, exec, s[4:5]
	s_cbranch_execz .LBB314_5
; %bb.4:
	s_ashr_i32 s3, s2, 31
	v_ashrrev_i32_e32 v11, 31, v10
	v_lshl_add_u64 v[6:7], v[10:11], 0, s[2:3]
	s_waitcnt lgkmcnt(0)
	v_lshl_add_u64 v[6:7], v[6:7], 4, s[8:9]
	global_load_dwordx4 v[6:9], v[6:7], off offset:16
	v_mov_b32_e32 v12, s2
.LBB314_5:
	s_or_b64 exec, exec, s[4:5]
	s_load_dwordx4 s[4:7], s[0:1], 0x18
	s_lshl_b32 s0, s11, 1
	s_add_i32 s10, s10, s11
	v_add_u32_e32 v10, s0, v10
	v_add_u32_e32 v0, s10, v0
	s_mov_b32 s1, 14
.LBB314_6:                              ; =>This Inner Loop Header: Depth=1
	v_ashrrev_i32_e32 v1, 31, v0
	v_add_u32_e32 v14, v12, v0
	v_lshlrev_b64 v[16:17], 4, v[0:1]
	v_ashrrev_i32_e32 v15, 31, v14
	s_waitcnt lgkmcnt(0)
	v_lshl_add_u64 v[26:27], s[4:5], 0, v[16:17]
	v_lshl_add_u64 v[34:35], v[14:15], 4, s[8:9]
	;; [unrolled: 1-line block ×3, first 2 shown]
	global_load_dwordx4 v[14:17], v[26:27], off
	global_load_dwordx4 v[18:21], v[28:29], off
	;; [unrolled: 1-line block ×3, first 2 shown]
	v_ashrrev_i32_e32 v11, 31, v10
	v_add_u32_e32 v26, v12, v10
	v_lshlrev_b64 v[28:29], 4, v[10:11]
	v_ashrrev_i32_e32 v27, 31, v26
	v_lshl_add_u64 v[38:39], s[4:5], 0, v[28:29]
	v_lshl_add_u64 v[40:41], s[6:7], 0, v[28:29]
	;; [unrolled: 1-line block ×3, first 2 shown]
	global_load_dwordx4 v[26:29], v[38:39], off
	global_load_dwordx4 v[30:33], v[40:41], off
	s_add_i32 s1, s1, -2
	v_add_u32_e32 v10, s0, v10
	v_add_u32_e32 v0, s0, v0
	s_cmp_lg_u32 s1, 0
	s_waitcnt vmcnt(4)
	v_mul_f64 v[38:39], v[4:5], -v[16:17]
	v_mul_f64 v[40:41], v[4:5], v[14:15]
	s_waitcnt vmcnt(3)
	v_mul_f64 v[42:43], v[8:9], -v[20:21]
	v_mul_f64 v[44:45], v[8:9], v[18:19]
	v_fmac_f64_e32 v[38:39], v[14:15], v[2:3]
	v_fmac_f64_e32 v[40:41], v[16:17], v[2:3]
	;; [unrolled: 1-line block ×4, first 2 shown]
	s_waitcnt vmcnt(2)
	v_add_f64 v[14:15], v[22:23], -v[38:39]
	v_add_f64 v[16:17], v[24:25], -v[40:41]
	;; [unrolled: 1-line block ×4, first 2 shown]
	global_store_dwordx4 v[34:35], v[14:17], off
	global_load_dwordx4 v[14:17], v[36:37], off
	s_waitcnt vmcnt(3)
	v_mul_f64 v[18:19], v[4:5], -v[28:29]
	v_mul_f64 v[20:21], v[4:5], v[26:27]
	s_waitcnt vmcnt(2)
	v_mul_f64 v[22:23], v[8:9], -v[32:33]
	v_mul_f64 v[24:25], v[8:9], v[30:31]
	v_fmac_f64_e32 v[18:19], v[26:27], v[2:3]
	v_fmac_f64_e32 v[20:21], v[28:29], v[2:3]
	;; [unrolled: 1-line block ×4, first 2 shown]
	s_waitcnt vmcnt(0)
	v_add_f64 v[14:15], v[14:15], -v[18:19]
	v_add_f64 v[16:17], v[16:17], -v[20:21]
	;; [unrolled: 1-line block ×4, first 2 shown]
	global_store_dwordx4 v[36:37], v[14:17], off
	s_cbranch_scc1 .LBB314_6
.LBB314_7:
	s_endpgm
	.section	.rodata,"a",@progbits
	.p2align	6, 0x0
	.amdhsa_kernel _ZN9rocsparseL39gtsv_spike_backward_substitution_kernelILj256ELj16E21rocsparse_complex_numIdEEEviiiPT1_PKS3_S6_
		.amdhsa_group_segment_fixed_size 0
		.amdhsa_private_segment_fixed_size 0
		.amdhsa_kernarg_size 40
		.amdhsa_user_sgpr_count 2
		.amdhsa_user_sgpr_dispatch_ptr 0
		.amdhsa_user_sgpr_queue_ptr 0
		.amdhsa_user_sgpr_kernarg_segment_ptr 1
		.amdhsa_user_sgpr_dispatch_id 0
		.amdhsa_user_sgpr_kernarg_preload_length 0
		.amdhsa_user_sgpr_kernarg_preload_offset 0
		.amdhsa_user_sgpr_private_segment_size 0
		.amdhsa_uses_dynamic_stack 0
		.amdhsa_enable_private_segment 0
		.amdhsa_system_sgpr_workgroup_id_x 1
		.amdhsa_system_sgpr_workgroup_id_y 1
		.amdhsa_system_sgpr_workgroup_id_z 0
		.amdhsa_system_sgpr_workgroup_info 0
		.amdhsa_system_vgpr_workitem_id 0
		.amdhsa_next_free_vgpr 46
		.amdhsa_next_free_sgpr 12
		.amdhsa_accum_offset 48
		.amdhsa_reserve_vcc 1
		.amdhsa_float_round_mode_32 0
		.amdhsa_float_round_mode_16_64 0
		.amdhsa_float_denorm_mode_32 3
		.amdhsa_float_denorm_mode_16_64 3
		.amdhsa_dx10_clamp 1
		.amdhsa_ieee_mode 1
		.amdhsa_fp16_overflow 0
		.amdhsa_tg_split 0
		.amdhsa_exception_fp_ieee_invalid_op 0
		.amdhsa_exception_fp_denorm_src 0
		.amdhsa_exception_fp_ieee_div_zero 0
		.amdhsa_exception_fp_ieee_overflow 0
		.amdhsa_exception_fp_ieee_underflow 0
		.amdhsa_exception_fp_ieee_inexact 0
		.amdhsa_exception_int_div_zero 0
	.end_amdhsa_kernel
	.section	.text._ZN9rocsparseL39gtsv_spike_backward_substitution_kernelILj256ELj16E21rocsparse_complex_numIdEEEviiiPT1_PKS3_S6_,"axG",@progbits,_ZN9rocsparseL39gtsv_spike_backward_substitution_kernelILj256ELj16E21rocsparse_complex_numIdEEEviiiPT1_PKS3_S6_,comdat
.Lfunc_end314:
	.size	_ZN9rocsparseL39gtsv_spike_backward_substitution_kernelILj256ELj16E21rocsparse_complex_numIdEEEviiiPT1_PKS3_S6_, .Lfunc_end314-_ZN9rocsparseL39gtsv_spike_backward_substitution_kernelILj256ELj16E21rocsparse_complex_numIdEEEviiiPT1_PKS3_S6_
                                        ; -- End function
	.set _ZN9rocsparseL39gtsv_spike_backward_substitution_kernelILj256ELj16E21rocsparse_complex_numIdEEEviiiPT1_PKS3_S6_.num_vgpr, 46
	.set _ZN9rocsparseL39gtsv_spike_backward_substitution_kernelILj256ELj16E21rocsparse_complex_numIdEEEviiiPT1_PKS3_S6_.num_agpr, 0
	.set _ZN9rocsparseL39gtsv_spike_backward_substitution_kernelILj256ELj16E21rocsparse_complex_numIdEEEviiiPT1_PKS3_S6_.numbered_sgpr, 12
	.set _ZN9rocsparseL39gtsv_spike_backward_substitution_kernelILj256ELj16E21rocsparse_complex_numIdEEEviiiPT1_PKS3_S6_.num_named_barrier, 0
	.set _ZN9rocsparseL39gtsv_spike_backward_substitution_kernelILj256ELj16E21rocsparse_complex_numIdEEEviiiPT1_PKS3_S6_.private_seg_size, 0
	.set _ZN9rocsparseL39gtsv_spike_backward_substitution_kernelILj256ELj16E21rocsparse_complex_numIdEEEviiiPT1_PKS3_S6_.uses_vcc, 1
	.set _ZN9rocsparseL39gtsv_spike_backward_substitution_kernelILj256ELj16E21rocsparse_complex_numIdEEEviiiPT1_PKS3_S6_.uses_flat_scratch, 0
	.set _ZN9rocsparseL39gtsv_spike_backward_substitution_kernelILj256ELj16E21rocsparse_complex_numIdEEEviiiPT1_PKS3_S6_.has_dyn_sized_stack, 0
	.set _ZN9rocsparseL39gtsv_spike_backward_substitution_kernelILj256ELj16E21rocsparse_complex_numIdEEEviiiPT1_PKS3_S6_.has_recursion, 0
	.set _ZN9rocsparseL39gtsv_spike_backward_substitution_kernelILj256ELj16E21rocsparse_complex_numIdEEEviiiPT1_PKS3_S6_.has_indirect_call, 0
	.section	.AMDGPU.csdata,"",@progbits
; Kernel info:
; codeLenInByte = 592
; TotalNumSgprs: 18
; NumVgprs: 46
; NumAgprs: 0
; TotalNumVgprs: 46
; ScratchSize: 0
; MemoryBound: 0
; FloatMode: 240
; IeeeMode: 1
; LDSByteSize: 0 bytes/workgroup (compile time only)
; SGPRBlocks: 2
; VGPRBlocks: 5
; NumSGPRsForWavesPerEU: 18
; NumVGPRsForWavesPerEU: 46
; AccumOffset: 48
; Occupancy: 8
; WaveLimiterHint : 0
; COMPUTE_PGM_RSRC2:SCRATCH_EN: 0
; COMPUTE_PGM_RSRC2:USER_SGPR: 2
; COMPUTE_PGM_RSRC2:TRAP_HANDLER: 0
; COMPUTE_PGM_RSRC2:TGID_X_EN: 1
; COMPUTE_PGM_RSRC2:TGID_Y_EN: 1
; COMPUTE_PGM_RSRC2:TGID_Z_EN: 0
; COMPUTE_PGM_RSRC2:TIDIG_COMP_CNT: 0
; COMPUTE_PGM_RSRC3_GFX90A:ACCUM_OFFSET: 11
; COMPUTE_PGM_RSRC3_GFX90A:TG_SPLIT: 0
	.section	.text._ZN9rocsparseL32gtsv_transpose_back_array_kernelILj256ELj16E21rocsparse_complex_numIdEEEviiiPKT1_PS3_,"axG",@progbits,_ZN9rocsparseL32gtsv_transpose_back_array_kernelILj256ELj16E21rocsparse_complex_numIdEEEviiiPKT1_PS3_,comdat
	.globl	_ZN9rocsparseL32gtsv_transpose_back_array_kernelILj256ELj16E21rocsparse_complex_numIdEEEviiiPKT1_PS3_ ; -- Begin function _ZN9rocsparseL32gtsv_transpose_back_array_kernelILj256ELj16E21rocsparse_complex_numIdEEEviiiPKT1_PS3_
	.p2align	8
	.type	_ZN9rocsparseL32gtsv_transpose_back_array_kernelILj256ELj16E21rocsparse_complex_numIdEEEviiiPKT1_PS3_,@function
_ZN9rocsparseL32gtsv_transpose_back_array_kernelILj256ELj16E21rocsparse_complex_numIdEEEviiiPKT1_PS3_: ; @_ZN9rocsparseL32gtsv_transpose_back_array_kernelILj256ELj16E21rocsparse_complex_numIdEEEviiiPKT1_PS3_
; %bb.0:
	s_load_dwordx4 s[4:7], s[0:1], 0x0
	v_lshl_or_b32 v0, s2, 8, v0
	v_lshlrev_b32_e32 v2, 4, v0
	s_waitcnt lgkmcnt(0)
	v_cvt_f32_u32_e32 v1, s5
	s_sub_i32 s2, 0, s5
	v_rcp_iflag_f32_e32 v1, v1
	s_nop 0
	v_mul_f32_e32 v1, 0x4f7ffffe, v1
	v_cvt_u32_f32_e32 v1, v1
	v_mul_lo_u32 v3, s2, v1
	v_mul_hi_u32 v3, v1, v3
	v_add_u32_e32 v1, v1, v3
	v_mul_hi_u32 v1, v2, v1
	v_mul_lo_u32 v3, v1, s5
	v_sub_u32_e32 v3, v2, v3
	v_add_u32_e32 v4, 1, v1
	v_cmp_le_u32_e32 vcc, s5, v3
	s_nop 1
	v_cndmask_b32_e32 v1, v1, v4, vcc
	v_subrev_u32_e32 v4, s5, v3
	v_cndmask_b32_e32 v3, v3, v4, vcc
	v_add_u32_e32 v4, 1, v1
	v_cmp_le_u32_e32 vcc, s5, v3
	s_nop 1
	v_cndmask_b32_e32 v1, v1, v4, vcc
	v_mul_lo_u32 v3, v1, s5
	v_sub_u32_e32 v2, v2, v3
	v_add_u32_e32 v1, v1, v2
	v_cmp_gt_i32_e32 vcc, s4, v1
	s_and_saveexec_b64 s[8:9], vcc
	s_cbranch_execz .LBB315_2
; %bb.1:
	s_load_dwordx4 s[8:11], s[0:1], 0x10
	s_mul_i32 s0, s5, s3
	v_add_u32_e32 v2, s0, v0
	v_ashrrev_i32_e32 v3, 31, v2
	s_mul_i32 s0, s6, s3
	s_waitcnt lgkmcnt(0)
	v_lshl_add_u64 v[2:3], v[2:3], 4, s[8:9]
	global_load_dwordx4 v[2:5], v[2:3], off
	v_add_u32_e32 v0, s0, v1
	v_ashrrev_i32_e32 v1, 31, v0
	v_lshl_add_u64 v[0:1], v[0:1], 4, s[10:11]
	s_waitcnt vmcnt(0)
	global_store_dwordx4 v[0:1], v[2:5], off
.LBB315_2:
	s_endpgm
	.section	.rodata,"a",@progbits
	.p2align	6, 0x0
	.amdhsa_kernel _ZN9rocsparseL32gtsv_transpose_back_array_kernelILj256ELj16E21rocsparse_complex_numIdEEEviiiPKT1_PS3_
		.amdhsa_group_segment_fixed_size 0
		.amdhsa_private_segment_fixed_size 0
		.amdhsa_kernarg_size 32
		.amdhsa_user_sgpr_count 2
		.amdhsa_user_sgpr_dispatch_ptr 0
		.amdhsa_user_sgpr_queue_ptr 0
		.amdhsa_user_sgpr_kernarg_segment_ptr 1
		.amdhsa_user_sgpr_dispatch_id 0
		.amdhsa_user_sgpr_kernarg_preload_length 0
		.amdhsa_user_sgpr_kernarg_preload_offset 0
		.amdhsa_user_sgpr_private_segment_size 0
		.amdhsa_uses_dynamic_stack 0
		.amdhsa_enable_private_segment 0
		.amdhsa_system_sgpr_workgroup_id_x 1
		.amdhsa_system_sgpr_workgroup_id_y 1
		.amdhsa_system_sgpr_workgroup_id_z 0
		.amdhsa_system_sgpr_workgroup_info 0
		.amdhsa_system_vgpr_workitem_id 0
		.amdhsa_next_free_vgpr 6
		.amdhsa_next_free_sgpr 12
		.amdhsa_accum_offset 8
		.amdhsa_reserve_vcc 1
		.amdhsa_float_round_mode_32 0
		.amdhsa_float_round_mode_16_64 0
		.amdhsa_float_denorm_mode_32 3
		.amdhsa_float_denorm_mode_16_64 3
		.amdhsa_dx10_clamp 1
		.amdhsa_ieee_mode 1
		.amdhsa_fp16_overflow 0
		.amdhsa_tg_split 0
		.amdhsa_exception_fp_ieee_invalid_op 0
		.amdhsa_exception_fp_denorm_src 0
		.amdhsa_exception_fp_ieee_div_zero 0
		.amdhsa_exception_fp_ieee_overflow 0
		.amdhsa_exception_fp_ieee_underflow 0
		.amdhsa_exception_fp_ieee_inexact 0
		.amdhsa_exception_int_div_zero 0
	.end_amdhsa_kernel
	.section	.text._ZN9rocsparseL32gtsv_transpose_back_array_kernelILj256ELj16E21rocsparse_complex_numIdEEEviiiPKT1_PS3_,"axG",@progbits,_ZN9rocsparseL32gtsv_transpose_back_array_kernelILj256ELj16E21rocsparse_complex_numIdEEEviiiPKT1_PS3_,comdat
.Lfunc_end315:
	.size	_ZN9rocsparseL32gtsv_transpose_back_array_kernelILj256ELj16E21rocsparse_complex_numIdEEEviiiPKT1_PS3_, .Lfunc_end315-_ZN9rocsparseL32gtsv_transpose_back_array_kernelILj256ELj16E21rocsparse_complex_numIdEEEviiiPKT1_PS3_
                                        ; -- End function
	.set _ZN9rocsparseL32gtsv_transpose_back_array_kernelILj256ELj16E21rocsparse_complex_numIdEEEviiiPKT1_PS3_.num_vgpr, 6
	.set _ZN9rocsparseL32gtsv_transpose_back_array_kernelILj256ELj16E21rocsparse_complex_numIdEEEviiiPKT1_PS3_.num_agpr, 0
	.set _ZN9rocsparseL32gtsv_transpose_back_array_kernelILj256ELj16E21rocsparse_complex_numIdEEEviiiPKT1_PS3_.numbered_sgpr, 12
	.set _ZN9rocsparseL32gtsv_transpose_back_array_kernelILj256ELj16E21rocsparse_complex_numIdEEEviiiPKT1_PS3_.num_named_barrier, 0
	.set _ZN9rocsparseL32gtsv_transpose_back_array_kernelILj256ELj16E21rocsparse_complex_numIdEEEviiiPKT1_PS3_.private_seg_size, 0
	.set _ZN9rocsparseL32gtsv_transpose_back_array_kernelILj256ELj16E21rocsparse_complex_numIdEEEviiiPKT1_PS3_.uses_vcc, 1
	.set _ZN9rocsparseL32gtsv_transpose_back_array_kernelILj256ELj16E21rocsparse_complex_numIdEEEviiiPKT1_PS3_.uses_flat_scratch, 0
	.set _ZN9rocsparseL32gtsv_transpose_back_array_kernelILj256ELj16E21rocsparse_complex_numIdEEEviiiPKT1_PS3_.has_dyn_sized_stack, 0
	.set _ZN9rocsparseL32gtsv_transpose_back_array_kernelILj256ELj16E21rocsparse_complex_numIdEEEviiiPKT1_PS3_.has_recursion, 0
	.set _ZN9rocsparseL32gtsv_transpose_back_array_kernelILj256ELj16E21rocsparse_complex_numIdEEEviiiPKT1_PS3_.has_indirect_call, 0
	.section	.AMDGPU.csdata,"",@progbits
; Kernel info:
; codeLenInByte = 236
; TotalNumSgprs: 18
; NumVgprs: 6
; NumAgprs: 0
; TotalNumVgprs: 6
; ScratchSize: 0
; MemoryBound: 0
; FloatMode: 240
; IeeeMode: 1
; LDSByteSize: 0 bytes/workgroup (compile time only)
; SGPRBlocks: 2
; VGPRBlocks: 0
; NumSGPRsForWavesPerEU: 18
; NumVGPRsForWavesPerEU: 6
; AccumOffset: 8
; Occupancy: 8
; WaveLimiterHint : 0
; COMPUTE_PGM_RSRC2:SCRATCH_EN: 0
; COMPUTE_PGM_RSRC2:USER_SGPR: 2
; COMPUTE_PGM_RSRC2:TRAP_HANDLER: 0
; COMPUTE_PGM_RSRC2:TGID_X_EN: 1
; COMPUTE_PGM_RSRC2:TGID_Y_EN: 1
; COMPUTE_PGM_RSRC2:TGID_Z_EN: 0
; COMPUTE_PGM_RSRC2:TIDIG_COMP_CNT: 0
; COMPUTE_PGM_RSRC3_GFX90A:ACCUM_OFFSET: 1
; COMPUTE_PGM_RSRC3_GFX90A:TG_SPLIT: 0
	.section	.text._ZN9rocsparseL42gtsv_transpose_and_pad_array_shared_kernelILj256ELj32E21rocsparse_complex_numIdEEEviiiPKT1_PS3_S3_,"axG",@progbits,_ZN9rocsparseL42gtsv_transpose_and_pad_array_shared_kernelILj256ELj32E21rocsparse_complex_numIdEEEviiiPKT1_PS3_S3_,comdat
	.globl	_ZN9rocsparseL42gtsv_transpose_and_pad_array_shared_kernelILj256ELj32E21rocsparse_complex_numIdEEEviiiPKT1_PS3_S3_ ; -- Begin function _ZN9rocsparseL42gtsv_transpose_and_pad_array_shared_kernelILj256ELj32E21rocsparse_complex_numIdEEEviiiPKT1_PS3_S3_
	.p2align	8
	.type	_ZN9rocsparseL42gtsv_transpose_and_pad_array_shared_kernelILj256ELj32E21rocsparse_complex_numIdEEEviiiPKT1_PS3_S3_,@function
_ZN9rocsparseL42gtsv_transpose_and_pad_array_shared_kernelILj256ELj32E21rocsparse_complex_numIdEEEviiiPKT1_PS3_S3_: ; @_ZN9rocsparseL42gtsv_transpose_and_pad_array_shared_kernelILj256ELj32E21rocsparse_complex_numIdEEEviiiPKT1_PS3_S3_
; %bb.0:
	s_load_dwordx4 s[4:7], s[0:1], 0x0
	v_lshl_or_b32 v2, s2, 8, v0
	v_lshlrev_b32_e32 v1, 4, v0
	s_waitcnt lgkmcnt(0)
	v_cmp_le_i32_e32 vcc, s4, v2
	s_and_saveexec_b64 s[8:9], vcc
	s_xor_b64 s[8:9], exec, s[8:9]
	s_cbranch_execz .LBB316_2
; %bb.1:
	s_load_dwordx4 s[12:15], s[0:1], 0x20
	s_waitcnt lgkmcnt(0)
	v_mov_b64_e32 v[2:3], s[12:13]
	v_mov_b64_e32 v[4:5], s[14:15]
	ds_write_b128 v1, v[2:5]
                                        ; implicit-def: $vgpr2
                                        ; implicit-def: $vgpr1
.LBB316_2:
	s_andn2_saveexec_b64 s[8:9], s[8:9]
	s_cbranch_execz .LBB316_4
; %bb.3:
	s_load_dwordx2 s[10:11], s[0:1], 0x10
	s_mul_i32 s4, s6, s3
	v_add_u32_e32 v2, s4, v2
	v_ashrrev_i32_e32 v3, 31, v2
	s_waitcnt lgkmcnt(0)
	v_lshl_add_u64 v[2:3], v[2:3], 4, s[10:11]
	global_load_dwordx4 v[2:5], v[2:3], off
	s_waitcnt vmcnt(0)
	ds_write2_b64 v1, v[2:3], v[4:5] offset1:1
.LBB316_4:
	s_or_b64 exec, exec, s[8:9]
	v_and_b32_e32 v3, 7, v0
	v_lshrrev_b32_e32 v2, 3, v0
	s_lshr_b32 s4, s5, 5
	v_lshl_or_b32 v0, s2, 3, v3
	v_mad_u64_u32 v[0:1], s[6:7], s4, v2, v[0:1]
	v_cmp_gt_i32_e32 vcc, s5, v0
	s_waitcnt lgkmcnt(0)
	s_barrier
	s_and_saveexec_b64 s[6:7], vcc
	s_cbranch_execz .LBB316_6
; %bb.5:
	v_lshlrev_b32_e32 v1, 4, v2
	s_load_dwordx2 s[0:1], s[0:1], 0x18
	v_lshl_or_b32 v1, v3, 9, v1
	ds_read2_b64 v[2:5], v1 offset1:1
	s_mul_i32 s2, s5, s3
	v_add_u32_e32 v0, s2, v0
	v_ashrrev_i32_e32 v1, 31, v0
	s_waitcnt lgkmcnt(0)
	v_lshl_add_u64 v[0:1], v[0:1], 4, s[0:1]
	global_store_dwordx4 v[0:1], v[2:5], off
.LBB316_6:
	s_endpgm
	.section	.rodata,"a",@progbits
	.p2align	6, 0x0
	.amdhsa_kernel _ZN9rocsparseL42gtsv_transpose_and_pad_array_shared_kernelILj256ELj32E21rocsparse_complex_numIdEEEviiiPKT1_PS3_S3_
		.amdhsa_group_segment_fixed_size 4096
		.amdhsa_private_segment_fixed_size 0
		.amdhsa_kernarg_size 48
		.amdhsa_user_sgpr_count 2
		.amdhsa_user_sgpr_dispatch_ptr 0
		.amdhsa_user_sgpr_queue_ptr 0
		.amdhsa_user_sgpr_kernarg_segment_ptr 1
		.amdhsa_user_sgpr_dispatch_id 0
		.amdhsa_user_sgpr_kernarg_preload_length 0
		.amdhsa_user_sgpr_kernarg_preload_offset 0
		.amdhsa_user_sgpr_private_segment_size 0
		.amdhsa_uses_dynamic_stack 0
		.amdhsa_enable_private_segment 0
		.amdhsa_system_sgpr_workgroup_id_x 1
		.amdhsa_system_sgpr_workgroup_id_y 1
		.amdhsa_system_sgpr_workgroup_id_z 0
		.amdhsa_system_sgpr_workgroup_info 0
		.amdhsa_system_vgpr_workitem_id 0
		.amdhsa_next_free_vgpr 6
		.amdhsa_next_free_sgpr 16
		.amdhsa_accum_offset 8
		.amdhsa_reserve_vcc 1
		.amdhsa_float_round_mode_32 0
		.amdhsa_float_round_mode_16_64 0
		.amdhsa_float_denorm_mode_32 3
		.amdhsa_float_denorm_mode_16_64 3
		.amdhsa_dx10_clamp 1
		.amdhsa_ieee_mode 1
		.amdhsa_fp16_overflow 0
		.amdhsa_tg_split 0
		.amdhsa_exception_fp_ieee_invalid_op 0
		.amdhsa_exception_fp_denorm_src 0
		.amdhsa_exception_fp_ieee_div_zero 0
		.amdhsa_exception_fp_ieee_overflow 0
		.amdhsa_exception_fp_ieee_underflow 0
		.amdhsa_exception_fp_ieee_inexact 0
		.amdhsa_exception_int_div_zero 0
	.end_amdhsa_kernel
	.section	.text._ZN9rocsparseL42gtsv_transpose_and_pad_array_shared_kernelILj256ELj32E21rocsparse_complex_numIdEEEviiiPKT1_PS3_S3_,"axG",@progbits,_ZN9rocsparseL42gtsv_transpose_and_pad_array_shared_kernelILj256ELj32E21rocsparse_complex_numIdEEEviiiPKT1_PS3_S3_,comdat
.Lfunc_end316:
	.size	_ZN9rocsparseL42gtsv_transpose_and_pad_array_shared_kernelILj256ELj32E21rocsparse_complex_numIdEEEviiiPKT1_PS3_S3_, .Lfunc_end316-_ZN9rocsparseL42gtsv_transpose_and_pad_array_shared_kernelILj256ELj32E21rocsparse_complex_numIdEEEviiiPKT1_PS3_S3_
                                        ; -- End function
	.set _ZN9rocsparseL42gtsv_transpose_and_pad_array_shared_kernelILj256ELj32E21rocsparse_complex_numIdEEEviiiPKT1_PS3_S3_.num_vgpr, 6
	.set _ZN9rocsparseL42gtsv_transpose_and_pad_array_shared_kernelILj256ELj32E21rocsparse_complex_numIdEEEviiiPKT1_PS3_S3_.num_agpr, 0
	.set _ZN9rocsparseL42gtsv_transpose_and_pad_array_shared_kernelILj256ELj32E21rocsparse_complex_numIdEEEviiiPKT1_PS3_S3_.numbered_sgpr, 16
	.set _ZN9rocsparseL42gtsv_transpose_and_pad_array_shared_kernelILj256ELj32E21rocsparse_complex_numIdEEEviiiPKT1_PS3_S3_.num_named_barrier, 0
	.set _ZN9rocsparseL42gtsv_transpose_and_pad_array_shared_kernelILj256ELj32E21rocsparse_complex_numIdEEEviiiPKT1_PS3_S3_.private_seg_size, 0
	.set _ZN9rocsparseL42gtsv_transpose_and_pad_array_shared_kernelILj256ELj32E21rocsparse_complex_numIdEEEviiiPKT1_PS3_S3_.uses_vcc, 1
	.set _ZN9rocsparseL42gtsv_transpose_and_pad_array_shared_kernelILj256ELj32E21rocsparse_complex_numIdEEEviiiPKT1_PS3_S3_.uses_flat_scratch, 0
	.set _ZN9rocsparseL42gtsv_transpose_and_pad_array_shared_kernelILj256ELj32E21rocsparse_complex_numIdEEEviiiPKT1_PS3_S3_.has_dyn_sized_stack, 0
	.set _ZN9rocsparseL42gtsv_transpose_and_pad_array_shared_kernelILj256ELj32E21rocsparse_complex_numIdEEEviiiPKT1_PS3_S3_.has_recursion, 0
	.set _ZN9rocsparseL42gtsv_transpose_and_pad_array_shared_kernelILj256ELj32E21rocsparse_complex_numIdEEEviiiPKT1_PS3_S3_.has_indirect_call, 0
	.section	.AMDGPU.csdata,"",@progbits
; Kernel info:
; codeLenInByte = 244
; TotalNumSgprs: 22
; NumVgprs: 6
; NumAgprs: 0
; TotalNumVgprs: 6
; ScratchSize: 0
; MemoryBound: 0
; FloatMode: 240
; IeeeMode: 1
; LDSByteSize: 4096 bytes/workgroup (compile time only)
; SGPRBlocks: 2
; VGPRBlocks: 0
; NumSGPRsForWavesPerEU: 22
; NumVGPRsForWavesPerEU: 6
; AccumOffset: 8
; Occupancy: 8
; WaveLimiterHint : 0
; COMPUTE_PGM_RSRC2:SCRATCH_EN: 0
; COMPUTE_PGM_RSRC2:USER_SGPR: 2
; COMPUTE_PGM_RSRC2:TRAP_HANDLER: 0
; COMPUTE_PGM_RSRC2:TGID_X_EN: 1
; COMPUTE_PGM_RSRC2:TGID_Y_EN: 1
; COMPUTE_PGM_RSRC2:TGID_Z_EN: 0
; COMPUTE_PGM_RSRC2:TIDIG_COMP_CNT: 0
; COMPUTE_PGM_RSRC3_GFX90A:ACCUM_OFFSET: 1
; COMPUTE_PGM_RSRC3_GFX90A:TG_SPLIT: 0
	.section	.text._ZN9rocsparseL18gtsv_LBM_wv_kernelILj256ELj32E21rocsparse_complex_numIdEEEviiiPKT1_S5_S5_PS3_S6_S6_Pi,"axG",@progbits,_ZN9rocsparseL18gtsv_LBM_wv_kernelILj256ELj32E21rocsparse_complex_numIdEEEviiiPKT1_S5_S5_PS3_S6_S6_Pi,comdat
	.globl	_ZN9rocsparseL18gtsv_LBM_wv_kernelILj256ELj32E21rocsparse_complex_numIdEEEviiiPKT1_S5_S5_PS3_S6_S6_Pi ; -- Begin function _ZN9rocsparseL18gtsv_LBM_wv_kernelILj256ELj32E21rocsparse_complex_numIdEEEviiiPKT1_S5_S5_PS3_S6_S6_Pi
	.p2align	8
	.type	_ZN9rocsparseL18gtsv_LBM_wv_kernelILj256ELj32E21rocsparse_complex_numIdEEEviiiPKT1_S5_S5_PS3_S6_S6_Pi,@function
_ZN9rocsparseL18gtsv_LBM_wv_kernelILj256ELj32E21rocsparse_complex_numIdEEEviiiPKT1_S5_S5_PS3_S6_S6_Pi: ; @_ZN9rocsparseL18gtsv_LBM_wv_kernelILj256ELj32E21rocsparse_complex_numIdEEEviiiPKT1_S5_S5_PS3_S6_S6_Pi
; %bb.0:
	s_load_dword s29, s[0:1], 0x0
	v_lshl_or_b32 v40, s2, 8, v0
	s_waitcnt lgkmcnt(0)
	s_lshr_b32 s28, s29, 5
	v_cmp_gt_i32_e32 vcc, s28, v40
	s_and_saveexec_b64 s[2:3], vcc
	s_cbranch_execz .LBB317_72
; %bb.1:
	s_load_dwordx2 s[16:17], s[0:1], 0x10
	s_load_dwordx8 s[8:15], s[0:1], 0x20
	v_ashrrev_i32_e32 v41, 31, v40
	s_mul_i32 s30, s28, 31
	v_lshlrev_b64 v[8:9], 4, v[40:41]
	v_add_u32_e32 v10, s30, v40
	v_mov_b32_e32 v11, 0
	s_waitcnt lgkmcnt(0)
	v_lshl_add_u64 v[0:1], s[16:17], 0, v[8:9]
	v_lshlrev_b64 v[12:13], 4, v[10:11]
	global_load_dwordx4 v[0:3], v[0:1], off
	v_lshl_add_u64 v[4:5], s[8:9], 0, v[12:13]
	global_load_dwordx4 v[4:7], v[4:5], off
	s_load_dwordx2 s[6:7], s[0:1], 0x40
	s_cmp_lt_i32 s29, 1
	v_add_u32_e32 v58, s28, v40
	v_lshl_add_u64 v[42:43], s[10:11], 0, v[8:9]
	v_mov_b32_e32 v44, v11
	v_lshl_add_u64 v[8:9], s[12:13], 0, v[12:13]
	s_waitcnt vmcnt(1)
	global_store_dwordx4 v[42:43], v[0:3], off
	s_waitcnt vmcnt(1)
	global_store_dwordx4 v[8:9], v[4:7], off
	s_cbranch_scc1 .LBB317_65
; %bb.2:
	s_load_dwordx2 s[18:19], s[0:1], 0x18
	s_mov_b32 s22, 0
	s_mov_b32 s24, 0x372fe950
	s_mul_i32 s31, s28, 30
	s_lshl_b32 s33, s28, 1
	s_waitcnt lgkmcnt(0)
	v_lshl_add_u64 v[0:1], v[40:41], 4, s[18:19]
	global_load_dwordx4 v[0:3], v[0:1], off
	v_add_u32_e32 v41, s28, v58
	v_mov_b32_e32 v44, 0
	s_mov_b64 s[20:21], 0
	s_brev_b32 s23, 8
	v_mov_b32_e32 v59, 0x260
	s_mov_b32 s25, 0x3fe3c6ef
	v_mov_b32_e32 v60, 2
	v_mov_b32_e32 v61, 1
	;; [unrolled: 1-line block ×4, first 2 shown]
	s_branch .LBB317_5
.LBB317_3:                              ;   in Loop: Header=BB317_5 Depth=1
	s_or_b64 exec, exec, s[4:5]
	v_mul_f64 v[4:5], v[2:3], -v[50:51]
	v_mul_f64 v[2:3], v[2:3], v[48:49]
	v_fmac_f64_e32 v[4:5], v[48:49], v[0:1]
	v_fmac_f64_e32 v[2:3], v[50:51], v[0:1]
	v_add_f64 v[0:1], v[8:9], -v[4:5]
	v_add_f64 v[2:3], v[10:11], -v[2:3]
	v_mov_b32_e32 v12, s28
.LBB317_4:                              ;   in Loop: Header=BB317_5 Depth=1
	s_or_b64 exec, exec, s[2:3]
	v_add_u32_e32 v44, v12, v44
	v_cmp_le_i32_e32 vcc, s29, v44
	s_or_b64 s[20:21], vcc, s[20:21]
	s_andn2_b64 exec, exec, s[20:21]
	s_cbranch_execz .LBB317_64
.LBB317_5:                              ; =>This Inner Loop Header: Depth=1
	v_add_u32_e32 v46, v44, v40
	v_ashrrev_i32_e32 v47, 31, v46
	v_lshl_add_u64 v[4:5], v[46:47], 4, s[8:9]
	global_load_dwordx4 v[16:19], v[4:5], off
	v_cmp_gt_u32_e64 s[0:1], s30, v44
	v_mov_b64_e32 v[8:9], 0
	v_mov_b64_e32 v[4:5], 0
	;; [unrolled: 1-line block ×3, first 2 shown]
	s_and_saveexec_b64 s[2:3], s[0:1]
	s_cbranch_execz .LBB317_7
; %bb.6:                                ;   in Loop: Header=BB317_5 Depth=1
	v_add_u32_e32 v4, v58, v44
	v_ashrrev_i32_e32 v5, 31, v4
	v_lshl_add_u64 v[4:5], v[4:5], 4, s[16:17]
	global_load_dwordx4 v[4:7], v[4:5], off
.LBB317_7:                              ;   in Loop: Header=BB317_5 Depth=1
	s_or_b64 exec, exec, s[2:3]
	v_mov_b64_e32 v[10:11], 0
	s_and_saveexec_b64 s[2:3], s[0:1]
	s_cbranch_execz .LBB317_9
; %bb.8:                                ;   in Loop: Header=BB317_5 Depth=1
	v_add_u32_e32 v8, v58, v44
	v_ashrrev_i32_e32 v9, 31, v8
	v_lshl_add_u64 v[8:9], v[8:9], 4, s[18:19]
	global_load_dwordx4 v[8:11], v[8:9], off
.LBB317_9:                              ;   in Loop: Header=BB317_5 Depth=1
	s_or_b64 exec, exec, s[2:3]
	v_mov_b64_e32 v[20:21], 0
	v_mov_b64_e32 v[12:13], 0
	;; [unrolled: 1-line block ×3, first 2 shown]
	s_and_saveexec_b64 s[2:3], s[0:1]
	s_cbranch_execz .LBB317_11
; %bb.10:                               ;   in Loop: Header=BB317_5 Depth=1
	v_add_u32_e32 v12, v58, v44
	v_ashrrev_i32_e32 v13, 31, v12
	v_lshl_add_u64 v[12:13], v[12:13], 4, s[8:9]
	global_load_dwordx4 v[12:15], v[12:13], off
.LBB317_11:                             ;   in Loop: Header=BB317_5 Depth=1
	s_or_b64 exec, exec, s[2:3]
	v_cmp_gt_u32_e64 s[2:3], s31, v44
	v_mov_b64_e32 v[22:23], 0
	s_and_saveexec_b64 s[4:5], s[2:3]
	s_cbranch_execz .LBB317_13
; %bb.12:                               ;   in Loop: Header=BB317_5 Depth=1
	v_add_u32_e32 v20, v41, v44
	v_ashrrev_i32_e32 v21, 31, v20
	v_lshl_add_u64 v[20:21], v[20:21], 4, s[16:17]
	global_load_dwordx4 v[20:23], v[20:21], off
.LBB317_13:                             ;   in Loop: Header=BB317_5 Depth=1
	s_or_b64 exec, exec, s[4:5]
	s_waitcnt vmcnt(0)
	v_xor_b32_e32 v24, 0x80000000, v5
	v_cmp_gt_f64_e32 vcc, 0, v[4:5]
	v_mov_b32_e32 v26, v4
	v_mov_b32_e32 v28, v6
	v_cndmask_b32_e32 v27, v5, v24, vcc
	v_xor_b32_e32 v24, 0x80000000, v7
	v_cmp_gt_f64_e32 vcc, 0, v[6:7]
	s_nop 1
	v_cndmask_b32_e32 v29, v7, v24, vcc
	v_cmp_ngt_f64_e32 vcc, v[26:27], v[28:29]
                                        ; implicit-def: $vgpr24_vgpr25
	s_and_saveexec_b64 s[4:5], vcc
	s_xor_b64 s[4:5], exec, s[4:5]
	s_cbranch_execz .LBB317_17
; %bb.14:                               ;   in Loop: Header=BB317_5 Depth=1
	v_mov_b64_e32 v[24:25], 0
	v_cmp_neq_f64_e32 vcc, 0, v[6:7]
	s_and_saveexec_b64 s[26:27], vcc
	s_cbranch_execz .LBB317_16
; %bb.15:                               ;   in Loop: Header=BB317_5 Depth=1
	v_div_scale_f64 v[24:25], s[34:35], v[28:29], v[28:29], v[26:27]
	v_rcp_f64_e32 v[30:31], v[24:25]
	v_div_scale_f64 v[32:33], vcc, v[26:27], v[28:29], v[26:27]
	v_fma_f64 v[34:35], -v[24:25], v[30:31], 1.0
	v_fmac_f64_e32 v[30:31], v[30:31], v[34:35]
	v_fma_f64 v[34:35], -v[24:25], v[30:31], 1.0
	v_fmac_f64_e32 v[30:31], v[30:31], v[34:35]
	v_mul_f64 v[34:35], v[32:33], v[30:31]
	v_fma_f64 v[24:25], -v[24:25], v[34:35], v[32:33]
	v_div_fmas_f64 v[24:25], v[24:25], v[30:31], v[34:35]
	v_div_fixup_f64 v[24:25], v[24:25], v[28:29], v[26:27]
	v_fma_f64 v[24:25], v[24:25], v[24:25], 1.0
	v_cmp_gt_f64_e32 vcc, s[22:23], v[24:25]
	s_nop 1
	v_cndmask_b32_e32 v26, 0, v62, vcc
	v_ldexp_f64 v[24:25], v[24:25], v26
	v_rsq_f64_e32 v[26:27], v[24:25]
	s_nop 0
	v_mul_f64 v[30:31], v[24:25], v[26:27]
	v_mul_f64 v[26:27], v[26:27], 0.5
	v_fma_f64 v[32:33], -v[26:27], v[30:31], 0.5
	v_fmac_f64_e32 v[30:31], v[30:31], v[32:33]
	v_fma_f64 v[34:35], -v[30:31], v[30:31], v[24:25]
	v_fmac_f64_e32 v[26:27], v[26:27], v[32:33]
	v_fmac_f64_e32 v[30:31], v[34:35], v[26:27]
	v_fma_f64 v[32:33], -v[30:31], v[30:31], v[24:25]
	v_fmac_f64_e32 v[30:31], v[32:33], v[26:27]
	v_cndmask_b32_e32 v26, 0, v63, vcc
	v_ldexp_f64 v[26:27], v[30:31], v26
	v_cmp_class_f64_e32 vcc, v[24:25], v59
	s_nop 1
	v_cndmask_b32_e32 v25, v27, v25, vcc
	v_cndmask_b32_e32 v24, v26, v24, vcc
	v_mul_f64 v[24:25], v[28:29], v[24:25]
.LBB317_16:                             ;   in Loop: Header=BB317_5 Depth=1
	s_or_b64 exec, exec, s[26:27]
                                        ; implicit-def: $vgpr26_vgpr27
                                        ; implicit-def: $vgpr28_vgpr29
.LBB317_17:                             ;   in Loop: Header=BB317_5 Depth=1
	s_andn2_saveexec_b64 s[4:5], s[4:5]
	s_cbranch_execz .LBB317_19
; %bb.18:                               ;   in Loop: Header=BB317_5 Depth=1
	v_div_scale_f64 v[24:25], s[26:27], v[26:27], v[26:27], v[28:29]
	v_rcp_f64_e32 v[30:31], v[24:25]
	v_div_scale_f64 v[32:33], vcc, v[28:29], v[26:27], v[28:29]
	v_fma_f64 v[34:35], -v[24:25], v[30:31], 1.0
	v_fmac_f64_e32 v[30:31], v[30:31], v[34:35]
	v_fma_f64 v[34:35], -v[24:25], v[30:31], 1.0
	v_fmac_f64_e32 v[30:31], v[30:31], v[34:35]
	v_mul_f64 v[34:35], v[32:33], v[30:31]
	v_fma_f64 v[24:25], -v[24:25], v[34:35], v[32:33]
	v_div_fmas_f64 v[24:25], v[24:25], v[30:31], v[34:35]
	v_div_fixup_f64 v[24:25], v[24:25], v[26:27], v[28:29]
	v_fma_f64 v[24:25], v[24:25], v[24:25], 1.0
	v_cmp_gt_f64_e32 vcc, s[22:23], v[24:25]
	s_nop 1
	v_cndmask_b32_e32 v28, 0, v62, vcc
	v_ldexp_f64 v[24:25], v[24:25], v28
	v_rsq_f64_e32 v[28:29], v[24:25]
	s_nop 0
	v_mul_f64 v[30:31], v[24:25], v[28:29]
	v_mul_f64 v[28:29], v[28:29], 0.5
	v_fma_f64 v[32:33], -v[28:29], v[30:31], 0.5
	v_fmac_f64_e32 v[30:31], v[30:31], v[32:33]
	v_fma_f64 v[34:35], -v[30:31], v[30:31], v[24:25]
	v_fmac_f64_e32 v[28:29], v[28:29], v[32:33]
	v_fmac_f64_e32 v[30:31], v[34:35], v[28:29]
	v_fma_f64 v[32:33], -v[30:31], v[30:31], v[24:25]
	v_fmac_f64_e32 v[30:31], v[32:33], v[28:29]
	v_cndmask_b32_e32 v28, 0, v63, vcc
	v_ldexp_f64 v[28:29], v[30:31], v28
	v_cmp_class_f64_e32 vcc, v[24:25], v59
	s_nop 1
	v_cndmask_b32_e32 v25, v29, v25, vcc
	v_cndmask_b32_e32 v24, v28, v24, vcc
	v_mul_f64 v[24:25], v[26:27], v[24:25]
.LBB317_19:                             ;   in Loop: Header=BB317_5 Depth=1
	s_or_b64 exec, exec, s[4:5]
	v_xor_b32_e32 v26, 0x80000000, v21
	v_cmp_gt_f64_e32 vcc, 0, v[20:21]
	v_mov_b32_e32 v28, v20
	v_mov_b32_e32 v30, v22
	v_cndmask_b32_e32 v29, v21, v26, vcc
	v_xor_b32_e32 v26, 0x80000000, v23
	v_cmp_gt_f64_e32 vcc, 0, v[22:23]
	s_nop 1
	v_cndmask_b32_e32 v31, v23, v26, vcc
	v_cmp_ngt_f64_e32 vcc, v[28:29], v[30:31]
                                        ; implicit-def: $vgpr26_vgpr27
	s_and_saveexec_b64 s[4:5], vcc
	s_xor_b64 s[4:5], exec, s[4:5]
	s_cbranch_execz .LBB317_23
; %bb.20:                               ;   in Loop: Header=BB317_5 Depth=1
	v_mov_b64_e32 v[26:27], 0
	v_cmp_neq_f64_e32 vcc, 0, v[22:23]
	s_and_saveexec_b64 s[26:27], vcc
	s_cbranch_execz .LBB317_22
; %bb.21:                               ;   in Loop: Header=BB317_5 Depth=1
	v_div_scale_f64 v[26:27], s[34:35], v[30:31], v[30:31], v[28:29]
	v_rcp_f64_e32 v[32:33], v[26:27]
	v_div_scale_f64 v[34:35], vcc, v[28:29], v[30:31], v[28:29]
	v_fma_f64 v[36:37], -v[26:27], v[32:33], 1.0
	v_fmac_f64_e32 v[32:33], v[32:33], v[36:37]
	v_fma_f64 v[36:37], -v[26:27], v[32:33], 1.0
	v_fmac_f64_e32 v[32:33], v[32:33], v[36:37]
	v_mul_f64 v[36:37], v[34:35], v[32:33]
	v_fma_f64 v[26:27], -v[26:27], v[36:37], v[34:35]
	v_div_fmas_f64 v[26:27], v[26:27], v[32:33], v[36:37]
	v_div_fixup_f64 v[26:27], v[26:27], v[30:31], v[28:29]
	v_fma_f64 v[26:27], v[26:27], v[26:27], 1.0
	v_cmp_gt_f64_e32 vcc, s[22:23], v[26:27]
	s_nop 1
	v_cndmask_b32_e32 v28, 0, v62, vcc
	v_ldexp_f64 v[26:27], v[26:27], v28
	v_rsq_f64_e32 v[28:29], v[26:27]
	s_nop 0
	v_mul_f64 v[32:33], v[26:27], v[28:29]
	v_mul_f64 v[28:29], v[28:29], 0.5
	v_fma_f64 v[34:35], -v[28:29], v[32:33], 0.5
	v_fmac_f64_e32 v[32:33], v[32:33], v[34:35]
	v_fma_f64 v[36:37], -v[32:33], v[32:33], v[26:27]
	v_fmac_f64_e32 v[28:29], v[28:29], v[34:35]
	v_fmac_f64_e32 v[32:33], v[36:37], v[28:29]
	v_fma_f64 v[34:35], -v[32:33], v[32:33], v[26:27]
	v_fmac_f64_e32 v[32:33], v[34:35], v[28:29]
	v_cndmask_b32_e32 v28, 0, v63, vcc
	v_ldexp_f64 v[28:29], v[32:33], v28
	v_cmp_class_f64_e32 vcc, v[26:27], v59
	s_nop 1
	v_cndmask_b32_e32 v27, v29, v27, vcc
	v_cndmask_b32_e32 v26, v28, v26, vcc
	v_mul_f64 v[26:27], v[30:31], v[26:27]
.LBB317_22:                             ;   in Loop: Header=BB317_5 Depth=1
	s_or_b64 exec, exec, s[26:27]
                                        ; implicit-def: $vgpr28_vgpr29
                                        ; implicit-def: $vgpr30_vgpr31
.LBB317_23:                             ;   in Loop: Header=BB317_5 Depth=1
	s_andn2_saveexec_b64 s[4:5], s[4:5]
	s_cbranch_execz .LBB317_25
; %bb.24:                               ;   in Loop: Header=BB317_5 Depth=1
	v_div_scale_f64 v[26:27], s[26:27], v[28:29], v[28:29], v[30:31]
	v_rcp_f64_e32 v[32:33], v[26:27]
	v_div_scale_f64 v[34:35], vcc, v[30:31], v[28:29], v[30:31]
	v_fma_f64 v[36:37], -v[26:27], v[32:33], 1.0
	v_fmac_f64_e32 v[32:33], v[32:33], v[36:37]
	v_fma_f64 v[36:37], -v[26:27], v[32:33], 1.0
	v_fmac_f64_e32 v[32:33], v[32:33], v[36:37]
	v_mul_f64 v[36:37], v[34:35], v[32:33]
	v_fma_f64 v[26:27], -v[26:27], v[36:37], v[34:35]
	v_div_fmas_f64 v[26:27], v[26:27], v[32:33], v[36:37]
	v_div_fixup_f64 v[26:27], v[26:27], v[28:29], v[30:31]
	v_fma_f64 v[26:27], v[26:27], v[26:27], 1.0
	v_cmp_gt_f64_e32 vcc, s[22:23], v[26:27]
	s_nop 1
	v_cndmask_b32_e32 v30, 0, v62, vcc
	v_ldexp_f64 v[26:27], v[26:27], v30
	v_rsq_f64_e32 v[30:31], v[26:27]
	s_nop 0
	v_mul_f64 v[32:33], v[26:27], v[30:31]
	v_mul_f64 v[30:31], v[30:31], 0.5
	v_fma_f64 v[34:35], -v[30:31], v[32:33], 0.5
	v_fmac_f64_e32 v[32:33], v[32:33], v[34:35]
	v_fma_f64 v[36:37], -v[32:33], v[32:33], v[26:27]
	v_fmac_f64_e32 v[30:31], v[30:31], v[34:35]
	v_fmac_f64_e32 v[32:33], v[36:37], v[30:31]
	v_fma_f64 v[34:35], -v[32:33], v[32:33], v[26:27]
	v_fmac_f64_e32 v[32:33], v[34:35], v[30:31]
	v_cndmask_b32_e32 v30, 0, v63, vcc
	v_ldexp_f64 v[30:31], v[32:33], v30
	v_cmp_class_f64_e32 vcc, v[26:27], v59
	s_nop 1
	v_cndmask_b32_e32 v27, v31, v27, vcc
	v_cndmask_b32_e32 v26, v30, v26, vcc
	v_mul_f64 v[26:27], v[28:29], v[26:27]
.LBB317_25:                             ;   in Loop: Header=BB317_5 Depth=1
	s_or_b64 exec, exec, s[4:5]
	v_xor_b32_e32 v28, 0x80000000, v9
	v_cmp_gt_f64_e32 vcc, 0, v[8:9]
	v_mov_b32_e32 v30, v8
	v_mov_b32_e32 v32, v10
	v_cndmask_b32_e32 v31, v9, v28, vcc
	v_xor_b32_e32 v28, 0x80000000, v11
	v_cmp_gt_f64_e32 vcc, 0, v[10:11]
	s_nop 1
	v_cndmask_b32_e32 v33, v11, v28, vcc
	v_cmp_ngt_f64_e32 vcc, v[30:31], v[32:33]
                                        ; implicit-def: $vgpr28_vgpr29
	s_and_saveexec_b64 s[4:5], vcc
	s_xor_b64 s[4:5], exec, s[4:5]
	s_cbranch_execz .LBB317_29
; %bb.26:                               ;   in Loop: Header=BB317_5 Depth=1
	v_mov_b64_e32 v[28:29], 0
	v_cmp_neq_f64_e32 vcc, 0, v[10:11]
	s_and_saveexec_b64 s[26:27], vcc
	s_cbranch_execz .LBB317_28
; %bb.27:                               ;   in Loop: Header=BB317_5 Depth=1
	v_div_scale_f64 v[28:29], s[34:35], v[32:33], v[32:33], v[30:31]
	v_rcp_f64_e32 v[34:35], v[28:29]
	v_div_scale_f64 v[36:37], vcc, v[30:31], v[32:33], v[30:31]
	v_fma_f64 v[38:39], -v[28:29], v[34:35], 1.0
	v_fmac_f64_e32 v[34:35], v[34:35], v[38:39]
	v_fma_f64 v[38:39], -v[28:29], v[34:35], 1.0
	v_fmac_f64_e32 v[34:35], v[34:35], v[38:39]
	v_mul_f64 v[38:39], v[36:37], v[34:35]
	v_fma_f64 v[28:29], -v[28:29], v[38:39], v[36:37]
	v_div_fmas_f64 v[28:29], v[28:29], v[34:35], v[38:39]
	v_div_fixup_f64 v[28:29], v[28:29], v[32:33], v[30:31]
	v_fma_f64 v[28:29], v[28:29], v[28:29], 1.0
	v_cmp_gt_f64_e32 vcc, s[22:23], v[28:29]
	s_nop 1
	v_cndmask_b32_e32 v30, 0, v62, vcc
	v_ldexp_f64 v[28:29], v[28:29], v30
	v_rsq_f64_e32 v[30:31], v[28:29]
	s_nop 0
	v_mul_f64 v[34:35], v[28:29], v[30:31]
	v_mul_f64 v[30:31], v[30:31], 0.5
	v_fma_f64 v[36:37], -v[30:31], v[34:35], 0.5
	v_fmac_f64_e32 v[34:35], v[34:35], v[36:37]
	v_fma_f64 v[38:39], -v[34:35], v[34:35], v[28:29]
	v_fmac_f64_e32 v[30:31], v[30:31], v[36:37]
	v_fmac_f64_e32 v[34:35], v[38:39], v[30:31]
	v_fma_f64 v[36:37], -v[34:35], v[34:35], v[28:29]
	v_fmac_f64_e32 v[34:35], v[36:37], v[30:31]
	v_cndmask_b32_e32 v30, 0, v63, vcc
	v_ldexp_f64 v[30:31], v[34:35], v30
	v_cmp_class_f64_e32 vcc, v[28:29], v59
	s_nop 1
	v_cndmask_b32_e32 v29, v31, v29, vcc
	v_cndmask_b32_e32 v28, v30, v28, vcc
	v_mul_f64 v[28:29], v[32:33], v[28:29]
.LBB317_28:                             ;   in Loop: Header=BB317_5 Depth=1
	s_or_b64 exec, exec, s[26:27]
                                        ; implicit-def: $vgpr30_vgpr31
                                        ; implicit-def: $vgpr32_vgpr33
.LBB317_29:                             ;   in Loop: Header=BB317_5 Depth=1
	s_andn2_saveexec_b64 s[4:5], s[4:5]
	s_cbranch_execz .LBB317_31
; %bb.30:                               ;   in Loop: Header=BB317_5 Depth=1
	v_div_scale_f64 v[28:29], s[26:27], v[30:31], v[30:31], v[32:33]
	v_rcp_f64_e32 v[34:35], v[28:29]
	v_div_scale_f64 v[36:37], vcc, v[32:33], v[30:31], v[32:33]
	v_fma_f64 v[38:39], -v[28:29], v[34:35], 1.0
	v_fmac_f64_e32 v[34:35], v[34:35], v[38:39]
	v_fma_f64 v[38:39], -v[28:29], v[34:35], 1.0
	v_fmac_f64_e32 v[34:35], v[34:35], v[38:39]
	v_mul_f64 v[38:39], v[36:37], v[34:35]
	v_fma_f64 v[28:29], -v[28:29], v[38:39], v[36:37]
	v_div_fmas_f64 v[28:29], v[28:29], v[34:35], v[38:39]
	v_div_fixup_f64 v[28:29], v[28:29], v[30:31], v[32:33]
	v_fma_f64 v[28:29], v[28:29], v[28:29], 1.0
	v_cmp_gt_f64_e32 vcc, s[22:23], v[28:29]
	s_nop 1
	v_cndmask_b32_e32 v32, 0, v62, vcc
	v_ldexp_f64 v[28:29], v[28:29], v32
	v_rsq_f64_e32 v[32:33], v[28:29]
	s_nop 0
	v_mul_f64 v[34:35], v[28:29], v[32:33]
	v_mul_f64 v[32:33], v[32:33], 0.5
	v_fma_f64 v[36:37], -v[32:33], v[34:35], 0.5
	v_fmac_f64_e32 v[34:35], v[34:35], v[36:37]
	v_fma_f64 v[38:39], -v[34:35], v[34:35], v[28:29]
	v_fmac_f64_e32 v[32:33], v[32:33], v[36:37]
	v_fmac_f64_e32 v[34:35], v[38:39], v[32:33]
	v_fma_f64 v[36:37], -v[34:35], v[34:35], v[28:29]
	v_fmac_f64_e32 v[34:35], v[36:37], v[32:33]
	v_cndmask_b32_e32 v32, 0, v63, vcc
	v_ldexp_f64 v[32:33], v[34:35], v32
	v_cmp_class_f64_e32 vcc, v[28:29], v59
	s_nop 1
	v_cndmask_b32_e32 v29, v33, v29, vcc
	v_cndmask_b32_e32 v28, v32, v28, vcc
	v_mul_f64 v[28:29], v[30:31], v[28:29]
.LBB317_31:                             ;   in Loop: Header=BB317_5 Depth=1
	s_or_b64 exec, exec, s[4:5]
	v_xor_b32_e32 v30, 0x80000000, v17
	v_cmp_gt_f64_e32 vcc, 0, v[16:17]
	v_mov_b32_e32 v32, v16
	v_mov_b32_e32 v34, v18
	v_cndmask_b32_e32 v33, v17, v30, vcc
	v_xor_b32_e32 v30, 0x80000000, v19
	v_cmp_gt_f64_e32 vcc, 0, v[18:19]
	s_nop 1
	v_cndmask_b32_e32 v35, v19, v30, vcc
	v_cmp_ngt_f64_e32 vcc, v[32:33], v[34:35]
                                        ; implicit-def: $vgpr30_vgpr31
	s_and_saveexec_b64 s[4:5], vcc
	s_xor_b64 s[4:5], exec, s[4:5]
	s_cbranch_execz .LBB317_35
; %bb.32:                               ;   in Loop: Header=BB317_5 Depth=1
	v_mov_b64_e32 v[30:31], 0
	v_cmp_neq_f64_e32 vcc, 0, v[18:19]
	s_and_saveexec_b64 s[26:27], vcc
	s_cbranch_execz .LBB317_34
; %bb.33:                               ;   in Loop: Header=BB317_5 Depth=1
	v_div_scale_f64 v[30:31], s[34:35], v[34:35], v[34:35], v[32:33]
	v_rcp_f64_e32 v[36:37], v[30:31]
	v_div_scale_f64 v[38:39], vcc, v[32:33], v[34:35], v[32:33]
	v_fma_f64 v[48:49], -v[30:31], v[36:37], 1.0
	v_fmac_f64_e32 v[36:37], v[36:37], v[48:49]
	v_fma_f64 v[48:49], -v[30:31], v[36:37], 1.0
	v_fmac_f64_e32 v[36:37], v[36:37], v[48:49]
	v_mul_f64 v[48:49], v[38:39], v[36:37]
	v_fma_f64 v[30:31], -v[30:31], v[48:49], v[38:39]
	v_div_fmas_f64 v[30:31], v[30:31], v[36:37], v[48:49]
	v_div_fixup_f64 v[30:31], v[30:31], v[34:35], v[32:33]
	v_fma_f64 v[30:31], v[30:31], v[30:31], 1.0
	v_cmp_gt_f64_e32 vcc, s[22:23], v[30:31]
	s_nop 1
	v_cndmask_b32_e32 v32, 0, v62, vcc
	v_ldexp_f64 v[30:31], v[30:31], v32
	v_rsq_f64_e32 v[32:33], v[30:31]
	s_nop 0
	v_mul_f64 v[36:37], v[30:31], v[32:33]
	v_mul_f64 v[32:33], v[32:33], 0.5
	v_fma_f64 v[38:39], -v[32:33], v[36:37], 0.5
	v_fmac_f64_e32 v[36:37], v[36:37], v[38:39]
	v_fma_f64 v[48:49], -v[36:37], v[36:37], v[30:31]
	v_fmac_f64_e32 v[32:33], v[32:33], v[38:39]
	v_fmac_f64_e32 v[36:37], v[48:49], v[32:33]
	v_fma_f64 v[38:39], -v[36:37], v[36:37], v[30:31]
	v_fmac_f64_e32 v[36:37], v[38:39], v[32:33]
	v_cndmask_b32_e32 v32, 0, v63, vcc
	v_ldexp_f64 v[32:33], v[36:37], v32
	v_cmp_class_f64_e32 vcc, v[30:31], v59
	s_nop 1
	v_cndmask_b32_e32 v31, v33, v31, vcc
	v_cndmask_b32_e32 v30, v32, v30, vcc
	v_mul_f64 v[30:31], v[34:35], v[30:31]
.LBB317_34:                             ;   in Loop: Header=BB317_5 Depth=1
	s_or_b64 exec, exec, s[26:27]
                                        ; implicit-def: $vgpr32_vgpr33
                                        ; implicit-def: $vgpr34_vgpr35
.LBB317_35:                             ;   in Loop: Header=BB317_5 Depth=1
	s_andn2_saveexec_b64 s[4:5], s[4:5]
	s_cbranch_execz .LBB317_37
; %bb.36:                               ;   in Loop: Header=BB317_5 Depth=1
	v_div_scale_f64 v[30:31], s[26:27], v[32:33], v[32:33], v[34:35]
	v_rcp_f64_e32 v[36:37], v[30:31]
	v_div_scale_f64 v[38:39], vcc, v[34:35], v[32:33], v[34:35]
	v_fma_f64 v[48:49], -v[30:31], v[36:37], 1.0
	v_fmac_f64_e32 v[36:37], v[36:37], v[48:49]
	v_fma_f64 v[48:49], -v[30:31], v[36:37], 1.0
	v_fmac_f64_e32 v[36:37], v[36:37], v[48:49]
	v_mul_f64 v[48:49], v[38:39], v[36:37]
	v_fma_f64 v[30:31], -v[30:31], v[48:49], v[38:39]
	v_div_fmas_f64 v[30:31], v[30:31], v[36:37], v[48:49]
	v_div_fixup_f64 v[30:31], v[30:31], v[32:33], v[34:35]
	v_fma_f64 v[30:31], v[30:31], v[30:31], 1.0
	v_cmp_gt_f64_e32 vcc, s[22:23], v[30:31]
	s_nop 1
	v_cndmask_b32_e32 v34, 0, v62, vcc
	v_ldexp_f64 v[30:31], v[30:31], v34
	v_rsq_f64_e32 v[34:35], v[30:31]
	s_nop 0
	v_mul_f64 v[36:37], v[30:31], v[34:35]
	v_mul_f64 v[34:35], v[34:35], 0.5
	v_fma_f64 v[38:39], -v[34:35], v[36:37], 0.5
	v_fmac_f64_e32 v[36:37], v[36:37], v[38:39]
	v_fma_f64 v[48:49], -v[36:37], v[36:37], v[30:31]
	v_fmac_f64_e32 v[34:35], v[34:35], v[38:39]
	v_fmac_f64_e32 v[36:37], v[48:49], v[34:35]
	v_fma_f64 v[38:39], -v[36:37], v[36:37], v[30:31]
	v_fmac_f64_e32 v[36:37], v[38:39], v[34:35]
	v_cndmask_b32_e32 v34, 0, v63, vcc
	v_ldexp_f64 v[34:35], v[36:37], v34
	v_cmp_class_f64_e32 vcc, v[30:31], v59
	s_nop 1
	v_cndmask_b32_e32 v31, v35, v31, vcc
	v_cndmask_b32_e32 v30, v34, v30, vcc
	v_mul_f64 v[30:31], v[32:33], v[30:31]
.LBB317_37:                             ;   in Loop: Header=BB317_5 Depth=1
	s_or_b64 exec, exec, s[4:5]
	v_xor_b32_e32 v32, 0x80000000, v13
	v_cmp_gt_f64_e32 vcc, 0, v[12:13]
	v_mov_b32_e32 v34, v12
	v_mov_b32_e32 v36, v14
	v_cndmask_b32_e32 v35, v13, v32, vcc
	v_xor_b32_e32 v32, 0x80000000, v15
	v_cmp_gt_f64_e32 vcc, 0, v[14:15]
	s_nop 1
	v_cndmask_b32_e32 v37, v15, v32, vcc
	v_cmp_ngt_f64_e32 vcc, v[34:35], v[36:37]
                                        ; implicit-def: $vgpr32_vgpr33
	s_and_saveexec_b64 s[4:5], vcc
	s_xor_b64 s[4:5], exec, s[4:5]
	s_cbranch_execz .LBB317_41
; %bb.38:                               ;   in Loop: Header=BB317_5 Depth=1
	v_mov_b64_e32 v[32:33], 0
	v_cmp_neq_f64_e32 vcc, 0, v[14:15]
	s_and_saveexec_b64 s[26:27], vcc
	s_cbranch_execz .LBB317_40
; %bb.39:                               ;   in Loop: Header=BB317_5 Depth=1
	v_div_scale_f64 v[32:33], s[34:35], v[36:37], v[36:37], v[34:35]
	v_rcp_f64_e32 v[38:39], v[32:33]
	v_div_scale_f64 v[48:49], vcc, v[34:35], v[36:37], v[34:35]
	v_fma_f64 v[50:51], -v[32:33], v[38:39], 1.0
	v_fmac_f64_e32 v[38:39], v[38:39], v[50:51]
	v_fma_f64 v[50:51], -v[32:33], v[38:39], 1.0
	v_fmac_f64_e32 v[38:39], v[38:39], v[50:51]
	v_mul_f64 v[50:51], v[48:49], v[38:39]
	v_fma_f64 v[32:33], -v[32:33], v[50:51], v[48:49]
	v_div_fmas_f64 v[32:33], v[32:33], v[38:39], v[50:51]
	v_div_fixup_f64 v[32:33], v[32:33], v[36:37], v[34:35]
	v_fma_f64 v[32:33], v[32:33], v[32:33], 1.0
	v_cmp_gt_f64_e32 vcc, s[22:23], v[32:33]
	s_nop 1
	v_cndmask_b32_e32 v34, 0, v62, vcc
	v_ldexp_f64 v[32:33], v[32:33], v34
	v_rsq_f64_e32 v[34:35], v[32:33]
	s_nop 0
	v_mul_f64 v[38:39], v[32:33], v[34:35]
	v_mul_f64 v[34:35], v[34:35], 0.5
	v_fma_f64 v[48:49], -v[34:35], v[38:39], 0.5
	v_fmac_f64_e32 v[38:39], v[38:39], v[48:49]
	v_fma_f64 v[50:51], -v[38:39], v[38:39], v[32:33]
	v_fmac_f64_e32 v[34:35], v[34:35], v[48:49]
	v_fmac_f64_e32 v[38:39], v[50:51], v[34:35]
	v_fma_f64 v[48:49], -v[38:39], v[38:39], v[32:33]
	v_fmac_f64_e32 v[38:39], v[48:49], v[34:35]
	v_cndmask_b32_e32 v34, 0, v63, vcc
	v_ldexp_f64 v[34:35], v[38:39], v34
	v_cmp_class_f64_e32 vcc, v[32:33], v59
	s_nop 1
	v_cndmask_b32_e32 v33, v35, v33, vcc
	v_cndmask_b32_e32 v32, v34, v32, vcc
	v_mul_f64 v[32:33], v[36:37], v[32:33]
.LBB317_40:                             ;   in Loop: Header=BB317_5 Depth=1
	s_or_b64 exec, exec, s[26:27]
                                        ; implicit-def: $vgpr34_vgpr35
                                        ; implicit-def: $vgpr36_vgpr37
.LBB317_41:                             ;   in Loop: Header=BB317_5 Depth=1
	s_andn2_saveexec_b64 s[4:5], s[4:5]
	s_cbranch_execz .LBB317_43
; %bb.42:                               ;   in Loop: Header=BB317_5 Depth=1
	v_div_scale_f64 v[32:33], s[26:27], v[34:35], v[34:35], v[36:37]
	v_rcp_f64_e32 v[38:39], v[32:33]
	v_div_scale_f64 v[48:49], vcc, v[36:37], v[34:35], v[36:37]
	v_fma_f64 v[50:51], -v[32:33], v[38:39], 1.0
	v_fmac_f64_e32 v[38:39], v[38:39], v[50:51]
	v_fma_f64 v[50:51], -v[32:33], v[38:39], 1.0
	v_fmac_f64_e32 v[38:39], v[38:39], v[50:51]
	v_mul_f64 v[50:51], v[48:49], v[38:39]
	v_fma_f64 v[32:33], -v[32:33], v[50:51], v[48:49]
	v_div_fmas_f64 v[32:33], v[32:33], v[38:39], v[50:51]
	v_div_fixup_f64 v[32:33], v[32:33], v[34:35], v[36:37]
	v_fma_f64 v[32:33], v[32:33], v[32:33], 1.0
	v_cmp_gt_f64_e32 vcc, s[22:23], v[32:33]
	s_nop 1
	v_cndmask_b32_e32 v36, 0, v62, vcc
	v_ldexp_f64 v[32:33], v[32:33], v36
	v_rsq_f64_e32 v[36:37], v[32:33]
	s_nop 0
	v_mul_f64 v[38:39], v[32:33], v[36:37]
	v_mul_f64 v[36:37], v[36:37], 0.5
	v_fma_f64 v[48:49], -v[36:37], v[38:39], 0.5
	v_fmac_f64_e32 v[38:39], v[38:39], v[48:49]
	v_fma_f64 v[50:51], -v[38:39], v[38:39], v[32:33]
	v_fmac_f64_e32 v[36:37], v[36:37], v[48:49]
	v_fmac_f64_e32 v[38:39], v[50:51], v[36:37]
	v_fma_f64 v[48:49], -v[38:39], v[38:39], v[32:33]
	v_fmac_f64_e32 v[38:39], v[48:49], v[36:37]
	v_cndmask_b32_e32 v36, 0, v63, vcc
	v_ldexp_f64 v[36:37], v[38:39], v36
	v_cmp_class_f64_e32 vcc, v[32:33], v59
	s_nop 1
	v_cndmask_b32_e32 v33, v37, v33, vcc
	v_cndmask_b32_e32 v32, v36, v32, vcc
	v_mul_f64 v[32:33], v[34:35], v[32:33]
.LBB317_43:                             ;   in Loop: Header=BB317_5 Depth=1
	s_or_b64 exec, exec, s[4:5]
	v_xor_b32_e32 v34, 0x80000000, v1
	v_cmp_gt_f64_e32 vcc, 0, v[0:1]
	v_mov_b32_e32 v36, v0
	v_mov_b32_e32 v38, v2
	v_cndmask_b32_e32 v37, v1, v34, vcc
	v_xor_b32_e32 v34, 0x80000000, v3
	v_cmp_gt_f64_e32 vcc, 0, v[2:3]
	s_nop 1
	v_cndmask_b32_e32 v39, v3, v34, vcc
	v_cmp_ngt_f64_e32 vcc, v[36:37], v[38:39]
                                        ; implicit-def: $vgpr34_vgpr35
	s_and_saveexec_b64 s[4:5], vcc
	s_xor_b64 s[4:5], exec, s[4:5]
	s_cbranch_execz .LBB317_47
; %bb.44:                               ;   in Loop: Header=BB317_5 Depth=1
	v_mov_b64_e32 v[34:35], 0
	v_cmp_neq_f64_e32 vcc, 0, v[2:3]
	s_and_saveexec_b64 s[26:27], vcc
	s_cbranch_execz .LBB317_46
; %bb.45:                               ;   in Loop: Header=BB317_5 Depth=1
	v_div_scale_f64 v[34:35], s[34:35], v[38:39], v[38:39], v[36:37]
	v_rcp_f64_e32 v[48:49], v[34:35]
	v_div_scale_f64 v[50:51], vcc, v[36:37], v[38:39], v[36:37]
	v_fma_f64 v[52:53], -v[34:35], v[48:49], 1.0
	v_fmac_f64_e32 v[48:49], v[48:49], v[52:53]
	v_fma_f64 v[52:53], -v[34:35], v[48:49], 1.0
	v_fmac_f64_e32 v[48:49], v[48:49], v[52:53]
	v_mul_f64 v[52:53], v[50:51], v[48:49]
	v_fma_f64 v[34:35], -v[34:35], v[52:53], v[50:51]
	v_div_fmas_f64 v[34:35], v[34:35], v[48:49], v[52:53]
	v_div_fixup_f64 v[34:35], v[34:35], v[38:39], v[36:37]
	v_fma_f64 v[34:35], v[34:35], v[34:35], 1.0
	v_cmp_gt_f64_e32 vcc, s[22:23], v[34:35]
	s_nop 1
	v_cndmask_b32_e32 v36, 0, v62, vcc
	v_ldexp_f64 v[34:35], v[34:35], v36
	v_rsq_f64_e32 v[36:37], v[34:35]
	s_nop 0
	v_mul_f64 v[48:49], v[34:35], v[36:37]
	v_mul_f64 v[36:37], v[36:37], 0.5
	v_fma_f64 v[50:51], -v[36:37], v[48:49], 0.5
	v_fmac_f64_e32 v[48:49], v[48:49], v[50:51]
	v_fma_f64 v[52:53], -v[48:49], v[48:49], v[34:35]
	v_fmac_f64_e32 v[36:37], v[36:37], v[50:51]
	v_fmac_f64_e32 v[48:49], v[52:53], v[36:37]
	v_fma_f64 v[50:51], -v[48:49], v[48:49], v[34:35]
	v_fmac_f64_e32 v[48:49], v[50:51], v[36:37]
	v_cndmask_b32_e32 v36, 0, v63, vcc
	v_ldexp_f64 v[36:37], v[48:49], v36
	v_cmp_class_f64_e32 vcc, v[34:35], v59
	s_nop 1
	v_cndmask_b32_e32 v35, v37, v35, vcc
	v_cndmask_b32_e32 v34, v36, v34, vcc
	v_mul_f64 v[34:35], v[38:39], v[34:35]
.LBB317_46:                             ;   in Loop: Header=BB317_5 Depth=1
	s_or_b64 exec, exec, s[26:27]
                                        ; implicit-def: $vgpr36_vgpr37
                                        ; implicit-def: $vgpr38_vgpr39
.LBB317_47:                             ;   in Loop: Header=BB317_5 Depth=1
	s_andn2_saveexec_b64 s[4:5], s[4:5]
	s_cbranch_execz .LBB317_49
; %bb.48:                               ;   in Loop: Header=BB317_5 Depth=1
	v_div_scale_f64 v[34:35], s[26:27], v[36:37], v[36:37], v[38:39]
	v_rcp_f64_e32 v[48:49], v[34:35]
	v_div_scale_f64 v[50:51], vcc, v[38:39], v[36:37], v[38:39]
	v_fma_f64 v[52:53], -v[34:35], v[48:49], 1.0
	v_fmac_f64_e32 v[48:49], v[48:49], v[52:53]
	v_fma_f64 v[52:53], -v[34:35], v[48:49], 1.0
	v_fmac_f64_e32 v[48:49], v[48:49], v[52:53]
	v_mul_f64 v[52:53], v[50:51], v[48:49]
	v_fma_f64 v[34:35], -v[34:35], v[52:53], v[50:51]
	v_div_fmas_f64 v[34:35], v[34:35], v[48:49], v[52:53]
	v_div_fixup_f64 v[34:35], v[34:35], v[36:37], v[38:39]
	v_fma_f64 v[34:35], v[34:35], v[34:35], 1.0
	v_cmp_gt_f64_e32 vcc, s[22:23], v[34:35]
	s_nop 1
	v_cndmask_b32_e32 v38, 0, v62, vcc
	v_ldexp_f64 v[34:35], v[34:35], v38
	v_rsq_f64_e32 v[38:39], v[34:35]
	s_nop 0
	v_mul_f64 v[48:49], v[34:35], v[38:39]
	v_mul_f64 v[38:39], v[38:39], 0.5
	v_fma_f64 v[50:51], -v[38:39], v[48:49], 0.5
	v_fmac_f64_e32 v[48:49], v[48:49], v[50:51]
	v_fma_f64 v[52:53], -v[48:49], v[48:49], v[34:35]
	v_fmac_f64_e32 v[38:39], v[38:39], v[50:51]
	v_fmac_f64_e32 v[48:49], v[52:53], v[38:39]
	v_fma_f64 v[50:51], -v[48:49], v[48:49], v[34:35]
	v_fmac_f64_e32 v[48:49], v[50:51], v[38:39]
	v_cndmask_b32_e32 v38, 0, v63, vcc
	v_ldexp_f64 v[38:39], v[48:49], v38
	v_cmp_class_f64_e32 vcc, v[34:35], v59
	s_nop 1
	v_cndmask_b32_e32 v35, v39, v35, vcc
	v_cndmask_b32_e32 v34, v38, v34, vcc
	v_mul_f64 v[34:35], v[36:37], v[34:35]
.LBB317_49:                             ;   in Loop: Header=BB317_5 Depth=1
	s_or_b64 exec, exec, s[4:5]
	v_mul_f64 v[48:49], v[18:19], -v[6:7]
	v_fmac_f64_e32 v[48:49], v[4:5], v[16:17]
	v_mul_f64 v[50:51], v[18:19], v[4:5]
	v_fmac_f64_e32 v[50:51], v[6:7], v[16:17]
	v_xor_b32_e32 v36, 0x80000000, v49
	v_cmp_gt_f64_e32 vcc, 0, v[48:49]
	v_xor_b32_e32 v38, 0x80000000, v51
                                        ; implicit-def: $vgpr52_vgpr53
	s_nop 0
	v_cndmask_b32_e32 v37, v49, v36, vcc
	v_cmp_gt_f64_e32 vcc, 0, v[50:51]
	v_mov_b32_e32 v36, v48
	s_nop 0
	v_cndmask_b32_e32 v39, v51, v38, vcc
	v_mov_b32_e32 v38, v50
	v_cmp_ngt_f64_e32 vcc, v[36:37], v[38:39]
	s_and_saveexec_b64 s[4:5], vcc
	s_xor_b64 s[4:5], exec, s[4:5]
	s_cbranch_execz .LBB317_53
; %bb.50:                               ;   in Loop: Header=BB317_5 Depth=1
	v_mov_b64_e32 v[52:53], 0
	v_cmp_neq_f64_e32 vcc, 0, v[50:51]
	s_and_saveexec_b64 s[26:27], vcc
	s_cbranch_execz .LBB317_52
; %bb.51:                               ;   in Loop: Header=BB317_5 Depth=1
	v_div_scale_f64 v[52:53], s[34:35], v[38:39], v[38:39], v[36:37]
	v_rcp_f64_e32 v[54:55], v[52:53]
	v_div_scale_f64 v[56:57], vcc, v[36:37], v[38:39], v[36:37]
	v_fma_f64 v[64:65], -v[52:53], v[54:55], 1.0
	v_fmac_f64_e32 v[54:55], v[54:55], v[64:65]
	v_fma_f64 v[64:65], -v[52:53], v[54:55], 1.0
	v_fmac_f64_e32 v[54:55], v[54:55], v[64:65]
	v_mul_f64 v[64:65], v[56:57], v[54:55]
	v_fma_f64 v[52:53], -v[52:53], v[64:65], v[56:57]
	v_div_fmas_f64 v[52:53], v[52:53], v[54:55], v[64:65]
	v_div_fixup_f64 v[36:37], v[52:53], v[38:39], v[36:37]
	v_fma_f64 v[36:37], v[36:37], v[36:37], 1.0
	v_cmp_gt_f64_e32 vcc, s[22:23], v[36:37]
	s_nop 1
	v_cndmask_b32_e32 v45, 0, v62, vcc
	v_ldexp_f64 v[36:37], v[36:37], v45
	v_rsq_f64_e32 v[52:53], v[36:37]
	v_cndmask_b32_e32 v45, 0, v63, vcc
	v_cmp_class_f64_e32 vcc, v[36:37], v59
	v_mul_f64 v[54:55], v[36:37], v[52:53]
	v_mul_f64 v[52:53], v[52:53], 0.5
	v_fma_f64 v[56:57], -v[52:53], v[54:55], 0.5
	v_fmac_f64_e32 v[54:55], v[54:55], v[56:57]
	v_fma_f64 v[64:65], -v[54:55], v[54:55], v[36:37]
	v_fmac_f64_e32 v[52:53], v[52:53], v[56:57]
	v_fmac_f64_e32 v[54:55], v[64:65], v[52:53]
	v_fma_f64 v[56:57], -v[54:55], v[54:55], v[36:37]
	v_fmac_f64_e32 v[54:55], v[56:57], v[52:53]
	v_ldexp_f64 v[52:53], v[54:55], v45
	v_cndmask_b32_e32 v37, v53, v37, vcc
	v_cndmask_b32_e32 v36, v52, v36, vcc
	v_mul_f64 v[52:53], v[38:39], v[36:37]
.LBB317_52:                             ;   in Loop: Header=BB317_5 Depth=1
	s_or_b64 exec, exec, s[26:27]
                                        ; implicit-def: $vgpr36_vgpr37
                                        ; implicit-def: $vgpr38_vgpr39
.LBB317_53:                             ;   in Loop: Header=BB317_5 Depth=1
	s_andn2_saveexec_b64 s[4:5], s[4:5]
	s_cbranch_execz .LBB317_55
; %bb.54:                               ;   in Loop: Header=BB317_5 Depth=1
	v_div_scale_f64 v[52:53], s[26:27], v[36:37], v[36:37], v[38:39]
	v_rcp_f64_e32 v[54:55], v[52:53]
	v_div_scale_f64 v[56:57], vcc, v[38:39], v[36:37], v[38:39]
	v_fma_f64 v[64:65], -v[52:53], v[54:55], 1.0
	v_fmac_f64_e32 v[54:55], v[54:55], v[64:65]
	v_fma_f64 v[64:65], -v[52:53], v[54:55], 1.0
	v_fmac_f64_e32 v[54:55], v[54:55], v[64:65]
	v_mul_f64 v[64:65], v[56:57], v[54:55]
	v_fma_f64 v[52:53], -v[52:53], v[64:65], v[56:57]
	v_div_fmas_f64 v[52:53], v[52:53], v[54:55], v[64:65]
	v_div_fixup_f64 v[38:39], v[52:53], v[36:37], v[38:39]
	v_fma_f64 v[38:39], v[38:39], v[38:39], 1.0
	v_cmp_gt_f64_e32 vcc, s[22:23], v[38:39]
	s_nop 1
	v_cndmask_b32_e32 v45, 0, v62, vcc
	v_ldexp_f64 v[38:39], v[38:39], v45
	v_rsq_f64_e32 v[52:53], v[38:39]
	v_cndmask_b32_e32 v45, 0, v63, vcc
	v_cmp_class_f64_e32 vcc, v[38:39], v59
	v_mul_f64 v[54:55], v[38:39], v[52:53]
	v_mul_f64 v[52:53], v[52:53], 0.5
	v_fma_f64 v[56:57], -v[52:53], v[54:55], 0.5
	v_fmac_f64_e32 v[54:55], v[54:55], v[56:57]
	v_fma_f64 v[64:65], -v[54:55], v[54:55], v[38:39]
	v_fmac_f64_e32 v[52:53], v[52:53], v[56:57]
	v_fmac_f64_e32 v[54:55], v[64:65], v[52:53]
	v_fma_f64 v[56:57], -v[54:55], v[54:55], v[38:39]
	v_fmac_f64_e32 v[54:55], v[56:57], v[52:53]
	v_ldexp_f64 v[52:53], v[54:55], v45
	v_cndmask_b32_e32 v39, v53, v39, vcc
	v_cndmask_b32_e32 v38, v52, v38, vcc
	v_mul_f64 v[52:53], v[36:37], v[38:39]
.LBB317_55:                             ;   in Loop: Header=BB317_5 Depth=1
	s_or_b64 exec, exec, s[4:5]
	v_cmp_lt_f64_e32 vcc, v[24:25], v[26:27]
	v_cmp_ne_u32_e64 s[4:5], s30, v44
	s_nop 0
	v_cndmask_b32_e32 v25, v25, v27, vcc
	v_cndmask_b32_e32 v24, v24, v26, vcc
	v_cmp_lt_f64_e32 vcc, v[28:29], v[24:25]
	v_mul_f64 v[26:27], v[52:53], s[24:25]
	s_nop 0
	v_cndmask_b32_e32 v25, v29, v25, vcc
	v_cndmask_b32_e32 v24, v28, v24, vcc
	v_cmp_lt_f64_e32 vcc, v[30:31], v[24:25]
	s_nop 1
	v_cndmask_b32_e32 v25, v31, v25, vcc
	v_cndmask_b32_e32 v24, v30, v24, vcc
	v_cmp_lt_f64_e32 vcc, v[32:33], v[24:25]
	s_nop 1
	v_cndmask_b32_e32 v25, v33, v25, vcc
	v_cndmask_b32_e32 v24, v32, v24, vcc
	v_mul_f64 v[24:25], v[24:25], v[34:35]
	v_cmp_nge_f64_e32 vcc, v[24:25], v[26:27]
	s_and_b64 s[4:5], s[4:5], vcc
	s_and_saveexec_b64 s[26:27], s[4:5]
	s_xor_b64 s[4:5], exec, s[26:27]
	s_cbranch_execz .LBB317_61
; %bb.56:                               ;   in Loop: Header=BB317_5 Depth=1
	v_add_u32_e32 v52, v58, v44
	v_ashrrev_i32_e32 v45, 31, v44
	v_lshlrev_b64 v[64:65], 4, v[46:47]
	v_ashrrev_i32_e32 v53, 31, v52
	v_lshl_add_u64 v[68:69], v[44:45], 4, v[42:43]
	v_lshl_add_u64 v[70:71], s[12:13], 0, v[64:65]
	v_lshlrev_b64 v[36:37], 4, v[52:53]
	global_load_dwordx4 v[24:27], v[68:69], off
	global_load_dwordx4 v[32:35], v[70:71], off
	v_lshl_add_u64 v[56:57], s[10:11], 0, v[36:37]
	global_load_dwordx4 v[28:31], v[56:57], off
	v_lshl_add_u64 v[54:55], s[12:13], 0, v[36:37]
	global_load_dwordx4 v[36:39], v[54:55], off
	v_mul_f64 v[66:67], v[10:11], -v[2:3]
	v_mul_f64 v[72:73], v[0:1], v[10:11]
	v_fmac_f64_e32 v[66:67], v[0:1], v[8:9]
	v_fmac_f64_e32 v[72:73], v[2:3], v[8:9]
	v_lshl_add_u64 v[78:79], v[46:47], 2, s[6:7]
	v_add_f64 v[46:47], v[66:67], -v[48:49]
	v_add_f64 v[48:49], v[72:73], -v[50:51]
	v_mul_f64 v[50:51], v[48:49], v[48:49]
	v_fmac_f64_e32 v[50:51], v[46:47], v[46:47]
	v_div_scale_f64 v[66:67], s[26:27], v[50:51], v[50:51], 1.0
	v_rcp_f64_e32 v[72:73], v[66:67]
	v_lshl_add_u64 v[80:81], s[14:15], 0, v[64:65]
	v_fma_f64 v[64:65], 0, v[48:49], v[46:47]
	v_fma_f64 v[48:49], v[46:47], 0, -v[48:49]
	v_fma_f64 v[82:83], -v[66:67], v[72:73], 1.0
	v_fmac_f64_e32 v[72:73], v[72:73], v[82:83]
	v_fma_f64 v[82:83], -v[66:67], v[72:73], 1.0
	v_div_scale_f64 v[46:47], vcc, 1.0, v[50:51], 1.0
	v_fmac_f64_e32 v[72:73], v[72:73], v[82:83]
	v_mul_f64 v[82:83], v[46:47], v[72:73]
	v_fma_f64 v[46:47], -v[66:67], v[82:83], v[46:47]
	s_nop 0
	v_div_fmas_f64 v[46:47], v[46:47], v[72:73], v[82:83]
	v_mul_f64 v[74:75], v[18:19], v[14:15]
	v_mul_f64 v[76:77], v[14:15], -v[16:17]
	v_div_fixup_f64 v[50:51], v[46:47], v[50:51], 1.0
	v_fma_f64 v[74:75], -v[16:17], v[12:13], v[74:75]
	v_fma_f64 v[76:77], -v[18:19], v[12:13], v[76:77]
	v_mul_f64 v[48:49], v[48:49], v[50:51]
	v_mul_f64 v[46:47], v[64:65], v[50:51]
	v_mul_f64 v[64:65], v[48:49], -v[76:77]
	v_mul_f64 v[66:67], v[48:49], v[74:75]
	v_fmac_f64_e32 v[64:65], v[74:75], v[46:47]
	v_fmac_f64_e32 v[66:67], v[76:77], v[46:47]
	global_store_dwordx4 v[80:81], v[64:67], off
	s_waitcnt vmcnt(4)
	v_mul_f64 v[50:51], v[26:27], -v[10:11]
	v_mul_f64 v[64:65], v[8:9], v[26:27]
	s_waitcnt vmcnt(3)
	v_mul_f64 v[66:67], v[34:35], -v[10:11]
	v_mul_f64 v[72:73], v[8:9], v[34:35]
	v_fmac_f64_e32 v[50:51], v[8:9], v[24:25]
	v_fmac_f64_e32 v[64:65], v[10:11], v[24:25]
	;; [unrolled: 1-line block ×4, first 2 shown]
	s_waitcnt vmcnt(2)
	v_mul_f64 v[8:9], v[30:31], -v[18:19]
	v_mul_f64 v[10:11], v[16:17], v[30:31]
	s_waitcnt vmcnt(1)
	v_mul_f64 v[74:75], v[38:39], -v[18:19]
	v_mul_f64 v[76:77], v[16:17], v[38:39]
	v_fmac_f64_e32 v[8:9], v[16:17], v[28:29]
	v_fmac_f64_e32 v[10:11], v[18:19], v[28:29]
	;; [unrolled: 1-line block ×4, first 2 shown]
	v_add_f64 v[50:51], v[50:51], -v[8:9]
	v_add_f64 v[64:65], v[64:65], -v[10:11]
	;; [unrolled: 1-line block ×4, first 2 shown]
	v_mul_f64 v[8:9], v[48:49], -v[64:65]
	v_mul_f64 v[10:11], v[48:49], v[50:51]
	v_mul_f64 v[16:17], v[48:49], -v[72:73]
	v_mul_f64 v[18:19], v[48:49], v[66:67]
	v_fmac_f64_e32 v[8:9], v[50:51], v[46:47]
	v_fmac_f64_e32 v[10:11], v[64:65], v[46:47]
	;; [unrolled: 1-line block ×4, first 2 shown]
	global_store_dwordx4 v[68:69], v[8:11], off
	global_store_dwordx4 v[70:71], v[16:19], off
	global_store_dword v[78:79], v60, off
	s_and_saveexec_b64 s[26:27], s[0:1]
	s_cbranch_execz .LBB317_58
; %bb.57:                               ;   in Loop: Header=BB317_5 Depth=1
	v_mul_f64 v[8:9], v[6:7], v[26:27]
	v_mul_f64 v[10:11], v[26:27], -v[4:5]
	v_mul_f64 v[16:17], v[30:31], -v[2:3]
	v_mul_f64 v[18:19], v[0:1], v[30:31]
	v_fma_f64 v[8:9], -v[4:5], v[24:25], v[8:9]
	v_fma_f64 v[10:11], -v[6:7], v[24:25], v[10:11]
	v_fmac_f64_e32 v[16:17], v[0:1], v[28:29]
	v_fmac_f64_e32 v[18:19], v[2:3], v[28:29]
	v_add_f64 v[16:17], v[8:9], v[16:17]
	v_add_f64 v[18:19], v[10:11], v[18:19]
	v_mul_f64 v[8:9], v[48:49], -v[18:19]
	v_mul_f64 v[10:11], v[48:49], v[16:17]
	v_fmac_f64_e32 v[8:9], v[16:17], v[46:47]
	v_fmac_f64_e32 v[10:11], v[18:19], v[46:47]
	global_store_dwordx4 v[56:57], v[8:11], off
	v_mul_f64 v[16:17], v[38:39], -v[2:3]
	v_mul_f64 v[18:19], v[0:1], v[38:39]
	v_mul_f64 v[8:9], v[6:7], v[34:35]
	v_mul_f64 v[10:11], v[34:35], -v[4:5]
	v_fma_f64 v[8:9], -v[4:5], v[32:33], v[8:9]
	v_fma_f64 v[10:11], -v[6:7], v[32:33], v[10:11]
	v_fmac_f64_e32 v[16:17], v[0:1], v[36:37]
	v_fmac_f64_e32 v[18:19], v[2:3], v[36:37]
	v_add_f64 v[16:17], v[8:9], v[16:17]
	v_add_f64 v[18:19], v[10:11], v[18:19]
	v_mul_f64 v[8:9], v[48:49], -v[18:19]
	v_mul_f64 v[10:11], v[48:49], v[16:17]
	v_fmac_f64_e32 v[8:9], v[16:17], v[46:47]
	v_fmac_f64_e32 v[10:11], v[18:19], v[46:47]
	v_mul_f64 v[16:17], v[0:1], v[14:15]
	global_store_dwordx4 v[54:55], v[8:11], off
	v_fmac_f64_e32 v[16:17], v[2:3], v[12:13]
	s_nop 0
	v_mul_f64 v[10:11], v[14:15], -v[2:3]
	v_fmac_f64_e32 v[10:11], v[0:1], v[12:13]
	v_mul_f64 v[8:9], v[48:49], -v[16:17]
	v_fmac_f64_e32 v[8:9], v[10:11], v[46:47]
	v_mul_f64 v[10:11], v[48:49], v[10:11]
	v_fmac_f64_e32 v[10:11], v[16:17], v[46:47]
	v_lshl_add_u64 v[16:17], v[52:53], 4, s[14:15]
	global_store_dwordx4 v[16:17], v[8:11], off
	s_nop 1
	v_lshl_add_u64 v[8:9], v[52:53], 2, s[6:7]
	global_store_dword v[8:9], v60, off
.LBB317_58:                             ;   in Loop: Header=BB317_5 Depth=1
	s_or_b64 exec, exec, s[26:27]
	v_mov_b64_e32 v[10:11], 0
	v_mov_b64_e32 v[8:9], 0
	s_and_saveexec_b64 s[26:27], s[2:3]
	s_cbranch_execz .LBB317_60
; %bb.59:                               ;   in Loop: Header=BB317_5 Depth=1
	v_add_u32_e32 v8, v41, v44
	v_ashrrev_i32_e32 v9, 31, v8
	v_lshlrev_b64 v[16:17], 4, v[8:9]
	v_lshl_add_u64 v[32:33], s[10:11], 0, v[16:17]
	v_lshl_add_u64 v[16:17], s[18:19], 0, v[16:17]
	global_load_dwordx4 v[8:11], v[32:33], off
	v_mul_f64 v[34:35], v[6:7], v[22:23]
	global_load_dwordx4 v[16:19], v[16:17], off
	v_mul_f64 v[36:37], v[22:23], -v[4:5]
	v_mul_f64 v[38:39], v[22:23], -v[2:3]
	v_mul_f64 v[50:51], v[0:1], v[22:23]
	v_mul_f64 v[52:53], v[2:3], -v[22:23]
	v_mul_f64 v[54:55], v[2:3], v[20:21]
	v_fma_f64 v[4:5], -v[4:5], v[20:21], v[34:35]
	v_fma_f64 v[6:7], -v[6:7], v[20:21], v[36:37]
	v_fmac_f64_e32 v[38:39], v[0:1], v[20:21]
	v_fmac_f64_e32 v[50:51], v[2:3], v[20:21]
	;; [unrolled: 1-line block ×4, first 2 shown]
	v_mul_f64 v[0:1], v[48:49], -v[6:7]
	v_mul_f64 v[2:3], v[48:49], v[4:5]
	v_mul_f64 v[20:21], v[48:49], -v[50:51]
	v_mul_f64 v[22:23], v[48:49], v[38:39]
	;; [unrolled: 2-line block ×3, first 2 shown]
	v_fmac_f64_e32 v[0:1], v[4:5], v[46:47]
	v_fmac_f64_e32 v[2:3], v[6:7], v[46:47]
	;; [unrolled: 1-line block ×6, first 2 shown]
	v_mul_f64 v[4:5], v[2:3], v[26:27]
	v_mul_f64 v[6:7], v[26:27], -v[0:1]
	v_mul_f64 v[12:13], v[30:31], -v[22:23]
	v_mul_f64 v[26:27], v[20:21], v[30:31]
	v_mul_f64 v[30:31], v[48:49], -v[14:15]
	v_mul_f64 v[36:37], v[48:49], v[34:35]
	v_fma_f64 v[0:1], -v[0:1], v[24:25], v[4:5]
	v_fma_f64 v[2:3], -v[2:3], v[24:25], v[6:7]
	v_fmac_f64_e32 v[12:13], v[20:21], v[28:29]
	v_fmac_f64_e32 v[26:27], v[22:23], v[28:29]
	;; [unrolled: 1-line block ×4, first 2 shown]
	v_add_f64 v[0:1], v[0:1], -v[12:13]
	v_add_f64 v[2:3], v[2:3], -v[26:27]
	s_waitcnt vmcnt(1)
	v_add_f64 v[0:1], v[0:1], v[8:9]
	v_add_f64 v[2:3], v[2:3], v[10:11]
	s_waitcnt vmcnt(0)
	v_add_f64 v[8:9], v[16:17], -v[30:31]
	v_add_f64 v[10:11], v[18:19], -v[36:37]
	global_store_dwordx4 v[32:33], v[0:3], off
.LBB317_60:                             ;   in Loop: Header=BB317_5 Depth=1
	s_or_b64 exec, exec, s[26:27]
	s_nop 0
	v_mov_b64_e32 v[2:3], v[10:11]
	v_mov_b64_e32 v[0:1], v[8:9]
                                        ; implicit-def: $vgpr4_vgpr5
                                        ; implicit-def: $vgpr8_vgpr9
                                        ; implicit-def: $vgpr48_vgpr49
                                        ; implicit-def: $vgpr50_vgpr51
                                        ; implicit-def: $vgpr46_vgpr47
                                        ; implicit-def: $vgpr18_vgpr19
.LBB317_61:                             ;   in Loop: Header=BB317_5 Depth=1
	s_or_saveexec_b64 s[2:3], s[4:5]
	v_mov_b32_e32 v12, s33
	s_xor_b64 exec, exec, s[2:3]
	s_cbranch_execz .LBB317_4
; %bb.62:                               ;   in Loop: Header=BB317_5 Depth=1
	v_ashrrev_i32_e32 v45, 31, v44
	v_lshl_add_u64 v[28:29], v[44:45], 4, v[42:43]
	v_lshlrev_b64 v[24:25], 4, v[46:47]
	global_load_dwordx4 v[12:15], v[28:29], off
	v_lshl_add_u64 v[30:31], s[12:13], 0, v[24:25]
	global_load_dwordx4 v[20:23], v[30:31], off
	v_mul_f64 v[26:27], v[2:3], v[2:3]
	v_fmac_f64_e32 v[26:27], v[0:1], v[0:1]
	v_fma_f64 v[32:33], 0, v[2:3], v[0:1]
	v_fma_f64 v[2:3], v[0:1], 0, -v[2:3]
	v_div_scale_f64 v[0:1], s[4:5], v[26:27], v[26:27], 1.0
	v_rcp_f64_e32 v[36:37], v[0:1]
	v_lshl_add_u64 v[34:35], v[46:47], 2, s[6:7]
	v_lshl_add_u64 v[38:39], s[14:15], 0, v[24:25]
	v_div_scale_f64 v[24:25], vcc, 1.0, v[26:27], 1.0
	v_fma_f64 v[46:47], -v[0:1], v[36:37], 1.0
	v_fmac_f64_e32 v[36:37], v[36:37], v[46:47]
	v_fma_f64 v[46:47], -v[0:1], v[36:37], 1.0
	v_fmac_f64_e32 v[36:37], v[36:37], v[46:47]
	v_mul_f64 v[46:47], v[24:25], v[36:37]
	v_fma_f64 v[0:1], -v[0:1], v[46:47], v[24:25]
	v_div_fmas_f64 v[0:1], v[0:1], v[36:37], v[46:47]
	v_div_fixup_f64 v[24:25], v[0:1], v[26:27], 1.0
	v_mul_f64 v[2:3], v[2:3], v[24:25]
	v_mul_f64 v[0:1], v[32:33], v[24:25]
	v_mul_f64 v[24:25], v[2:3], -v[18:19]
	v_mul_f64 v[26:27], v[2:3], v[16:17]
	v_fmac_f64_e32 v[24:25], v[16:17], v[0:1]
	v_fmac_f64_e32 v[26:27], v[18:19], v[0:1]
	global_store_dwordx4 v[38:39], v[24:27], off
	s_waitcnt vmcnt(2)
	v_mul_f64 v[16:17], v[2:3], -v[14:15]
	v_mul_f64 v[18:19], v[2:3], v[12:13]
	s_waitcnt vmcnt(1)
	v_mul_f64 v[24:25], v[2:3], -v[22:23]
	v_mul_f64 v[26:27], v[2:3], v[20:21]
	v_fmac_f64_e32 v[16:17], v[12:13], v[0:1]
	v_fmac_f64_e32 v[18:19], v[14:15], v[0:1]
	;; [unrolled: 1-line block ×4, first 2 shown]
	global_store_dwordx4 v[28:29], v[16:19], off
	global_store_dwordx4 v[30:31], v[24:27], off
	global_store_dword v[34:35], v61, off
	s_and_saveexec_b64 s[4:5], s[0:1]
	s_cbranch_execz .LBB317_3
; %bb.63:                               ;   in Loop: Header=BB317_5 Depth=1
	v_add_u32_e32 v16, v58, v44
	v_ashrrev_i32_e32 v17, 31, v16
	v_lshl_add_u64 v[20:21], v[16:17], 4, s[10:11]
	global_load_dwordx4 v[16:19], v[20:21], off
	v_mul_f64 v[22:23], v[2:3], v[4:5]
	v_mul_f64 v[24:25], v[2:3], -v[6:7]
	v_fmac_f64_e32 v[22:23], v[6:7], v[0:1]
	v_fmac_f64_e32 v[24:25], v[4:5], v[0:1]
	v_mul_f64 v[4:5], v[22:23], v[14:15]
	v_mul_f64 v[6:7], v[14:15], -v[24:25]
	v_fma_f64 v[4:5], -v[24:25], v[12:13], v[4:5]
	v_fma_f64 v[6:7], -v[22:23], v[12:13], v[6:7]
	s_waitcnt vmcnt(0)
	v_add_f64 v[4:5], v[4:5], v[16:17]
	v_add_f64 v[6:7], v[6:7], v[18:19]
	global_store_dwordx4 v[20:21], v[4:7], off
	s_branch .LBB317_3
.LBB317_64:
	s_or_b64 exec, exec, s[20:21]
.LBB317_65:
	v_subrev_u32_e32 v2, s28, v44
	v_add_u32_e32 v0, v2, v40
	v_ashrrev_i32_e32 v1, 31, v0
	s_waitcnt lgkmcnt(0)
	v_lshl_add_u64 v[0:1], v[0:1], 2, s[6:7]
	buffer_wbl2 sc1
	s_waitcnt vmcnt(0)
	buffer_inv sc1
	global_load_dword v0, v[0:1], off
	s_waitcnt vmcnt(0)
	v_mul_lo_u32 v0, v0, s28
	v_sub_u32_e32 v4, v2, v0
	v_cmp_lt_i32_e32 vcc, -1, v4
	s_and_b64 exec, exec, vcc
	s_cbranch_execz .LBB317_72
; %bb.66:
	v_subrev_u32_e32 v12, s28, v40
	s_lshl_b32 s4, s28, 1
	s_mov_b64 s[0:1], 0
	s_branch .LBB317_68
.LBB317_67:                             ;   in Loop: Header=BB317_68 Depth=1
	s_or_b64 exec, exec, s[2:3]
	v_lshl_add_u64 v[6:7], v[6:7], 4, s[12:13]
	global_load_dwordx4 v[0:3], v[6:7], off
	v_sub_u32_e32 v4, v4, v5
	v_cmp_gt_i32_e32 vcc, 0, v4
	s_or_b64 s[0:1], vcc, s[0:1]
	s_waitcnt vmcnt(0)
	v_add_f64 v[0:1], v[0:1], v[8:9]
	v_add_f64 v[2:3], v[10:11], v[2:3]
	global_store_dwordx4 v[6:7], v[0:3], off
	s_andn2_b64 exec, exec, s[0:1]
	s_cbranch_execz .LBB317_72
.LBB317_68:                             ; =>This Inner Loop Header: Depth=1
	v_add_u32_e32 v6, v4, v40
	v_ashrrev_i32_e32 v7, 31, v6
	v_lshl_add_u64 v[0:1], v[6:7], 2, s[6:7]
	global_load_dword v5, v[0:1], off
	v_lshl_add_u64 v[0:1], v[6:7], 4, s[14:15]
	global_load_dwordx4 v[0:3], v[0:1], off
                                        ; implicit-def: $vgpr10_vgpr11
                                        ; implicit-def: $vgpr8_vgpr9
	s_waitcnt vmcnt(1)
	v_cmp_ne_u32_e32 vcc, 1, v5
	s_and_saveexec_b64 s[2:3], vcc
	s_xor_b64 s[2:3], exec, s[2:3]
	s_cbranch_execz .LBB317_70
; %bb.69:                               ;   in Loop: Header=BB317_68 Depth=1
	v_add_u32_e32 v8, v58, v4
	v_ashrrev_i32_e32 v9, 31, v8
	v_lshlrev_b64 v[14:15], 4, v[8:9]
	v_lshl_add_u64 v[30:31], s[10:11], 0, v[14:15]
	global_load_dwordx4 v[8:11], v[30:31], off
	v_lshl_add_u64 v[32:33], s[12:13], 0, v[14:15]
	v_ashrrev_i32_e32 v5, 31, v4
	global_load_dwordx4 v[14:17], v[32:33], off
	v_lshl_add_u64 v[34:35], v[4:5], 4, v[42:43]
	global_load_dwordx4 v[18:21], v[34:35], off
	v_lshl_add_u64 v[36:37], v[6:7], 4, s[12:13]
	global_load_dwordx4 v[22:25], v[36:37], off
	v_add_u32_e32 v38, v12, v4
	v_ashrrev_i32_e32 v39, 31, v38
	v_lshlrev_b64 v[44:45], 4, v[38:39]
	v_lshl_add_u64 v[6:7], s[14:15], 0, v[44:45]
	global_load_dwordx4 v[26:29], v[6:7], off
	s_waitcnt vmcnt(4)
	v_mul_f64 v[6:7], v[2:3], v[10:11]
	v_mul_f64 v[10:11], v[10:11], -v[0:1]
	v_fma_f64 v[6:7], -v[0:1], v[8:9], v[6:7]
	s_waitcnt vmcnt(3)
	v_mul_f64 v[46:47], v[2:3], v[16:17]
	v_mul_f64 v[16:17], v[16:17], -v[0:1]
	v_fma_f64 v[8:9], -v[2:3], v[8:9], v[10:11]
	v_fma_f64 v[10:11], -v[0:1], v[14:15], v[46:47]
	v_fma_f64 v[14:15], -v[2:3], v[14:15], v[16:17]
	s_waitcnt vmcnt(2)
	v_add_f64 v[0:1], v[18:19], v[6:7]
	v_add_f64 v[2:3], v[8:9], v[20:21]
	global_store_dwordx4 v[34:35], v[0:3], off
	s_waitcnt vmcnt(2)
	v_add_f64 v[6:7], v[22:23], v[10:11]
	v_add_f64 v[8:9], v[14:15], v[24:25]
	global_load_dwordx4 v[0:3], v[30:31], off
	v_lshl_add_u64 v[18:19], s[10:11], 0, v[44:45]
	global_store_dwordx4 v[36:37], v[6:9], off
	global_load_dwordx4 v[6:9], v[32:33], off
	s_waitcnt vmcnt(0)
	v_mul_f64 v[20:21], v[28:29], v[8:9]
	global_load_dwordx4 v[14:17], v[18:19], off
	v_mul_f64 v[10:11], v[28:29], v[2:3]
	v_mul_f64 v[2:3], v[2:3], -v[26:27]
	v_fma_f64 v[24:25], -v[26:27], v[0:1], v[10:11]
	v_fma_f64 v[2:3], -v[28:29], v[0:1], v[2:3]
	v_mul_f64 v[22:23], v[8:9], -v[26:27]
	v_fma_f64 v[8:9], -v[26:27], v[6:7], v[20:21]
	v_fma_f64 v[10:11], -v[28:29], v[6:7], v[22:23]
	v_mov_b64_e32 v[6:7], v[38:39]
	s_waitcnt vmcnt(0)
	v_add_f64 v[0:1], v[14:15], v[24:25]
	v_add_f64 v[2:3], v[2:3], v[16:17]
	global_store_dwordx4 v[18:19], v[0:3], off
                                        ; implicit-def: $vgpr2_vgpr3
.LBB317_70:                             ;   in Loop: Header=BB317_68 Depth=1
	s_or_saveexec_b64 s[2:3], s[2:3]
	v_mov_b32_e32 v5, s4
	s_xor_b64 exec, exec, s[2:3]
	s_cbranch_execz .LBB317_67
; %bb.71:                               ;   in Loop: Header=BB317_68 Depth=1
	v_add_u32_e32 v8, v58, v4
	v_ashrrev_i32_e32 v9, 31, v8
	v_lshlrev_b64 v[14:15], 4, v[8:9]
	v_lshl_add_u64 v[8:9], s[10:11], 0, v[14:15]
	global_load_dwordx4 v[8:11], v[8:9], off
	v_lshl_add_u64 v[14:15], s[12:13], 0, v[14:15]
	v_ashrrev_i32_e32 v5, 31, v4
	global_load_dwordx4 v[14:17], v[14:15], off
	v_lshl_add_u64 v[22:23], v[4:5], 4, v[42:43]
	global_load_dwordx4 v[18:21], v[22:23], off
	v_mov_b32_e32 v5, s28
	s_waitcnt vmcnt(2)
	v_mul_f64 v[24:25], v[2:3], v[10:11]
	v_mul_f64 v[10:11], v[10:11], -v[0:1]
	v_fma_f64 v[24:25], -v[0:1], v[8:9], v[24:25]
	s_waitcnt vmcnt(1)
	v_mul_f64 v[26:27], v[2:3], v[16:17]
	v_mul_f64 v[16:17], v[16:17], -v[0:1]
	v_fma_f64 v[28:29], -v[2:3], v[8:9], v[10:11]
	v_fma_f64 v[8:9], -v[0:1], v[14:15], v[26:27]
	;; [unrolled: 1-line block ×3, first 2 shown]
	s_waitcnt vmcnt(0)
	v_add_f64 v[0:1], v[18:19], v[24:25]
	v_add_f64 v[2:3], v[28:29], v[20:21]
	global_store_dwordx4 v[22:23], v[0:3], off
	s_branch .LBB317_67
.LBB317_72:
	s_endpgm
	.section	.rodata,"a",@progbits
	.p2align	6, 0x0
	.amdhsa_kernel _ZN9rocsparseL18gtsv_LBM_wv_kernelILj256ELj32E21rocsparse_complex_numIdEEEviiiPKT1_S5_S5_PS3_S6_S6_Pi
		.amdhsa_group_segment_fixed_size 0
		.amdhsa_private_segment_fixed_size 0
		.amdhsa_kernarg_size 72
		.amdhsa_user_sgpr_count 2
		.amdhsa_user_sgpr_dispatch_ptr 0
		.amdhsa_user_sgpr_queue_ptr 0
		.amdhsa_user_sgpr_kernarg_segment_ptr 1
		.amdhsa_user_sgpr_dispatch_id 0
		.amdhsa_user_sgpr_kernarg_preload_length 0
		.amdhsa_user_sgpr_kernarg_preload_offset 0
		.amdhsa_user_sgpr_private_segment_size 0
		.amdhsa_uses_dynamic_stack 0
		.amdhsa_enable_private_segment 0
		.amdhsa_system_sgpr_workgroup_id_x 1
		.amdhsa_system_sgpr_workgroup_id_y 0
		.amdhsa_system_sgpr_workgroup_id_z 0
		.amdhsa_system_sgpr_workgroup_info 0
		.amdhsa_system_vgpr_workitem_id 0
		.amdhsa_next_free_vgpr 84
		.amdhsa_next_free_sgpr 36
		.amdhsa_accum_offset 84
		.amdhsa_reserve_vcc 1
		.amdhsa_float_round_mode_32 0
		.amdhsa_float_round_mode_16_64 0
		.amdhsa_float_denorm_mode_32 3
		.amdhsa_float_denorm_mode_16_64 3
		.amdhsa_dx10_clamp 1
		.amdhsa_ieee_mode 1
		.amdhsa_fp16_overflow 0
		.amdhsa_tg_split 0
		.amdhsa_exception_fp_ieee_invalid_op 0
		.amdhsa_exception_fp_denorm_src 0
		.amdhsa_exception_fp_ieee_div_zero 0
		.amdhsa_exception_fp_ieee_overflow 0
		.amdhsa_exception_fp_ieee_underflow 0
		.amdhsa_exception_fp_ieee_inexact 0
		.amdhsa_exception_int_div_zero 0
	.end_amdhsa_kernel
	.section	.text._ZN9rocsparseL18gtsv_LBM_wv_kernelILj256ELj32E21rocsparse_complex_numIdEEEviiiPKT1_S5_S5_PS3_S6_S6_Pi,"axG",@progbits,_ZN9rocsparseL18gtsv_LBM_wv_kernelILj256ELj32E21rocsparse_complex_numIdEEEviiiPKT1_S5_S5_PS3_S6_S6_Pi,comdat
.Lfunc_end317:
	.size	_ZN9rocsparseL18gtsv_LBM_wv_kernelILj256ELj32E21rocsparse_complex_numIdEEEviiiPKT1_S5_S5_PS3_S6_S6_Pi, .Lfunc_end317-_ZN9rocsparseL18gtsv_LBM_wv_kernelILj256ELj32E21rocsparse_complex_numIdEEEviiiPKT1_S5_S5_PS3_S6_S6_Pi
                                        ; -- End function
	.set _ZN9rocsparseL18gtsv_LBM_wv_kernelILj256ELj32E21rocsparse_complex_numIdEEEviiiPKT1_S5_S5_PS3_S6_S6_Pi.num_vgpr, 84
	.set _ZN9rocsparseL18gtsv_LBM_wv_kernelILj256ELj32E21rocsparse_complex_numIdEEEviiiPKT1_S5_S5_PS3_S6_S6_Pi.num_agpr, 0
	.set _ZN9rocsparseL18gtsv_LBM_wv_kernelILj256ELj32E21rocsparse_complex_numIdEEEviiiPKT1_S5_S5_PS3_S6_S6_Pi.numbered_sgpr, 36
	.set _ZN9rocsparseL18gtsv_LBM_wv_kernelILj256ELj32E21rocsparse_complex_numIdEEEviiiPKT1_S5_S5_PS3_S6_S6_Pi.num_named_barrier, 0
	.set _ZN9rocsparseL18gtsv_LBM_wv_kernelILj256ELj32E21rocsparse_complex_numIdEEEviiiPKT1_S5_S5_PS3_S6_S6_Pi.private_seg_size, 0
	.set _ZN9rocsparseL18gtsv_LBM_wv_kernelILj256ELj32E21rocsparse_complex_numIdEEEviiiPKT1_S5_S5_PS3_S6_S6_Pi.uses_vcc, 1
	.set _ZN9rocsparseL18gtsv_LBM_wv_kernelILj256ELj32E21rocsparse_complex_numIdEEEviiiPKT1_S5_S5_PS3_S6_S6_Pi.uses_flat_scratch, 0
	.set _ZN9rocsparseL18gtsv_LBM_wv_kernelILj256ELj32E21rocsparse_complex_numIdEEEviiiPKT1_S5_S5_PS3_S6_S6_Pi.has_dyn_sized_stack, 0
	.set _ZN9rocsparseL18gtsv_LBM_wv_kernelILj256ELj32E21rocsparse_complex_numIdEEEviiiPKT1_S5_S5_PS3_S6_S6_Pi.has_recursion, 0
	.set _ZN9rocsparseL18gtsv_LBM_wv_kernelILj256ELj32E21rocsparse_complex_numIdEEEviiiPKT1_S5_S5_PS3_S6_S6_Pi.has_indirect_call, 0
	.section	.AMDGPU.csdata,"",@progbits
; Kernel info:
; codeLenInByte = 6668
; TotalNumSgprs: 42
; NumVgprs: 84
; NumAgprs: 0
; TotalNumVgprs: 84
; ScratchSize: 0
; MemoryBound: 1
; FloatMode: 240
; IeeeMode: 1
; LDSByteSize: 0 bytes/workgroup (compile time only)
; SGPRBlocks: 5
; VGPRBlocks: 10
; NumSGPRsForWavesPerEU: 42
; NumVGPRsForWavesPerEU: 84
; AccumOffset: 84
; Occupancy: 5
; WaveLimiterHint : 0
; COMPUTE_PGM_RSRC2:SCRATCH_EN: 0
; COMPUTE_PGM_RSRC2:USER_SGPR: 2
; COMPUTE_PGM_RSRC2:TRAP_HANDLER: 0
; COMPUTE_PGM_RSRC2:TGID_X_EN: 1
; COMPUTE_PGM_RSRC2:TGID_Y_EN: 0
; COMPUTE_PGM_RSRC2:TGID_Z_EN: 0
; COMPUTE_PGM_RSRC2:TIDIG_COMP_CNT: 0
; COMPUTE_PGM_RSRC3_GFX90A:ACCUM_OFFSET: 20
; COMPUTE_PGM_RSRC3_GFX90A:TG_SPLIT: 0
	.section	.text._ZN9rocsparseL19gtsv_LBM_rhs_kernelILj256ELj32ELj8E21rocsparse_complex_numIdEEEviiiPKT2_S5_S5_PS3_S5_PKi,"axG",@progbits,_ZN9rocsparseL19gtsv_LBM_rhs_kernelILj256ELj32ELj8E21rocsparse_complex_numIdEEEviiiPKT2_S5_S5_PS3_S5_PKi,comdat
	.globl	_ZN9rocsparseL19gtsv_LBM_rhs_kernelILj256ELj32ELj8E21rocsparse_complex_numIdEEEviiiPKT2_S5_S5_PS3_S5_PKi ; -- Begin function _ZN9rocsparseL19gtsv_LBM_rhs_kernelILj256ELj32ELj8E21rocsparse_complex_numIdEEEviiiPKT2_S5_S5_PS3_S5_PKi
	.p2align	8
	.type	_ZN9rocsparseL19gtsv_LBM_rhs_kernelILj256ELj32ELj8E21rocsparse_complex_numIdEEEviiiPKT2_S5_S5_PS3_S5_PKi,@function
_ZN9rocsparseL19gtsv_LBM_rhs_kernelILj256ELj32ELj8E21rocsparse_complex_numIdEEEviiiPKT2_S5_S5_PS3_S5_PKi: ; @_ZN9rocsparseL19gtsv_LBM_rhs_kernelILj256ELj32ELj8E21rocsparse_complex_numIdEEEviiiPKT2_S5_S5_PS3_S5_PKi
; %bb.0:
	s_load_dword s23, s[0:1], 0x0
	v_lshl_or_b32 v44, s2, 8, v0
	s_waitcnt lgkmcnt(0)
	s_lshr_b32 s22, s23, 5
	v_cmp_gt_i32_e32 vcc, s22, v44
	s_and_saveexec_b64 s[4:5], vcc
	s_cbranch_execz .LBB318_29
; %bb.1:
	s_load_dwordx4 s[8:11], s[0:1], 0x28
	s_load_dwordx2 s[6:7], s[0:1], 0x38
	s_cmp_lt_i32 s23, 1
	v_add_u32_e32 v114, s22, v44
	s_mul_i32 s24, s3, s23
	s_cbranch_scc1 .LBB318_21
; %bb.2:
	s_load_dwordx4 s[12:15], s[0:1], 0x10
	s_load_dwordx2 s[16:17], s[0:1], 0x20
	v_ashrrev_i32_e32 v45, 31, v44
	s_lshl_b32 s28, s24, 3
	s_add_i32 s29, s28, s23
	s_waitcnt lgkmcnt(0)
	v_lshl_add_u64 v[0:1], v[44:45], 4, s[14:15]
	global_load_dwordx4 v[0:3], v[0:1], off
	s_add_i32 s30, s29, s23
	s_add_i32 s31, s30, s23
	;; [unrolled: 1-line block ×5, first 2 shown]
	s_mul_i32 s25, s22, 31
	s_mul_i32 s26, s22, 30
	s_lshl_b32 s27, s22, 1
	v_add_u32_e32 v45, s22, v114
	s_add_i32 s36, s35, s23
	v_mov_b32_e32 v47, 0
	s_mov_b64 s[18:19], 0
	v_mov_b32_e32 v115, 0
	s_branch .LBB318_5
.LBB318_3:                              ;   in Loop: Header=BB318_5 Depth=1
	s_or_b64 exec, exec, s[4:5]
	v_fmac_f64_e32 v[50:51], v[4:5], v[8:9]
	v_fmac_f64_e32 v[48:49], v[6:7], v[8:9]
	v_mul_f64 v[0:1], v[52:53], -v[48:49]
	v_mul_f64 v[2:3], v[52:53], v[50:51]
	v_fmac_f64_e32 v[0:1], v[50:51], v[10:11]
	v_fmac_f64_e32 v[2:3], v[48:49], v[10:11]
	v_add_f64 v[0:1], v[12:13], -v[0:1]
	v_add_f64 v[2:3], v[14:15], -v[2:3]
	v_mov_b32_e32 v10, s22
.LBB318_4:                              ;   in Loop: Header=BB318_5 Depth=1
	s_or_b64 exec, exec, s[2:3]
	v_add_u32_e32 v115, v10, v115
	v_cmp_le_i32_e32 vcc, s23, v115
	s_or_b64 s[18:19], vcc, s[18:19]
	s_andn2_b64 exec, exec, s[18:19]
	s_cbranch_execz .LBB318_20
.LBB318_5:                              ; =>This Inner Loop Header: Depth=1
	v_add_u32_e32 v24, v115, v44
	v_ashrrev_i32_e32 v25, 31, v24
	v_lshl_add_u64 v[4:5], v[24:25], 4, s[16:17]
	global_load_dwordx4 v[8:11], v[4:5], off
	v_cmp_gt_u32_e64 s[0:1], s25, v115
	v_mov_b64_e32 v[12:13], 0
	v_mov_b64_e32 v[4:5], 0
	;; [unrolled: 1-line block ×3, first 2 shown]
	s_and_saveexec_b64 s[2:3], s[0:1]
	s_cbranch_execz .LBB318_7
; %bb.6:                                ;   in Loop: Header=BB318_5 Depth=1
	v_add_u32_e32 v4, v114, v115
	v_ashrrev_i32_e32 v5, 31, v4
	v_lshl_add_u64 v[4:5], v[4:5], 4, s[12:13]
	global_load_dwordx4 v[4:7], v[4:5], off
.LBB318_7:                              ;   in Loop: Header=BB318_5 Depth=1
	s_or_b64 exec, exec, s[2:3]
	v_mov_b64_e32 v[14:15], 0
	s_and_saveexec_b64 s[2:3], s[0:1]
	s_cbranch_execz .LBB318_9
; %bb.8:                                ;   in Loop: Header=BB318_5 Depth=1
	v_add_u32_e32 v12, v114, v115
	v_ashrrev_i32_e32 v13, 31, v12
	v_lshl_add_u64 v[12:13], v[12:13], 4, s[14:15]
	global_load_dwordx4 v[12:15], v[12:13], off
.LBB318_9:                              ;   in Loop: Header=BB318_5 Depth=1
	s_or_b64 exec, exec, s[2:3]
	v_mov_b64_e32 v[20:21], 0
	v_mov_b64_e32 v[16:17], 0
	;; [unrolled: 1-line block ×3, first 2 shown]
	s_and_saveexec_b64 s[2:3], s[0:1]
	s_cbranch_execz .LBB318_11
; %bb.10:                               ;   in Loop: Header=BB318_5 Depth=1
	v_add_u32_e32 v16, v114, v115
	v_ashrrev_i32_e32 v17, 31, v16
	v_lshl_add_u64 v[16:17], v[16:17], 4, s[16:17]
	global_load_dwordx4 v[16:19], v[16:17], off
.LBB318_11:                             ;   in Loop: Header=BB318_5 Depth=1
	s_or_b64 exec, exec, s[2:3]
	v_cmp_gt_u32_e64 s[2:3], s26, v115
	v_mov_b64_e32 v[22:23], 0
	s_and_saveexec_b64 s[4:5], s[2:3]
	s_cbranch_execz .LBB318_13
; %bb.12:                               ;   in Loop: Header=BB318_5 Depth=1
	v_add_u32_e32 v20, v45, v115
	v_ashrrev_i32_e32 v21, 31, v20
	v_lshl_add_u64 v[20:21], v[20:21], 4, s[12:13]
	global_load_dwordx4 v[20:23], v[20:21], off
.LBB318_13:                             ;   in Loop: Header=BB318_5 Depth=1
	s_or_b64 exec, exec, s[4:5]
	v_lshl_add_u64 v[26:27], v[24:25], 2, s[6:7]
	global_load_dword v25, v[26:27], off
	v_cmp_ne_u32_e32 vcc, s25, v115
	s_waitcnt vmcnt(1)
	v_mul_f64 v[50:51], v[10:11], -v[6:7]
	v_mul_f64 v[48:49], v[10:11], v[4:5]
	v_add_u32_e32 v46, s28, v24
	v_add_u32_e32 v42, s29, v24
	;; [unrolled: 1-line block ×8, first 2 shown]
	s_waitcnt vmcnt(0)
	v_cmp_ne_u32_e64 s[4:5], 1, v25
	s_and_b64 s[4:5], vcc, s[4:5]
	s_and_saveexec_b64 s[20:21], s[4:5]
	s_xor_b64 s[4:5], exec, s[20:21]
	s_cbranch_execz .LBB318_17
; %bb.14:                               ;   in Loop: Header=BB318_5 Depth=1
	v_add_u32_e32 v82, v114, v115
	v_lshl_add_u64 v[34:35], v[46:47], 4, s[8:9]
	v_add_u32_e32 v46, s28, v82
	v_lshl_add_u64 v[54:55], v[46:47], 4, s[8:9]
	global_load_dwordx4 v[24:27], v[34:35], off
	global_load_dwordx4 v[56:59], v[54:55], off
	v_mov_b32_e32 v43, v47
	v_add_u32_e32 v46, s29, v82
	v_lshl_add_u64 v[42:43], v[42:43], 4, s[8:9]
	v_lshl_add_u64 v[72:73], v[46:47], 4, s[8:9]
	global_load_dwordx4 v[60:63], v[42:43], off
	global_load_dwordx4 v[64:67], v[72:73], off
	v_mul_f64 v[68:69], v[14:15], -v[2:3]
	v_mul_f64 v[70:71], v[0:1], v[14:15]
	v_mov_b32_e32 v41, v47
	v_add_u32_e32 v46, s30, v82
	v_fmac_f64_e32 v[50:51], v[4:5], v[8:9]
	v_fmac_f64_e32 v[48:49], v[6:7], v[8:9]
	v_mov_b32_e32 v39, v47
	v_mov_b32_e32 v37, v47
	;; [unrolled: 1-line block ×4, first 2 shown]
	v_fmac_f64_e32 v[68:69], v[0:1], v[12:13]
	v_fmac_f64_e32 v[70:71], v[2:3], v[12:13]
	v_lshl_add_u64 v[52:53], v[40:41], 4, s[8:9]
	v_lshl_add_u64 v[112:113], v[46:47], 4, s[8:9]
	;; [unrolled: 1-line block ×6, first 2 shown]
	v_add_f64 v[28:29], v[68:69], -v[50:51]
	v_add_f64 v[30:31], v[70:71], -v[48:49]
	global_load_dwordx4 v[48:51], v[52:53], off
	global_load_dwordx4 v[76:79], v[40:41], off
	;; [unrolled: 1-line block ×4, first 2 shown]
	v_add_u32_e32 v46, s31, v82
	v_lshl_add_u64 v[110:111], v[46:47], 4, s[8:9]
	global_load_dwordx4 v[124:127], v[110:111], off
	v_add_u32_e32 v46, s33, v82
	v_lshl_add_u64 v[108:109], v[46:47], 4, s[8:9]
	global_load_dwordx4 v[128:131], v[108:109], off
	v_add_u32_e32 v46, s34, v82
	v_mov_b32_e32 v33, v47
	v_lshl_add_u64 v[106:107], v[46:47], 4, s[8:9]
	v_add_u32_e32 v46, s35, v82
	v_lshl_add_u64 v[32:33], v[32:33], 4, s[8:9]
	v_lshl_add_u64 v[104:105], v[46:47], 4, s[8:9]
	v_add_u32_e32 v46, s36, v82
	v_lshl_add_u64 v[102:103], v[46:47], 4, s[8:9]
	global_load_dwordx4 v[132:135], v[32:33], off
	global_load_dwordx4 v[136:139], v[36:37], off
	;; [unrolled: 1-line block ×6, first 2 shown]
	v_mul_f64 v[68:69], v[30:31], v[30:31]
	v_fmac_f64_e32 v[68:69], v[28:29], v[28:29]
	v_fma_f64 v[70:71], 0, v[30:31], v[28:29]
	v_fma_f64 v[30:31], v[28:29], 0, -v[30:31]
	v_div_scale_f64 v[28:29], s[20:21], v[68:69], v[68:69], 1.0
	v_rcp_f64_e32 v[80:81], v[28:29]
	v_div_scale_f64 v[74:75], vcc, 1.0, v[68:69], 1.0
	v_fma_f64 v[82:83], -v[28:29], v[80:81], 1.0
	v_fmac_f64_e32 v[80:81], v[80:81], v[82:83]
	v_fma_f64 v[82:83], -v[28:29], v[80:81], 1.0
	v_fmac_f64_e32 v[80:81], v[80:81], v[82:83]
	v_mul_f64 v[82:83], v[74:75], v[80:81]
	v_fma_f64 v[28:29], -v[28:29], v[82:83], v[74:75]
	v_div_fmas_f64 v[28:29], v[28:29], v[80:81], v[82:83]
	v_div_fixup_f64 v[68:69], v[28:29], v[68:69], 1.0
	v_mul_f64 v[30:31], v[30:31], v[68:69]
	v_mul_f64 v[28:29], v[70:71], v[68:69]
	s_waitcnt vmcnt(15)
	v_mul_f64 v[96:97], v[30:31], v[24:25]
	s_waitcnt vmcnt(14)
	v_mul_f64 v[98:99], v[30:31], v[56:57]
	v_mul_f64 v[84:85], v[30:31], -v[26:27]
	v_fmac_f64_e32 v[96:97], v[26:27], v[28:29]
	v_mul_f64 v[88:89], v[30:31], -v[58:59]
	v_fmac_f64_e32 v[98:99], v[58:59], v[28:29]
	v_fmac_f64_e32 v[84:85], v[24:25], v[28:29]
	v_mul_f64 v[24:25], v[96:97], -v[14:15]
	v_mul_f64 v[26:27], v[12:13], v[96:97]
	v_fmac_f64_e32 v[88:89], v[56:57], v[28:29]
	v_mul_f64 v[56:57], v[98:99], -v[10:11]
	v_mul_f64 v[58:59], v[8:9], v[98:99]
	v_fmac_f64_e32 v[24:25], v[12:13], v[84:85]
	v_fmac_f64_e32 v[26:27], v[14:15], v[84:85]
	;; [unrolled: 1-line block ×4, first 2 shown]
	s_waitcnt vmcnt(13)
	v_mul_f64 v[80:81], v[30:31], v[60:61]
	s_waitcnt vmcnt(12)
	v_mul_f64 v[82:83], v[30:31], v[64:65]
	v_add_f64 v[24:25], v[24:25], -v[56:57]
	v_add_f64 v[26:27], v[26:27], -v[58:59]
	v_mul_f64 v[70:71], v[30:31], -v[62:63]
	v_fmac_f64_e32 v[80:81], v[62:63], v[28:29]
	v_mul_f64 v[74:75], v[30:31], -v[66:67]
	v_fmac_f64_e32 v[82:83], v[66:67], v[28:29]
	global_store_dwordx4 v[34:35], v[24:27], off
	v_fmac_f64_e32 v[70:71], v[60:61], v[28:29]
	v_fmac_f64_e32 v[74:75], v[64:65], v[28:29]
	v_mul_f64 v[24:25], v[80:81], -v[14:15]
	v_mul_f64 v[26:27], v[12:13], v[80:81]
	v_mul_f64 v[34:35], v[82:83], -v[10:11]
	v_mul_f64 v[56:57], v[8:9], v[82:83]
	v_fmac_f64_e32 v[24:25], v[12:13], v[70:71]
	v_fmac_f64_e32 v[26:27], v[14:15], v[70:71]
	;; [unrolled: 1-line block ×4, first 2 shown]
	s_waitcnt vmcnt(12)
	v_mul_f64 v[92:93], v[30:31], v[48:49]
	s_waitcnt vmcnt(9)
	v_mul_f64 v[94:95], v[30:31], v[120:121]
	v_add_f64 v[24:25], v[24:25], -v[34:35]
	v_add_f64 v[26:27], v[26:27], -v[56:57]
	v_mul_f64 v[86:87], v[30:31], -v[50:51]
	v_fmac_f64_e32 v[92:93], v[50:51], v[28:29]
	v_mul_f64 v[90:91], v[30:31], -v[122:123]
	v_fmac_f64_e32 v[94:95], v[122:123], v[28:29]
	global_store_dwordx4 v[42:43], v[24:27], off
	v_fmac_f64_e32 v[86:87], v[48:49], v[28:29]
	v_fmac_f64_e32 v[90:91], v[120:121], v[28:29]
	v_mul_f64 v[24:25], v[92:93], -v[14:15]
	v_mul_f64 v[26:27], v[12:13], v[92:93]
	v_mul_f64 v[34:35], v[94:95], -v[10:11]
	v_mul_f64 v[42:43], v[8:9], v[94:95]
	v_fmac_f64_e32 v[24:25], v[12:13], v[86:87]
	v_fmac_f64_e32 v[26:27], v[14:15], v[86:87]
	v_fmac_f64_e32 v[34:35], v[8:9], v[90:91]
	v_fmac_f64_e32 v[42:43], v[10:11], v[90:91]
	v_mul_f64 v[58:59], v[30:31], v[76:77]
	s_waitcnt vmcnt(9)
	v_mul_f64 v[62:63], v[30:31], v[124:125]
	v_add_f64 v[24:25], v[24:25], -v[34:35]
	v_add_f64 v[26:27], v[26:27], -v[42:43]
	v_mul_f64 v[48:49], v[30:31], -v[78:79]
	v_fmac_f64_e32 v[58:59], v[78:79], v[28:29]
	v_mul_f64 v[50:51], v[30:31], -v[126:127]
	v_fmac_f64_e32 v[62:63], v[126:127], v[28:29]
	global_store_dwordx4 v[52:53], v[24:27], off
	v_fmac_f64_e32 v[48:49], v[76:77], v[28:29]
	v_fmac_f64_e32 v[50:51], v[124:125], v[28:29]
	v_mul_f64 v[24:25], v[58:59], -v[14:15]
	v_mul_f64 v[26:27], v[12:13], v[58:59]
	v_mul_f64 v[34:35], v[62:63], -v[10:11]
	v_mul_f64 v[42:43], v[8:9], v[62:63]
	v_fmac_f64_e32 v[24:25], v[12:13], v[48:49]
	v_fmac_f64_e32 v[26:27], v[14:15], v[48:49]
	v_fmac_f64_e32 v[34:35], v[8:9], v[50:51]
	v_fmac_f64_e32 v[42:43], v[10:11], v[50:51]
	;; [unrolled: 20-line block ×3, first 2 shown]
	s_waitcnt vmcnt(9)
	v_mul_f64 v[60:61], v[30:31], v[132:133]
	s_waitcnt vmcnt(6)
	v_mul_f64 v[64:65], v[30:31], v[144:145]
	v_add_f64 v[24:25], v[24:25], -v[34:35]
	v_add_f64 v[26:27], v[26:27], -v[40:41]
	v_mul_f64 v[52:53], v[30:31], -v[134:135]
	v_fmac_f64_e32 v[60:61], v[134:135], v[28:29]
	v_mul_f64 v[56:57], v[30:31], -v[146:147]
	v_fmac_f64_e32 v[64:65], v[146:147], v[28:29]
	global_store_dwordx4 v[38:39], v[24:27], off
	v_fmac_f64_e32 v[52:53], v[132:133], v[28:29]
	v_fmac_f64_e32 v[56:57], v[144:145], v[28:29]
	v_mul_f64 v[24:25], v[60:61], -v[14:15]
	v_mul_f64 v[26:27], v[12:13], v[60:61]
	v_mul_f64 v[34:35], v[64:65], -v[10:11]
	v_mul_f64 v[38:39], v[8:9], v[64:65]
	v_fmac_f64_e32 v[24:25], v[12:13], v[52:53]
	v_fmac_f64_e32 v[26:27], v[14:15], v[52:53]
	;; [unrolled: 1-line block ×4, first 2 shown]
	v_add_f64 v[24:25], v[24:25], -v[34:35]
	v_add_f64 v[26:27], v[26:27], -v[38:39]
	v_mul_f64 v[40:41], v[30:31], v[136:137]
	s_waitcnt vmcnt(6)
	v_mul_f64 v[42:43], v[30:31], v[148:149]
	global_store_dwordx4 v[32:33], v[24:27], off
	v_mul_f64 v[32:33], v[30:31], -v[138:139]
	v_fmac_f64_e32 v[40:41], v[138:139], v[28:29]
	v_mul_f64 v[34:35], v[30:31], -v[150:151]
	v_fmac_f64_e32 v[42:43], v[150:151], v[28:29]
	v_fmac_f64_e32 v[32:33], v[136:137], v[28:29]
	;; [unrolled: 1-line block ×3, first 2 shown]
	v_mul_f64 v[24:25], v[40:41], -v[14:15]
	v_mul_f64 v[26:27], v[12:13], v[40:41]
	v_mul_f64 v[38:39], v[42:43], -v[10:11]
	v_mul_f64 v[116:117], v[8:9], v[42:43]
	v_fmac_f64_e32 v[24:25], v[12:13], v[32:33]
	v_fmac_f64_e32 v[26:27], v[14:15], v[32:33]
	;; [unrolled: 1-line block ×4, first 2 shown]
	v_add_f64 v[24:25], v[24:25], -v[38:39]
	v_add_f64 v[26:27], v[26:27], -v[116:117]
	global_store_dwordx4 v[36:37], v[24:27], off
	v_mul_f64 v[36:37], v[30:31], v[140:141]
	v_fmac_f64_e32 v[36:37], v[142:143], v[28:29]
	v_mul_f64 v[24:25], v[30:31], -v[142:143]
	v_fmac_f64_e32 v[24:25], v[140:141], v[28:29]
	s_waitcnt vmcnt(7)
	v_mul_f64 v[38:39], v[30:31], v[152:153]
	v_mul_f64 v[116:117], v[36:37], -v[14:15]
	v_mul_f64 v[26:27], v[30:31], -v[154:155]
	v_fmac_f64_e32 v[38:39], v[154:155], v[28:29]
	v_fmac_f64_e32 v[116:117], v[12:13], v[24:25]
	v_mul_f64 v[12:13], v[12:13], v[36:37]
	v_fmac_f64_e32 v[26:27], v[152:153], v[28:29]
	v_fmac_f64_e32 v[12:13], v[14:15], v[24:25]
	v_mul_f64 v[14:15], v[38:39], -v[10:11]
	v_mul_f64 v[118:119], v[8:9], v[38:39]
	v_fmac_f64_e32 v[14:15], v[8:9], v[26:27]
	v_fmac_f64_e32 v[118:119], v[10:11], v[26:27]
	v_add_f64 v[8:9], v[116:117], -v[14:15]
	v_add_f64 v[10:11], v[12:13], -v[118:119]
	global_store_dwordx4 v[100:101], v[8:11], off
	v_mul_f64 v[12:13], v[98:99], -v[2:3]
	v_mul_f64 v[14:15], v[0:1], v[98:99]
	v_mul_f64 v[8:9], v[6:7], v[96:97]
	v_mul_f64 v[10:11], v[96:97], -v[4:5]
	v_fma_f64 v[8:9], -v[4:5], v[84:85], v[8:9]
	v_fma_f64 v[10:11], -v[6:7], v[84:85], v[10:11]
	v_fmac_f64_e32 v[12:13], v[0:1], v[88:89]
	v_fmac_f64_e32 v[14:15], v[2:3], v[88:89]
	v_add_f64 v[8:9], v[8:9], v[12:13]
	v_add_f64 v[10:11], v[10:11], v[14:15]
	global_store_dwordx4 v[54:55], v[8:11], off
	v_mul_f64 v[12:13], v[82:83], -v[2:3]
	v_mul_f64 v[14:15], v[0:1], v[82:83]
	v_mul_f64 v[8:9], v[6:7], v[80:81]
	v_mul_f64 v[10:11], v[80:81], -v[4:5]
	v_fma_f64 v[8:9], -v[4:5], v[70:71], v[8:9]
	v_fma_f64 v[10:11], -v[6:7], v[70:71], v[10:11]
	v_fmac_f64_e32 v[12:13], v[0:1], v[74:75]
	v_fmac_f64_e32 v[14:15], v[2:3], v[74:75]
	v_add_f64 v[8:9], v[8:9], v[12:13]
	v_add_f64 v[10:11], v[10:11], v[14:15]
	;; [unrolled: 11-line block ×8, first 2 shown]
	global_store_dwordx4 v[102:103], v[8:11], off
	s_nop 1
	v_mov_b64_e32 v[10:11], 0
	v_mov_b64_e32 v[8:9], 0
	s_and_saveexec_b64 s[20:21], s[2:3]
	s_cbranch_execz .LBB318_16
; %bb.15:                               ;   in Loop: Header=BB318_5 Depth=1
	v_add_u32_e32 v12, v45, v115
	v_add_u32_e32 v46, s28, v12
	v_lshl_add_u64 v[14:15], v[46:47], 4, s[8:9]
	global_load_dwordx4 v[100:103], v[14:15], off
	v_mul_f64 v[54:55], v[6:7], v[22:23]
	v_mul_f64 v[72:73], v[22:23], -v[4:5]
	v_mul_f64 v[8:9], v[22:23], -v[2:3]
	v_mul_f64 v[10:11], v[0:1], v[22:23]
	v_fma_f64 v[4:5], -v[4:5], v[20:21], v[54:55]
	v_fma_f64 v[6:7], -v[6:7], v[20:21], v[72:73]
	v_fmac_f64_e32 v[8:9], v[0:1], v[20:21]
	v_fmac_f64_e32 v[10:11], v[2:3], v[20:21]
	v_mul_f64 v[54:55], v[6:7], v[96:97]
	v_mul_f64 v[72:73], v[96:97], -v[4:5]
	v_mul_f64 v[96:97], v[98:99], -v[10:11]
	v_mul_f64 v[98:99], v[8:9], v[98:99]
	v_add_u32_e32 v46, s29, v12
	v_fma_f64 v[54:55], -v[4:5], v[84:85], v[54:55]
	v_fma_f64 v[72:73], -v[6:7], v[84:85], v[72:73]
	v_fmac_f64_e32 v[96:97], v[8:9], v[88:89]
	v_fmac_f64_e32 v[98:99], v[10:11], v[88:89]
	v_lshl_add_u64 v[84:85], v[46:47], 4, s[8:9]
	v_add_f64 v[54:55], v[54:55], -v[96:97]
	v_add_f64 v[72:73], v[72:73], -v[98:99]
	v_add_u32_e32 v46, s30, v12
	global_load_dwordx4 v[96:99], v[84:85], off
	v_lshl_add_u64 v[88:89], v[46:47], 4, s[8:9]
	v_mul_f64 v[104:105], v[94:95], -v[10:11]
	v_mul_f64 v[94:95], v[8:9], v[94:95]
	v_fmac_f64_e32 v[104:105], v[8:9], v[90:91]
	v_fmac_f64_e32 v[94:95], v[10:11], v[90:91]
	v_add_u32_e32 v46, s31, v12
	v_ashrrev_i32_e32 v13, 31, v12
	s_waitcnt vmcnt(1)
	v_add_f64 v[100:101], v[54:55], v[100:101]
	v_add_f64 v[102:103], v[72:73], v[102:103]
	global_store_dwordx4 v[14:15], v[100:103], off
	global_load_dwordx4 v[100:103], v[88:89], off
	v_mul_f64 v[14:15], v[6:7], v[80:81]
	v_mul_f64 v[54:55], v[80:81], -v[4:5]
	v_mul_f64 v[72:73], v[82:83], -v[10:11]
	v_mul_f64 v[80:81], v[8:9], v[82:83]
	v_mul_f64 v[82:83], v[6:7], v[92:93]
	v_fma_f64 v[14:15], -v[4:5], v[70:71], v[14:15]
	v_fma_f64 v[54:55], -v[6:7], v[70:71], v[54:55]
	v_fmac_f64_e32 v[72:73], v[8:9], v[74:75]
	v_fmac_f64_e32 v[80:81], v[10:11], v[74:75]
	v_mul_f64 v[92:93], v[92:93], -v[4:5]
	v_fma_f64 v[70:71], -v[4:5], v[86:87], v[82:83]
	v_add_f64 v[14:15], v[14:15], -v[72:73]
	v_add_f64 v[54:55], v[54:55], -v[80:81]
	v_fma_f64 v[74:75], -v[6:7], v[86:87], v[92:93]
	v_add_f64 v[80:81], v[70:71], -v[104:105]
	v_add_f64 v[74:75], v[74:75], -v[94:95]
	v_lshl_add_u64 v[86:87], v[46:47], 4, s[8:9]
	v_add_u32_e32 v46, s33, v12
	s_waitcnt vmcnt(2)
	v_add_f64 v[70:71], v[14:15], v[96:97]
	v_add_f64 v[72:73], v[54:55], v[98:99]
	global_store_dwordx4 v[84:85], v[70:73], off
	global_load_dwordx4 v[70:73], v[86:87], off
	v_lshl_add_u64 v[90:91], v[46:47], 4, s[8:9]
	v_mul_f64 v[14:15], v[6:7], v[58:59]
	v_mul_f64 v[54:55], v[58:59], -v[4:5]
	v_mul_f64 v[58:59], v[62:63], -v[10:11]
	v_mul_f64 v[62:63], v[8:9], v[62:63]
	v_mul_f64 v[84:85], v[78:79], -v[10:11]
	v_mul_f64 v[78:79], v[8:9], v[78:79]
	v_fma_f64 v[14:15], -v[4:5], v[48:49], v[14:15]
	v_fma_f64 v[48:49], -v[6:7], v[48:49], v[54:55]
	v_fmac_f64_e32 v[58:59], v[8:9], v[50:51]
	v_fmac_f64_e32 v[62:63], v[10:11], v[50:51]
	;; [unrolled: 1-line block ×4, first 2 shown]
	v_add_f64 v[14:15], v[14:15], -v[58:59]
	v_add_f64 v[58:59], v[48:49], -v[62:63]
	v_add_u32_e32 v46, s34, v12
	s_waitcnt vmcnt(2)
	v_add_f64 v[80:81], v[80:81], v[100:101]
	v_add_f64 v[82:83], v[74:75], v[102:103]
	global_store_dwordx4 v[88:89], v[80:83], off
	global_load_dwordx4 v[80:83], v[90:91], off
	v_mul_f64 v[74:75], v[6:7], v[76:77]
	v_mul_f64 v[76:77], v[76:77], -v[4:5]
	v_fma_f64 v[50:51], -v[4:5], v[66:67], v[74:75]
	v_fma_f64 v[54:55], -v[6:7], v[66:67], v[76:77]
	v_add_f64 v[62:63], v[50:51], -v[84:85]
	v_add_f64 v[54:55], v[54:55], -v[78:79]
	v_lshl_add_u64 v[66:67], v[46:47], 4, s[8:9]
	v_add_u32_e32 v46, s35, v12
	s_waitcnt vmcnt(2)
	v_add_f64 v[48:49], v[14:15], v[70:71]
	v_add_f64 v[50:51], v[58:59], v[72:73]
	global_store_dwordx4 v[86:87], v[48:51], off
	v_mul_f64 v[14:15], v[6:7], v[60:61]
	v_mul_f64 v[58:59], v[64:65], -v[10:11]
	v_fma_f64 v[14:15], -v[4:5], v[52:53], v[14:15]
	v_fmac_f64_e32 v[58:59], v[8:9], v[56:57]
	v_add_f64 v[14:15], v[14:15], -v[58:59]
	s_waitcnt vmcnt(1)
	v_add_f64 v[48:49], v[62:63], v[80:81]
	v_add_f64 v[50:51], v[54:55], v[82:83]
	global_store_dwordx4 v[90:91], v[48:51], off
	global_load_dwordx4 v[48:51], v[66:67], off
	v_mul_f64 v[54:55], v[60:61], -v[4:5]
	v_mul_f64 v[60:61], v[8:9], v[64:65]
	v_fma_f64 v[52:53], -v[6:7], v[52:53], v[54:55]
	v_fmac_f64_e32 v[60:61], v[10:11], v[56:57]
	v_add_f64 v[52:53], v[52:53], -v[60:61]
	v_lshl_add_u64 v[54:55], v[46:47], 4, s[8:9]
	v_lshl_add_u64 v[56:57], v[12:13], 4, s[14:15]
	v_add_u32_e32 v46, s36, v12
	s_waitcnt vmcnt(0)
	v_add_f64 v[48:49], v[14:15], v[48:49]
	v_add_f64 v[50:51], v[52:53], v[50:51]
	global_store_dwordx4 v[66:67], v[48:51], off
	global_load_dwordx4 v[48:51], v[54:55], off
	v_mul_f64 v[14:15], v[6:7], v[40:41]
	v_mul_f64 v[40:41], v[40:41], -v[4:5]
	v_mul_f64 v[52:53], v[42:43], -v[10:11]
	v_mul_f64 v[42:43], v[8:9], v[42:43]
	v_fma_f64 v[14:15], -v[4:5], v[32:33], v[14:15]
	v_fma_f64 v[40:41], -v[6:7], v[32:33], v[40:41]
	v_fmac_f64_e32 v[52:53], v[8:9], v[34:35]
	v_fmac_f64_e32 v[42:43], v[10:11], v[34:35]
	v_add_f64 v[14:15], v[14:15], -v[52:53]
	v_add_f64 v[40:41], v[40:41], -v[42:43]
	v_lshl_add_u64 v[42:43], v[46:47], 4, s[8:9]
	global_load_dwordx4 v[32:35], v[56:57], off
	s_waitcnt vmcnt(1)
	v_add_f64 v[12:13], v[14:15], v[48:49]
	v_add_f64 v[14:15], v[40:41], v[50:51]
	global_store_dwordx4 v[54:55], v[12:15], off
	global_load_dwordx4 v[12:15], v[42:43], off
	v_mul_f64 v[40:41], v[2:3], -v[22:23]
	v_mul_f64 v[2:3], v[2:3], v[20:21]
	v_fmac_f64_e32 v[40:41], v[20:21], v[0:1]
	v_fmac_f64_e32 v[2:3], v[22:23], v[0:1]
	v_mul_f64 v[0:1], v[6:7], v[36:37]
	v_mul_f64 v[20:21], v[36:37], -v[4:5]
	v_mul_f64 v[22:23], v[38:39], -v[10:11]
	v_mul_f64 v[36:37], v[8:9], v[38:39]
	v_mul_f64 v[38:39], v[18:19], -v[2:3]
	v_mul_f64 v[18:19], v[18:19], v[40:41]
	v_fma_f64 v[0:1], -v[4:5], v[24:25], v[0:1]
	v_fma_f64 v[4:5], -v[6:7], v[24:25], v[20:21]
	v_fmac_f64_e32 v[36:37], v[10:11], v[26:27]
	v_fmac_f64_e32 v[38:39], v[40:41], v[16:17]
	;; [unrolled: 1-line block ×4, first 2 shown]
	v_add_f64 v[2:3], v[4:5], -v[36:37]
	v_mul_f64 v[4:5], v[30:31], -v[18:19]
	v_mul_f64 v[6:7], v[30:31], v[38:39]
	v_add_f64 v[0:1], v[0:1], -v[22:23]
	v_fmac_f64_e32 v[4:5], v[38:39], v[28:29]
	v_fmac_f64_e32 v[6:7], v[18:19], v[28:29]
	s_waitcnt vmcnt(2)
	v_add_f64 v[8:9], v[32:33], -v[4:5]
	v_add_f64 v[10:11], v[34:35], -v[6:7]
	s_waitcnt vmcnt(0)
	v_add_f64 v[0:1], v[0:1], v[12:13]
	v_add_f64 v[2:3], v[2:3], v[14:15]
	global_store_dwordx4 v[42:43], v[0:3], off
.LBB318_16:                             ;   in Loop: Header=BB318_5 Depth=1
	s_or_b64 exec, exec, s[20:21]
	s_nop 0
	v_mov_b64_e32 v[2:3], v[10:11]
	v_mov_b64_e32 v[0:1], v[8:9]
                                        ; implicit-def: $vgpr4_vgpr5
                                        ; implicit-def: $vgpr12_vgpr13
                                        ; implicit-def: $vgpr8_vgpr9
                                        ; implicit-def: $vgpr50_vgpr51
                                        ; implicit-def: $vgpr48_vgpr49
                                        ; implicit-def: $vgpr42
                                        ; implicit-def: $vgpr40
                                        ; implicit-def: $vgpr38
                                        ; implicit-def: $vgpr36
                                        ; implicit-def: $vgpr32
                                        ; implicit-def: $vgpr30
                                        ; implicit-def: $vgpr28
.LBB318_17:                             ;   in Loop: Header=BB318_5 Depth=1
	s_or_saveexec_b64 s[2:3], s[4:5]
	v_mov_b32_e32 v10, s27
	s_xor_b64 exec, exec, s[2:3]
	s_cbranch_execz .LBB318_4
; %bb.18:                               ;   in Loop: Header=BB318_5 Depth=1
	v_mov_b32_e32 v41, v47
	v_mov_b32_e32 v37, v47
	;; [unrolled: 1-line block ×4, first 2 shown]
	v_lshl_add_u64 v[82:83], v[46:47], 4, s[8:9]
	v_mov_b32_e32 v43, v47
	v_lshl_add_u64 v[86:87], v[40:41], 4, s[8:9]
	v_mov_b32_e32 v39, v47
	;; [unrolled: 2-line block ×3, first 2 shown]
	v_lshl_add_u64 v[94:95], v[30:31], 4, s[8:9]
	v_lshl_add_u64 v[96:97], v[28:29], 4, s[8:9]
	;; [unrolled: 1-line block ×3, first 2 shown]
	global_load_dwordx4 v[16:19], v[82:83], off
	global_load_dwordx4 v[54:57], v[84:85], off
	v_lshl_add_u64 v[88:89], v[38:39], 4, s[8:9]
	global_load_dwordx4 v[58:61], v[86:87], off
	global_load_dwordx4 v[62:65], v[88:89], off
	v_lshl_add_u64 v[92:93], v[32:33], 4, s[8:9]
	global_load_dwordx4 v[66:69], v[90:91], off
	global_load_dwordx4 v[70:73], v[92:93], off
	;; [unrolled: 1-line block ×4, first 2 shown]
	v_mul_f64 v[10:11], v[2:3], v[2:3]
	v_fmac_f64_e32 v[10:11], v[0:1], v[0:1]
	v_div_scale_f64 v[22:23], s[4:5], v[10:11], v[10:11], 1.0
	v_rcp_f64_e32 v[24:25], v[22:23]
	v_fma_f64 v[20:21], 0, v[2:3], v[0:1]
	v_fma_f64 v[0:1], v[0:1], 0, -v[2:3]
	v_div_scale_f64 v[2:3], vcc, 1.0, v[10:11], 1.0
	v_fma_f64 v[26:27], -v[22:23], v[24:25], 1.0
	v_fmac_f64_e32 v[24:25], v[24:25], v[26:27]
	v_fma_f64 v[26:27], -v[22:23], v[24:25], 1.0
	v_fmac_f64_e32 v[24:25], v[24:25], v[26:27]
	v_mul_f64 v[26:27], v[2:3], v[24:25]
	v_fma_f64 v[2:3], -v[22:23], v[26:27], v[2:3]
	v_div_fmas_f64 v[2:3], v[2:3], v[24:25], v[26:27]
	v_div_fixup_f64 v[2:3], v[2:3], v[10:11], 1.0
	v_mul_f64 v[52:53], v[0:1], v[2:3]
	v_mul_f64 v[10:11], v[20:21], v[2:3]
	s_waitcnt vmcnt(7)
	v_mul_f64 v[40:41], v[52:53], -v[18:19]
	v_mul_f64 v[42:43], v[52:53], v[16:17]
	v_fmac_f64_e32 v[40:41], v[16:17], v[10:11]
	v_fmac_f64_e32 v[42:43], v[18:19], v[10:11]
	s_waitcnt vmcnt(6)
	v_mul_f64 v[36:37], v[52:53], -v[56:57]
	v_mul_f64 v[38:39], v[52:53], v[54:55]
	s_waitcnt vmcnt(5)
	v_mul_f64 v[32:33], v[52:53], -v[60:61]
	v_mul_f64 v[34:35], v[52:53], v[58:59]
	;; [unrolled: 3-line block ×7, first 2 shown]
	v_fmac_f64_e32 v[36:37], v[54:55], v[10:11]
	v_fmac_f64_e32 v[38:39], v[56:57], v[10:11]
	;; [unrolled: 1-line block ×14, first 2 shown]
	global_store_dwordx4 v[82:83], v[40:43], off
	global_store_dwordx4 v[84:85], v[36:39], off
	;; [unrolled: 1-line block ×8, first 2 shown]
	s_and_saveexec_b64 s[4:5], s[0:1]
	s_cbranch_execz .LBB318_3
; %bb.19:                               ;   in Loop: Header=BB318_5 Depth=1
	v_add_u32_e32 v70, v114, v115
	v_add_u32_e32 v46, s28, v70
	v_lshl_add_u64 v[62:63], v[46:47], 4, s[8:9]
	global_load_dwordx4 v[54:57], v[62:63], off
	v_add_u32_e32 v46, s29, v70
	v_lshl_add_u64 v[64:65], v[46:47], 4, s[8:9]
	global_load_dwordx4 v[58:61], v[64:65], off
	v_add_u32_e32 v46, s30, v70
	v_lshl_add_u64 v[66:67], v[46:47], 4, s[8:9]
	v_add_u32_e32 v46, s31, v70
	s_waitcnt vmcnt(1)
	v_fma_f64 v[54:55], -v[4:5], v[40:41], v[54:55]
	v_fma_f64 v[40:41], -v[6:7], v[40:41], v[56:57]
	v_fmac_f64_e32 v[54:55], v[6:7], v[42:43]
	v_fma_f64 v[56:57], -v[4:5], v[42:43], v[40:41]
	global_store_dwordx4 v[62:63], v[54:57], off
	global_load_dwordx4 v[40:43], v[66:67], off
	v_lshl_add_u64 v[62:63], v[46:47], 4, s[8:9]
	s_waitcnt vmcnt(2)
	v_fma_f64 v[54:55], -v[4:5], v[36:37], v[58:59]
	v_fma_f64 v[36:37], -v[6:7], v[36:37], v[60:61]
	v_fmac_f64_e32 v[54:55], v[6:7], v[38:39]
	v_fma_f64 v[56:57], -v[4:5], v[38:39], v[36:37]
	global_store_dwordx4 v[64:65], v[54:57], off
	global_load_dwordx4 v[36:39], v[62:63], off
	v_add_u32_e32 v46, s33, v70
	v_lshl_add_u64 v[68:69], v[46:47], 4, s[8:9]
	v_add_u32_e32 v46, s34, v70
	s_waitcnt vmcnt(2)
	v_fma_f64 v[40:41], -v[4:5], v[32:33], v[40:41]
	v_fma_f64 v[32:33], -v[6:7], v[32:33], v[42:43]
	v_fmac_f64_e32 v[40:41], v[6:7], v[34:35]
	v_fma_f64 v[42:43], -v[4:5], v[34:35], v[32:33]
	global_store_dwordx4 v[66:67], v[40:43], off
	global_load_dwordx4 v[32:35], v[68:69], off
	s_waitcnt vmcnt(2)
	v_fma_f64 v[36:37], -v[4:5], v[28:29], v[36:37]
	v_fma_f64 v[28:29], -v[6:7], v[28:29], v[38:39]
	;; [unrolled: 1-line block ×3, first 2 shown]
	v_fmac_f64_e32 v[36:37], v[6:7], v[30:31]
	v_lshl_add_u64 v[40:41], v[46:47], 4, s[8:9]
	global_store_dwordx4 v[62:63], v[36:39], off
	v_add_u32_e32 v46, s35, v70
	s_waitcnt vmcnt(1)
	v_fma_f64 v[28:29], -v[4:5], v[24:25], v[32:33]
	v_fma_f64 v[24:25], -v[6:7], v[24:25], v[34:35]
	v_fmac_f64_e32 v[28:29], v[6:7], v[26:27]
	v_fma_f64 v[30:31], -v[4:5], v[26:27], v[24:25]
	global_store_dwordx4 v[68:69], v[28:31], off
	global_load_dwordx4 v[24:27], v[40:41], off
	s_waitcnt vmcnt(0)
	v_fma_f64 v[24:25], -v[4:5], v[20:21], v[24:25]
	v_fma_f64 v[20:21], -v[6:7], v[20:21], v[26:27]
	v_fmac_f64_e32 v[24:25], v[6:7], v[22:23]
	v_fma_f64 v[26:27], -v[4:5], v[22:23], v[20:21]
	v_lshl_add_u64 v[28:29], v[46:47], 4, s[8:9]
	global_store_dwordx4 v[40:41], v[24:27], off
	global_load_dwordx4 v[20:23], v[28:29], off
	v_add_u32_e32 v46, s36, v70
	v_lshl_add_u64 v[24:25], v[46:47], 4, s[8:9]
	s_waitcnt vmcnt(0)
	v_fma_f64 v[20:21], -v[4:5], v[16:17], v[20:21]
	v_fma_f64 v[16:17], -v[6:7], v[16:17], v[22:23]
	v_fmac_f64_e32 v[20:21], v[6:7], v[18:19]
	v_fma_f64 v[22:23], -v[4:5], v[18:19], v[16:17]
	global_store_dwordx4 v[28:29], v[20:23], off
	global_load_dwordx4 v[16:19], v[24:25], off
	s_waitcnt vmcnt(0)
	v_fma_f64 v[16:17], -v[4:5], v[0:1], v[16:17]
	v_fma_f64 v[0:1], -v[6:7], v[0:1], v[18:19]
	v_fmac_f64_e32 v[16:17], v[6:7], v[2:3]
	v_fma_f64 v[18:19], -v[4:5], v[2:3], v[0:1]
	global_store_dwordx4 v[24:25], v[16:19], off
	s_branch .LBB318_3
.LBB318_20:
	s_or_b64 exec, exec, s[18:19]
	s_branch .LBB318_22
.LBB318_21:
	v_mov_b32_e32 v115, 0
.LBB318_22:
	v_subrev_u32_e32 v2, s22, v115
	v_add_u32_e32 v0, v2, v44
	v_ashrrev_i32_e32 v1, 31, v0
	s_waitcnt lgkmcnt(0)
	v_lshl_add_u64 v[0:1], v[0:1], 2, s[6:7]
	buffer_wbl2 sc1
	s_waitcnt vmcnt(0)
	buffer_inv sc1
	global_load_dword v0, v[0:1], off
	s_waitcnt vmcnt(0)
	v_mul_lo_u32 v0, v0, s22
	v_sub_u32_e32 v36, v2, v0
	v_cmp_lt_i32_e32 vcc, -1, v36
	s_and_b64 exec, exec, vcc
	s_cbranch_execz .LBB318_29
; %bb.23:
	s_lshl_b32 s4, s24, 3
	s_add_i32 s5, s4, s23
	s_add_i32 s12, s5, s23
	s_add_i32 s13, s12, s23
	s_add_i32 s14, s13, s23
	s_add_i32 s15, s14, s23
	s_add_i32 s16, s15, s23
	s_add_i32 s17, s16, s23
	s_lshl_b32 s18, s22, 1
	s_mov_b64 s[0:1], 0
	v_mov_b32_e32 v33, 0
	s_branch .LBB318_25
.LBB318_24:                             ;   in Loop: Header=BB318_25 Depth=1
	s_or_b64 exec, exec, s[2:3]
	v_sub_u32_e32 v36, v36, v4
	v_cmp_gt_i32_e32 vcc, 0, v36
	s_or_b64 s[0:1], vcc, s[0:1]
	s_andn2_b64 exec, exec, s[0:1]
	s_cbranch_execz .LBB318_29
.LBB318_25:                             ; =>This Inner Loop Header: Depth=1
	v_add_u32_e32 v34, v36, v44
	v_ashrrev_i32_e32 v35, 31, v34
	s_waitcnt vmcnt(0)
	v_lshl_add_u64 v[0:1], v[34:35], 2, s[6:7]
	global_load_dword v4, v[0:1], off
	v_lshl_add_u64 v[0:1], v[34:35], 4, s[10:11]
	global_load_dwordx4 v[0:3], v[0:1], off
	s_waitcnt vmcnt(1)
	v_cmp_ne_u32_e32 vcc, 1, v4
	s_and_saveexec_b64 s[2:3], vcc
	s_xor_b64 s[2:3], exec, s[2:3]
	s_cbranch_execz .LBB318_27
; %bb.26:                               ;   in Loop: Header=BB318_25 Depth=1
	v_add_u32_e32 v4, v114, v36
	v_add_u32_e32 v32, s4, v4
	v_lshl_add_u64 v[42:43], v[32:33], 4, s[8:9]
	v_add_u32_e32 v32, s5, v4
	v_lshl_add_u64 v[50:51], v[32:33], 4, s[8:9]
	;; [unrolled: 2-line block ×9, first 2 shown]
	global_load_dwordx4 v[38:41], v[64:65], off
	global_load_dwordx4 v[46:49], v[42:43], off
	global_load_dwordx4 v[28:31], v[50:51], off
	global_load_dwordx4 v[24:27], v[52:53], off
	global_load_dwordx4 v[20:23], v[54:55], off
	global_load_dwordx4 v[16:19], v[56:57], off
	global_load_dwordx4 v[12:15], v[58:59], off
	global_load_dwordx4 v[8:11], v[60:61], off
	global_load_dwordx4 v[4:7], v[62:63], off
	v_add_u32_e32 v32, s5, v34
	v_lshl_add_u64 v[42:43], v[32:33], 4, s[8:9]
	v_add_u32_e32 v32, s12, v34
	v_lshl_add_u64 v[50:51], v[32:33], 4, s[8:9]
	v_add_u32_e32 v32, s13, v34
	s_waitcnt vmcnt(7)
	v_fma_f64 v[38:39], -v[0:1], v[46:47], v[38:39]
	v_fma_f64 v[40:41], -v[2:3], v[46:47], v[40:41]
	v_fmac_f64_e32 v[38:39], v[2:3], v[48:49]
	v_fma_f64 v[40:41], -v[0:1], v[48:49], v[40:41]
	global_store_dwordx4 v[64:65], v[38:41], off
	global_load_dwordx4 v[38:41], v[42:43], off
	s_waitcnt vmcnt(0)
	v_fma_f64 v[38:39], -v[0:1], v[28:29], v[38:39]
	v_fma_f64 v[40:41], -v[2:3], v[28:29], v[40:41]
	v_fmac_f64_e32 v[38:39], v[2:3], v[30:31]
	v_fma_f64 v[40:41], -v[0:1], v[30:31], v[40:41]
	global_store_dwordx4 v[42:43], v[38:41], off
	global_load_dwordx4 v[38:41], v[50:51], off
	v_lshl_add_u64 v[42:43], v[32:33], 4, s[8:9]
	v_add_u32_e32 v32, s14, v34
	s_waitcnt vmcnt(0)
	v_fma_f64 v[38:39], -v[0:1], v[24:25], v[38:39]
	v_fma_f64 v[40:41], -v[2:3], v[24:25], v[40:41]
	v_fmac_f64_e32 v[38:39], v[2:3], v[26:27]
	v_fma_f64 v[40:41], -v[0:1], v[26:27], v[40:41]
	global_store_dwordx4 v[50:51], v[38:41], off
	global_load_dwordx4 v[38:41], v[42:43], off
	v_lshl_add_u64 v[50:51], v[32:33], 4, s[8:9]
	v_add_u32_e32 v32, s15, v34
	;; [unrolled: 9-line block ×4, first 2 shown]
	v_lshl_add_u64 v[34:35], v[32:33], 4, s[8:9]
	v_subrev_u32_e32 v32, s22, v36
	s_waitcnt vmcnt(0)
	v_fma_f64 v[38:39], -v[0:1], v[12:13], v[38:39]
	v_fma_f64 v[40:41], -v[2:3], v[12:13], v[40:41]
	v_fmac_f64_e32 v[38:39], v[2:3], v[14:15]
	v_fma_f64 v[40:41], -v[0:1], v[14:15], v[40:41]
	global_store_dwordx4 v[42:43], v[38:41], off
	global_load_dwordx4 v[38:41], v[50:51], off
	v_add_u32_e32 v42, v32, v44
	v_ashrrev_i32_e32 v43, 31, v42
	v_add_u32_e32 v32, s4, v42
	v_lshl_add_u64 v[54:55], v[32:33], 4, s[8:9]
	v_add_u32_e32 v32, s5, v42
	s_waitcnt vmcnt(0)
	v_fma_f64 v[38:39], -v[0:1], v[8:9], v[38:39]
	v_fma_f64 v[40:41], -v[2:3], v[8:9], v[40:41]
	v_fmac_f64_e32 v[38:39], v[2:3], v[10:11]
	v_fma_f64 v[40:41], -v[0:1], v[10:11], v[40:41]
	global_store_dwordx4 v[50:51], v[38:41], off
	global_load_dwordx4 v[38:41], v[34:35], off
	v_lshl_add_u64 v[50:51], v[42:43], 4, s[10:11]
	global_load_dwordx4 v[50:53], v[50:51], off
	s_waitcnt vmcnt(1)
	v_fma_f64 v[38:39], -v[0:1], v[4:5], v[38:39]
	v_fma_f64 v[40:41], -v[2:3], v[4:5], v[40:41]
	v_fmac_f64_e32 v[38:39], v[2:3], v[6:7]
	v_fma_f64 v[40:41], -v[0:1], v[6:7], v[40:41]
	global_store_dwordx4 v[34:35], v[38:41], off
	global_load_dwordx4 v[0:3], v[54:55], off
	v_lshl_add_u64 v[34:35], v[32:33], 4, s[8:9]
	v_add_u32_e32 v32, s12, v42
	v_lshl_add_u64 v[38:39], v[32:33], 4, s[8:9]
	v_add_u32_e32 v32, s13, v42
	s_waitcnt vmcnt(0)
	v_fma_f64 v[0:1], -v[50:51], v[46:47], v[0:1]
	v_fma_f64 v[2:3], -v[52:53], v[46:47], v[2:3]
	v_fmac_f64_e32 v[0:1], v[52:53], v[48:49]
	v_fma_f64 v[2:3], -v[50:51], v[48:49], v[2:3]
	global_store_dwordx4 v[54:55], v[0:3], off
	global_load_dwordx4 v[0:3], v[34:35], off
	s_waitcnt vmcnt(0)
	v_fma_f64 v[0:1], -v[50:51], v[28:29], v[0:1]
	v_fma_f64 v[2:3], -v[52:53], v[28:29], v[2:3]
	v_fmac_f64_e32 v[0:1], v[52:53], v[30:31]
	v_fma_f64 v[2:3], -v[50:51], v[30:31], v[2:3]
	global_store_dwordx4 v[34:35], v[0:3], off
	global_load_dwordx4 v[0:3], v[38:39], off
	v_lshl_add_u64 v[28:29], v[32:33], 4, s[8:9]
	v_add_u32_e32 v32, s14, v42
                                        ; implicit-def: $vgpr34
	s_waitcnt vmcnt(0)
	v_fma_f64 v[0:1], -v[50:51], v[24:25], v[0:1]
	v_fma_f64 v[2:3], -v[52:53], v[24:25], v[2:3]
	v_fmac_f64_e32 v[0:1], v[52:53], v[26:27]
	v_fma_f64 v[2:3], -v[50:51], v[26:27], v[2:3]
	global_store_dwordx4 v[38:39], v[0:3], off
	global_load_dwordx4 v[0:3], v[28:29], off
	v_lshl_add_u64 v[24:25], v[32:33], 4, s[8:9]
	v_add_u32_e32 v32, s15, v42
	s_waitcnt vmcnt(0)
	v_fma_f64 v[0:1], -v[50:51], v[20:21], v[0:1]
	v_fma_f64 v[2:3], -v[52:53], v[20:21], v[2:3]
	v_fmac_f64_e32 v[0:1], v[52:53], v[22:23]
	v_fma_f64 v[2:3], -v[50:51], v[22:23], v[2:3]
	global_store_dwordx4 v[28:29], v[0:3], off
	global_load_dwordx4 v[0:3], v[24:25], off
	v_lshl_add_u64 v[20:21], v[32:33], 4, s[8:9]
	v_add_u32_e32 v32, s16, v42
	;; [unrolled: 9-line block ×3, first 2 shown]
	s_waitcnt vmcnt(0)
	v_fma_f64 v[0:1], -v[50:51], v[12:13], v[0:1]
	v_fma_f64 v[2:3], -v[52:53], v[12:13], v[2:3]
	v_fmac_f64_e32 v[0:1], v[52:53], v[14:15]
	v_fma_f64 v[2:3], -v[50:51], v[14:15], v[2:3]
	global_store_dwordx4 v[20:21], v[0:3], off
	global_load_dwordx4 v[0:3], v[16:17], off
	v_lshl_add_u64 v[12:13], v[32:33], 4, s[8:9]
	s_waitcnt vmcnt(0)
	v_fma_f64 v[0:1], -v[50:51], v[8:9], v[0:1]
	v_fma_f64 v[2:3], -v[52:53], v[8:9], v[2:3]
	v_fmac_f64_e32 v[0:1], v[52:53], v[10:11]
	v_fma_f64 v[2:3], -v[50:51], v[10:11], v[2:3]
	global_store_dwordx4 v[16:17], v[0:3], off
	global_load_dwordx4 v[0:3], v[12:13], off
	s_waitcnt vmcnt(0)
	v_fma_f64 v[0:1], -v[50:51], v[4:5], v[0:1]
	v_fma_f64 v[2:3], -v[52:53], v[4:5], v[2:3]
	v_fmac_f64_e32 v[0:1], v[52:53], v[6:7]
	v_fma_f64 v[2:3], -v[50:51], v[6:7], v[2:3]
	global_store_dwordx4 v[12:13], v[0:3], off
                                        ; implicit-def: $vgpr0_vgpr1
.LBB318_27:                             ;   in Loop: Header=BB318_25 Depth=1
	s_or_saveexec_b64 s[2:3], s[2:3]
	v_mov_b32_e32 v4, s18
	s_xor_b64 exec, exec, s[2:3]
	s_cbranch_execz .LBB318_24
; %bb.28:                               ;   in Loop: Header=BB318_25 Depth=1
	v_add_u32_e32 v18, v114, v36
	v_add_u32_e32 v32, s4, v18
	v_lshl_add_u64 v[12:13], v[32:33], 4, s[8:9]
	v_add_u32_e32 v32, s4, v34
	v_lshl_add_u64 v[14:15], v[32:33], 4, s[8:9]
	global_load_dwordx4 v[4:7], v[12:13], off
	global_load_dwordx4 v[8:11], v[14:15], off
	v_add_u32_e32 v32, s5, v18
	v_lshl_add_u64 v[12:13], v[32:33], 4, s[8:9]
	v_add_u32_e32 v32, s5, v34
	v_lshl_add_u64 v[16:17], v[32:33], 4, s[8:9]
	v_add_u32_e32 v32, s12, v18
	s_waitcnt vmcnt(0)
	v_fma_f64 v[8:9], -v[0:1], v[4:5], v[8:9]
	v_fma_f64 v[4:5], -v[2:3], v[4:5], v[10:11]
	v_fmac_f64_e32 v[8:9], v[2:3], v[6:7]
	v_fma_f64 v[10:11], -v[0:1], v[6:7], v[4:5]
	global_store_dwordx4 v[14:15], v[8:11], off
	global_load_dwordx4 v[4:7], v[12:13], off
	s_nop 0
	global_load_dwordx4 v[8:11], v[16:17], off
	v_lshl_add_u64 v[12:13], v[32:33], 4, s[8:9]
	v_add_u32_e32 v32, s12, v34
	v_lshl_add_u64 v[14:15], v[32:33], 4, s[8:9]
	v_add_u32_e32 v32, s13, v18
	s_waitcnt vmcnt(0)
	v_fma_f64 v[8:9], -v[0:1], v[4:5], v[8:9]
	v_fma_f64 v[4:5], -v[2:3], v[4:5], v[10:11]
	v_fmac_f64_e32 v[8:9], v[2:3], v[6:7]
	v_fma_f64 v[10:11], -v[0:1], v[6:7], v[4:5]
	global_store_dwordx4 v[16:17], v[8:11], off
	global_load_dwordx4 v[4:7], v[12:13], off
	s_nop 0
	global_load_dwordx4 v[8:11], v[14:15], off
	;; [unrolled: 13-line block ×6, first 2 shown]
	v_lshl_add_u64 v[12:13], v[32:33], 4, s[8:9]
	v_add_u32_e32 v32, s17, v34
	v_lshl_add_u64 v[16:17], v[32:33], 4, s[8:9]
	s_waitcnt vmcnt(0)
	v_fma_f64 v[8:9], -v[0:1], v[4:5], v[8:9]
	v_fma_f64 v[4:5], -v[2:3], v[4:5], v[10:11]
	v_fmac_f64_e32 v[8:9], v[2:3], v[6:7]
	v_fma_f64 v[10:11], -v[0:1], v[6:7], v[4:5]
	global_store_dwordx4 v[14:15], v[8:11], off
	global_load_dwordx4 v[4:7], v[12:13], off
	s_nop 0
	global_load_dwordx4 v[8:11], v[16:17], off
	s_waitcnt vmcnt(0)
	v_fma_f64 v[8:9], -v[0:1], v[4:5], v[8:9]
	v_fma_f64 v[4:5], -v[2:3], v[4:5], v[10:11]
	v_fmac_f64_e32 v[8:9], v[2:3], v[6:7]
	v_fma_f64 v[10:11], -v[0:1], v[6:7], v[4:5]
	v_mov_b32_e32 v4, s22
	global_store_dwordx4 v[16:17], v[8:11], off
	s_branch .LBB318_24
.LBB318_29:
	s_endpgm
	.section	.rodata,"a",@progbits
	.p2align	6, 0x0
	.amdhsa_kernel _ZN9rocsparseL19gtsv_LBM_rhs_kernelILj256ELj32ELj8E21rocsparse_complex_numIdEEEviiiPKT2_S5_S5_PS3_S5_PKi
		.amdhsa_group_segment_fixed_size 0
		.amdhsa_private_segment_fixed_size 0
		.amdhsa_kernarg_size 64
		.amdhsa_user_sgpr_count 2
		.amdhsa_user_sgpr_dispatch_ptr 0
		.amdhsa_user_sgpr_queue_ptr 0
		.amdhsa_user_sgpr_kernarg_segment_ptr 1
		.amdhsa_user_sgpr_dispatch_id 0
		.amdhsa_user_sgpr_kernarg_preload_length 0
		.amdhsa_user_sgpr_kernarg_preload_offset 0
		.amdhsa_user_sgpr_private_segment_size 0
		.amdhsa_uses_dynamic_stack 0
		.amdhsa_enable_private_segment 0
		.amdhsa_system_sgpr_workgroup_id_x 1
		.amdhsa_system_sgpr_workgroup_id_y 1
		.amdhsa_system_sgpr_workgroup_id_z 0
		.amdhsa_system_sgpr_workgroup_info 0
		.amdhsa_system_vgpr_workitem_id 0
		.amdhsa_next_free_vgpr 156
		.amdhsa_next_free_sgpr 37
		.amdhsa_accum_offset 156
		.amdhsa_reserve_vcc 1
		.amdhsa_float_round_mode_32 0
		.amdhsa_float_round_mode_16_64 0
		.amdhsa_float_denorm_mode_32 3
		.amdhsa_float_denorm_mode_16_64 3
		.amdhsa_dx10_clamp 1
		.amdhsa_ieee_mode 1
		.amdhsa_fp16_overflow 0
		.amdhsa_tg_split 0
		.amdhsa_exception_fp_ieee_invalid_op 0
		.amdhsa_exception_fp_denorm_src 0
		.amdhsa_exception_fp_ieee_div_zero 0
		.amdhsa_exception_fp_ieee_overflow 0
		.amdhsa_exception_fp_ieee_underflow 0
		.amdhsa_exception_fp_ieee_inexact 0
		.amdhsa_exception_int_div_zero 0
	.end_amdhsa_kernel
	.section	.text._ZN9rocsparseL19gtsv_LBM_rhs_kernelILj256ELj32ELj8E21rocsparse_complex_numIdEEEviiiPKT2_S5_S5_PS3_S5_PKi,"axG",@progbits,_ZN9rocsparseL19gtsv_LBM_rhs_kernelILj256ELj32ELj8E21rocsparse_complex_numIdEEEviiiPKT2_S5_S5_PS3_S5_PKi,comdat
.Lfunc_end318:
	.size	_ZN9rocsparseL19gtsv_LBM_rhs_kernelILj256ELj32ELj8E21rocsparse_complex_numIdEEEviiiPKT2_S5_S5_PS3_S5_PKi, .Lfunc_end318-_ZN9rocsparseL19gtsv_LBM_rhs_kernelILj256ELj32ELj8E21rocsparse_complex_numIdEEEviiiPKT2_S5_S5_PS3_S5_PKi
                                        ; -- End function
	.set _ZN9rocsparseL19gtsv_LBM_rhs_kernelILj256ELj32ELj8E21rocsparse_complex_numIdEEEviiiPKT2_S5_S5_PS3_S5_PKi.num_vgpr, 156
	.set _ZN9rocsparseL19gtsv_LBM_rhs_kernelILj256ELj32ELj8E21rocsparse_complex_numIdEEEviiiPKT2_S5_S5_PS3_S5_PKi.num_agpr, 0
	.set _ZN9rocsparseL19gtsv_LBM_rhs_kernelILj256ELj32ELj8E21rocsparse_complex_numIdEEEviiiPKT2_S5_S5_PS3_S5_PKi.numbered_sgpr, 37
	.set _ZN9rocsparseL19gtsv_LBM_rhs_kernelILj256ELj32ELj8E21rocsparse_complex_numIdEEEviiiPKT2_S5_S5_PS3_S5_PKi.num_named_barrier, 0
	.set _ZN9rocsparseL19gtsv_LBM_rhs_kernelILj256ELj32ELj8E21rocsparse_complex_numIdEEEviiiPKT2_S5_S5_PS3_S5_PKi.private_seg_size, 0
	.set _ZN9rocsparseL19gtsv_LBM_rhs_kernelILj256ELj32ELj8E21rocsparse_complex_numIdEEEviiiPKT2_S5_S5_PS3_S5_PKi.uses_vcc, 1
	.set _ZN9rocsparseL19gtsv_LBM_rhs_kernelILj256ELj32ELj8E21rocsparse_complex_numIdEEEviiiPKT2_S5_S5_PS3_S5_PKi.uses_flat_scratch, 0
	.set _ZN9rocsparseL19gtsv_LBM_rhs_kernelILj256ELj32ELj8E21rocsparse_complex_numIdEEEviiiPKT2_S5_S5_PS3_S5_PKi.has_dyn_sized_stack, 0
	.set _ZN9rocsparseL19gtsv_LBM_rhs_kernelILj256ELj32ELj8E21rocsparse_complex_numIdEEEviiiPKT2_S5_S5_PS3_S5_PKi.has_recursion, 0
	.set _ZN9rocsparseL19gtsv_LBM_rhs_kernelILj256ELj32ELj8E21rocsparse_complex_numIdEEEviiiPKT2_S5_S5_PS3_S5_PKi.has_indirect_call, 0
	.section	.AMDGPU.csdata,"",@progbits
; Kernel info:
; codeLenInByte = 7028
; TotalNumSgprs: 43
; NumVgprs: 156
; NumAgprs: 0
; TotalNumVgprs: 156
; ScratchSize: 0
; MemoryBound: 1
; FloatMode: 240
; IeeeMode: 1
; LDSByteSize: 0 bytes/workgroup (compile time only)
; SGPRBlocks: 5
; VGPRBlocks: 19
; NumSGPRsForWavesPerEU: 43
; NumVGPRsForWavesPerEU: 156
; AccumOffset: 156
; Occupancy: 3
; WaveLimiterHint : 0
; COMPUTE_PGM_RSRC2:SCRATCH_EN: 0
; COMPUTE_PGM_RSRC2:USER_SGPR: 2
; COMPUTE_PGM_RSRC2:TRAP_HANDLER: 0
; COMPUTE_PGM_RSRC2:TGID_X_EN: 1
; COMPUTE_PGM_RSRC2:TGID_Y_EN: 1
; COMPUTE_PGM_RSRC2:TGID_Z_EN: 0
; COMPUTE_PGM_RSRC2:TIDIG_COMP_CNT: 0
; COMPUTE_PGM_RSRC3_GFX90A:ACCUM_OFFSET: 38
; COMPUTE_PGM_RSRC3_GFX90A:TG_SPLIT: 0
	.section	.text._ZN9rocsparseL19gtsv_LBM_rhs_kernelILj256ELj32ELj4E21rocsparse_complex_numIdEEEviiiPKT2_S5_S5_PS3_S5_PKi,"axG",@progbits,_ZN9rocsparseL19gtsv_LBM_rhs_kernelILj256ELj32ELj4E21rocsparse_complex_numIdEEEviiiPKT2_S5_S5_PS3_S5_PKi,comdat
	.globl	_ZN9rocsparseL19gtsv_LBM_rhs_kernelILj256ELj32ELj4E21rocsparse_complex_numIdEEEviiiPKT2_S5_S5_PS3_S5_PKi ; -- Begin function _ZN9rocsparseL19gtsv_LBM_rhs_kernelILj256ELj32ELj4E21rocsparse_complex_numIdEEEviiiPKT2_S5_S5_PS3_S5_PKi
	.p2align	8
	.type	_ZN9rocsparseL19gtsv_LBM_rhs_kernelILj256ELj32ELj4E21rocsparse_complex_numIdEEEviiiPKT2_S5_S5_PS3_S5_PKi,@function
_ZN9rocsparseL19gtsv_LBM_rhs_kernelILj256ELj32ELj4E21rocsparse_complex_numIdEEEviiiPKT2_S5_S5_PS3_S5_PKi: ; @_ZN9rocsparseL19gtsv_LBM_rhs_kernelILj256ELj32ELj4E21rocsparse_complex_numIdEEEviiiPKT2_S5_S5_PS3_S5_PKi
; %bb.0:
	s_load_dword s23, s[0:1], 0x0
	v_lshl_or_b32 v28, s2, 8, v0
	s_waitcnt lgkmcnt(0)
	s_lshr_b32 s22, s23, 5
	v_cmp_gt_i32_e32 vcc, s22, v28
	s_and_saveexec_b64 s[4:5], vcc
	s_cbranch_execz .LBB319_29
; %bb.1:
	s_load_dwordx4 s[8:11], s[0:1], 0x28
	s_load_dwordx2 s[6:7], s[0:1], 0x38
	s_cmp_lt_i32 s23, 1
	v_add_u32_e32 v64, s22, v28
	s_mul_i32 s24, s3, s23
	s_cbranch_scc1 .LBB319_21
; %bb.2:
	s_load_dwordx4 s[12:15], s[0:1], 0x10
	s_load_dwordx2 s[16:17], s[0:1], 0x20
	v_ashrrev_i32_e32 v29, 31, v28
	s_lshl_b32 s28, s24, 2
	s_add_i32 s29, s28, s23
	s_waitcnt lgkmcnt(0)
	v_lshl_add_u64 v[0:1], v[28:29], 4, s[14:15]
	global_load_dwordx4 v[0:3], v[0:1], off
	s_add_i32 s30, s29, s23
	s_mul_i32 s25, s22, 31
	s_mul_i32 s26, s22, 30
	s_lshl_b32 s27, s22, 1
	v_add_u32_e32 v65, s22, v64
	s_add_i32 s31, s30, s23
	v_mov_b32_e32 v31, 0
	s_mov_b64 s[18:19], 0
	v_mov_b32_e32 v29, 0
	s_branch .LBB319_5
.LBB319_3:                              ;   in Loop: Header=BB319_5 Depth=1
	s_or_b64 exec, exec, s[4:5]
	v_fmac_f64_e32 v[34:35], v[4:5], v[8:9]
	v_fmac_f64_e32 v[32:33], v[6:7], v[8:9]
	v_mul_f64 v[0:1], v[36:37], -v[32:33]
	v_mul_f64 v[2:3], v[36:37], v[34:35]
	v_fmac_f64_e32 v[0:1], v[34:35], v[10:11]
	v_fmac_f64_e32 v[2:3], v[32:33], v[10:11]
	v_add_f64 v[0:1], v[12:13], -v[0:1]
	v_add_f64 v[2:3], v[14:15], -v[2:3]
	v_mov_b32_e32 v10, s22
.LBB319_4:                              ;   in Loop: Header=BB319_5 Depth=1
	s_or_b64 exec, exec, s[2:3]
	v_add_u32_e32 v29, v10, v29
	v_cmp_le_i32_e32 vcc, s23, v29
	s_or_b64 s[18:19], vcc, s[18:19]
	s_andn2_b64 exec, exec, s[18:19]
	s_cbranch_execz .LBB319_20
.LBB319_5:                              ; =>This Inner Loop Header: Depth=1
	v_add_u32_e32 v24, v29, v28
	v_ashrrev_i32_e32 v25, 31, v24
	v_lshl_add_u64 v[4:5], v[24:25], 4, s[16:17]
	global_load_dwordx4 v[8:11], v[4:5], off
	v_cmp_gt_u32_e64 s[0:1], s25, v29
	v_mov_b64_e32 v[12:13], 0
	v_mov_b64_e32 v[4:5], 0
	;; [unrolled: 1-line block ×3, first 2 shown]
	s_and_saveexec_b64 s[2:3], s[0:1]
	s_cbranch_execz .LBB319_7
; %bb.6:                                ;   in Loop: Header=BB319_5 Depth=1
	v_add_u32_e32 v4, v64, v29
	v_ashrrev_i32_e32 v5, 31, v4
	v_lshl_add_u64 v[4:5], v[4:5], 4, s[12:13]
	global_load_dwordx4 v[4:7], v[4:5], off
.LBB319_7:                              ;   in Loop: Header=BB319_5 Depth=1
	s_or_b64 exec, exec, s[2:3]
	v_mov_b64_e32 v[14:15], 0
	s_and_saveexec_b64 s[2:3], s[0:1]
	s_cbranch_execz .LBB319_9
; %bb.8:                                ;   in Loop: Header=BB319_5 Depth=1
	v_add_u32_e32 v12, v64, v29
	v_ashrrev_i32_e32 v13, 31, v12
	v_lshl_add_u64 v[12:13], v[12:13], 4, s[14:15]
	global_load_dwordx4 v[12:15], v[12:13], off
.LBB319_9:                              ;   in Loop: Header=BB319_5 Depth=1
	s_or_b64 exec, exec, s[2:3]
	v_mov_b64_e32 v[20:21], 0
	v_mov_b64_e32 v[16:17], 0
	;; [unrolled: 1-line block ×3, first 2 shown]
	s_and_saveexec_b64 s[2:3], s[0:1]
	s_cbranch_execz .LBB319_11
; %bb.10:                               ;   in Loop: Header=BB319_5 Depth=1
	v_add_u32_e32 v16, v64, v29
	v_ashrrev_i32_e32 v17, 31, v16
	v_lshl_add_u64 v[16:17], v[16:17], 4, s[16:17]
	global_load_dwordx4 v[16:19], v[16:17], off
.LBB319_11:                             ;   in Loop: Header=BB319_5 Depth=1
	s_or_b64 exec, exec, s[2:3]
	v_cmp_gt_u32_e64 s[2:3], s26, v29
	v_mov_b64_e32 v[22:23], 0
	s_and_saveexec_b64 s[4:5], s[2:3]
	s_cbranch_execz .LBB319_13
; %bb.12:                               ;   in Loop: Header=BB319_5 Depth=1
	v_add_u32_e32 v20, v65, v29
	v_ashrrev_i32_e32 v21, 31, v20
	v_lshl_add_u64 v[20:21], v[20:21], 4, s[12:13]
	global_load_dwordx4 v[20:23], v[20:21], off
.LBB319_13:                             ;   in Loop: Header=BB319_5 Depth=1
	s_or_b64 exec, exec, s[4:5]
	v_lshl_add_u64 v[26:27], v[24:25], 2, s[6:7]
	global_load_dword v25, v[26:27], off
	v_cmp_ne_u32_e32 vcc, s25, v29
	s_waitcnt vmcnt(1)
	v_mul_f64 v[34:35], v[10:11], -v[6:7]
	v_mul_f64 v[32:33], v[10:11], v[4:5]
	v_add_u32_e32 v30, s28, v24
	v_add_u32_e32 v42, s29, v24
	;; [unrolled: 1-line block ×4, first 2 shown]
	s_waitcnt vmcnt(0)
	v_cmp_ne_u32_e64 s[4:5], 1, v25
	s_and_b64 s[4:5], vcc, s[4:5]
	s_and_saveexec_b64 s[20:21], s[4:5]
	s_xor_b64 s[4:5], exec, s[20:21]
	s_cbranch_execz .LBB319_17
; %bb.14:                               ;   in Loop: Header=BB319_5 Depth=1
	v_add_u32_e32 v44, v64, v29
	v_lshl_add_u64 v[40:41], v[30:31], 4, s[8:9]
	v_add_u32_e32 v30, s28, v44
	v_mov_b32_e32 v43, v31
	v_lshl_add_u64 v[48:49], v[42:43], 4, s[8:9]
	v_lshl_add_u64 v[82:83], v[30:31], 4, s[8:9]
	v_add_u32_e32 v30, s29, v44
	global_load_dwordx4 v[24:27], v[40:41], off
	global_load_dwordx4 v[52:55], v[48:49], off
	;; [unrolled: 1-line block ×3, first 2 shown]
	v_lshl_add_u64 v[84:85], v[30:31], 4, s[8:9]
	global_load_dwordx4 v[60:63], v[84:85], off
	v_mov_b32_e32 v39, v31
	v_add_u32_e32 v30, s30, v44
	v_lshl_add_u64 v[86:87], v[38:39], 4, s[8:9]
	v_lshl_add_u64 v[88:89], v[30:31], 4, s[8:9]
	global_load_dwordx4 v[66:69], v[86:87], off
	global_load_dwordx4 v[70:73], v[88:89], off
	v_mov_b32_e32 v37, v31
	v_lshl_add_u64 v[90:91], v[36:37], 4, s[8:9]
	global_load_dwordx4 v[74:77], v[90:91], off
	v_add_u32_e32 v30, s31, v44
	v_lshl_add_u64 v[92:93], v[30:31], 4, s[8:9]
	global_load_dwordx4 v[78:81], v[92:93], off
	v_mul_f64 v[42:43], v[0:1], v[14:15]
	v_mul_f64 v[38:39], v[14:15], -v[2:3]
	v_fmac_f64_e32 v[32:33], v[6:7], v[8:9]
	v_fmac_f64_e32 v[42:43], v[2:3], v[12:13]
	;; [unrolled: 1-line block ×4, first 2 shown]
	v_add_f64 v[32:33], v[42:43], -v[32:33]
	v_add_f64 v[34:35], v[38:39], -v[34:35]
	v_mul_f64 v[36:37], v[32:33], v[32:33]
	v_fmac_f64_e32 v[36:37], v[34:35], v[34:35]
	v_div_scale_f64 v[42:43], s[20:21], v[36:37], v[36:37], 1.0
	v_rcp_f64_e32 v[44:45], v[42:43]
	v_fma_f64 v[38:39], 0, v[32:33], v[34:35]
	v_fma_f64 v[34:35], v[34:35], 0, -v[32:33]
	v_div_scale_f64 v[32:33], vcc, 1.0, v[36:37], 1.0
	v_fma_f64 v[46:47], -v[42:43], v[44:45], 1.0
	v_fmac_f64_e32 v[44:45], v[44:45], v[46:47]
	v_fma_f64 v[46:47], -v[42:43], v[44:45], 1.0
	v_fmac_f64_e32 v[44:45], v[44:45], v[46:47]
	v_mul_f64 v[46:47], v[32:33], v[44:45]
	v_fma_f64 v[32:33], -v[42:43], v[46:47], v[32:33]
	v_div_fmas_f64 v[32:33], v[32:33], v[44:45], v[46:47]
	v_div_fixup_f64 v[36:37], v[32:33], v[36:37], 1.0
	v_mul_f64 v[34:35], v[34:35], v[36:37]
	v_mul_f64 v[32:33], v[38:39], v[36:37]
	s_waitcnt vmcnt(7)
	v_mul_f64 v[36:37], v[34:35], -v[26:27]
	v_mul_f64 v[42:43], v[34:35], v[24:25]
	s_waitcnt vmcnt(6)
	v_mul_f64 v[46:47], v[34:35], v[52:53]
	s_waitcnt vmcnt(5)
	v_mul_f64 v[50:51], v[34:35], v[56:57]
	v_fmac_f64_e32 v[36:37], v[24:25], v[32:33]
	v_fmac_f64_e32 v[42:43], v[26:27], v[32:33]
	v_mul_f64 v[24:25], v[34:35], -v[54:55]
	v_mul_f64 v[38:39], v[34:35], -v[58:59]
	v_fmac_f64_e32 v[46:47], v[54:55], v[32:33]
	v_fmac_f64_e32 v[50:51], v[58:59], v[32:33]
	s_waitcnt vmcnt(4)
	v_mul_f64 v[54:55], v[34:35], v[60:61]
	v_mul_f64 v[26:27], v[42:43], -v[14:15]
	v_mul_f64 v[94:95], v[12:13], v[42:43]
	v_fmac_f64_e32 v[38:39], v[56:57], v[32:33]
	v_mul_f64 v[44:45], v[34:35], -v[62:63]
	v_mul_f64 v[56:57], v[50:51], -v[10:11]
	v_mul_f64 v[58:59], v[8:9], v[50:51]
	v_fmac_f64_e32 v[54:55], v[62:63], v[32:33]
	v_fmac_f64_e32 v[24:25], v[52:53], v[32:33]
	v_fmac_f64_e32 v[26:27], v[12:13], v[36:37]
	v_fmac_f64_e32 v[94:95], v[14:15], v[36:37]
	v_mul_f64 v[52:53], v[46:47], -v[14:15]
	v_mul_f64 v[96:97], v[12:13], v[46:47]
	v_fmac_f64_e32 v[44:45], v[60:61], v[32:33]
	v_fmac_f64_e32 v[56:57], v[8:9], v[38:39]
	;; [unrolled: 1-line block ×3, first 2 shown]
	v_mul_f64 v[60:61], v[54:55], -v[10:11]
	v_mul_f64 v[62:63], v[8:9], v[54:55]
	v_fmac_f64_e32 v[52:53], v[12:13], v[24:25]
	v_fmac_f64_e32 v[96:97], v[14:15], v[24:25]
	v_add_f64 v[56:57], v[26:27], -v[56:57]
	v_add_f64 v[58:59], v[94:95], -v[58:59]
	v_fmac_f64_e32 v[60:61], v[8:9], v[44:45]
	v_fmac_f64_e32 v[62:63], v[10:11], v[44:45]
	global_store_dwordx4 v[40:41], v[56:59], off
	s_waitcnt vmcnt(4)
	v_mul_f64 v[26:27], v[34:35], -v[68:69]
	s_waitcnt vmcnt(3)
	v_mul_f64 v[40:41], v[34:35], -v[72:73]
	v_add_f64 v[56:57], v[52:53], -v[60:61]
	v_add_f64 v[58:59], v[96:97], -v[62:63]
	global_store_dwordx4 v[48:49], v[56:59], off
	v_mul_f64 v[48:49], v[34:35], v[66:67]
	v_mul_f64 v[52:53], v[34:35], v[70:71]
	v_fmac_f64_e32 v[48:49], v[68:69], v[32:33]
	v_fmac_f64_e32 v[52:53], v[72:73], v[32:33]
	;; [unrolled: 1-line block ×4, first 2 shown]
	v_mul_f64 v[56:57], v[48:49], -v[14:15]
	v_mul_f64 v[58:59], v[12:13], v[48:49]
	v_mul_f64 v[60:61], v[52:53], -v[10:11]
	v_mul_f64 v[62:63], v[8:9], v[52:53]
	v_fmac_f64_e32 v[56:57], v[12:13], v[26:27]
	v_fmac_f64_e32 v[58:59], v[14:15], v[26:27]
	;; [unrolled: 1-line block ×4, first 2 shown]
	v_add_f64 v[56:57], v[56:57], -v[60:61]
	v_add_f64 v[58:59], v[58:59], -v[62:63]
	s_waitcnt vmcnt(3)
	v_mul_f64 v[60:61], v[34:35], v[74:75]
	global_store_dwordx4 v[86:87], v[56:59], off
	v_fmac_f64_e32 v[60:61], v[76:77], v[32:33]
	s_waitcnt vmcnt(3)
	v_mul_f64 v[62:63], v[34:35], v[78:79]
	v_mul_f64 v[56:57], v[34:35], -v[76:77]
	v_fmac_f64_e32 v[56:57], v[74:75], v[32:33]
	v_mul_f64 v[66:67], v[60:61], -v[14:15]
	v_mul_f64 v[58:59], v[34:35], -v[80:81]
	v_fmac_f64_e32 v[62:63], v[80:81], v[32:33]
	v_fmac_f64_e32 v[66:67], v[12:13], v[56:57]
	v_mul_f64 v[12:13], v[12:13], v[60:61]
	v_fmac_f64_e32 v[58:59], v[78:79], v[32:33]
	v_fmac_f64_e32 v[12:13], v[14:15], v[56:57]
	v_mul_f64 v[14:15], v[62:63], -v[10:11]
	v_mul_f64 v[68:69], v[8:9], v[62:63]
	v_fmac_f64_e32 v[14:15], v[8:9], v[58:59]
	v_fmac_f64_e32 v[68:69], v[10:11], v[58:59]
	v_add_f64 v[8:9], v[66:67], -v[14:15]
	v_add_f64 v[10:11], v[12:13], -v[68:69]
	global_store_dwordx4 v[90:91], v[8:11], off
	v_mul_f64 v[12:13], v[50:51], -v[2:3]
	v_mul_f64 v[14:15], v[0:1], v[50:51]
	v_mul_f64 v[8:9], v[6:7], v[42:43]
	v_mul_f64 v[10:11], v[42:43], -v[4:5]
	v_fma_f64 v[8:9], -v[4:5], v[36:37], v[8:9]
	v_fma_f64 v[10:11], -v[6:7], v[36:37], v[10:11]
	v_fmac_f64_e32 v[12:13], v[0:1], v[38:39]
	v_fmac_f64_e32 v[14:15], v[2:3], v[38:39]
	v_add_f64 v[8:9], v[8:9], v[12:13]
	v_add_f64 v[10:11], v[10:11], v[14:15]
	global_store_dwordx4 v[82:83], v[8:11], off
	v_mul_f64 v[12:13], v[54:55], -v[2:3]
	v_mul_f64 v[14:15], v[0:1], v[54:55]
	v_mul_f64 v[8:9], v[6:7], v[46:47]
	v_mul_f64 v[10:11], v[46:47], -v[4:5]
	v_fma_f64 v[8:9], -v[4:5], v[24:25], v[8:9]
	v_fma_f64 v[10:11], -v[6:7], v[24:25], v[10:11]
	v_fmac_f64_e32 v[12:13], v[0:1], v[44:45]
	v_fmac_f64_e32 v[14:15], v[2:3], v[44:45]
	v_add_f64 v[8:9], v[8:9], v[12:13]
	v_add_f64 v[10:11], v[10:11], v[14:15]
	global_store_dwordx4 v[84:85], v[8:11], off
	v_mul_f64 v[14:15], v[0:1], v[52:53]
	v_fmac_f64_e32 v[14:15], v[2:3], v[40:41]
	v_mul_f64 v[10:11], v[48:49], -v[4:5]
	v_mul_f64 v[8:9], v[6:7], v[48:49]
	v_fma_f64 v[12:13], -v[6:7], v[26:27], v[10:11]
	v_mul_f64 v[10:11], v[52:53], -v[2:3]
	v_fma_f64 v[8:9], -v[4:5], v[26:27], v[8:9]
	v_fmac_f64_e32 v[10:11], v[0:1], v[40:41]
	v_add_f64 v[10:11], v[8:9], v[10:11]
	v_add_f64 v[12:13], v[12:13], v[14:15]
	global_store_dwordx4 v[88:89], v[10:13], off
	v_mul_f64 v[14:15], v[62:63], -v[2:3]
	v_mul_f64 v[66:67], v[0:1], v[62:63]
	v_mul_f64 v[10:11], v[6:7], v[60:61]
	v_mul_f64 v[12:13], v[60:61], -v[4:5]
	v_fma_f64 v[10:11], -v[4:5], v[56:57], v[10:11]
	v_fma_f64 v[12:13], -v[6:7], v[56:57], v[12:13]
	v_fmac_f64_e32 v[14:15], v[0:1], v[58:59]
	v_fmac_f64_e32 v[66:67], v[2:3], v[58:59]
	v_add_f64 v[10:11], v[10:11], v[14:15]
	v_add_f64 v[12:13], v[12:13], v[66:67]
	v_mov_b64_e32 v[8:9], 0
	global_store_dwordx4 v[92:93], v[10:13], off
	s_nop 1
	v_mov_b64_e32 v[10:11], 0
	s_and_saveexec_b64 s[20:21], s[2:3]
	s_cbranch_execz .LBB319_16
; %bb.15:                               ;   in Loop: Header=BB319_5 Depth=1
	v_add_u32_e32 v66, v65, v29
	v_add_u32_e32 v30, s28, v66
	v_lshl_add_u64 v[68:69], v[30:31], 4, s[8:9]
	v_add_u32_e32 v30, s29, v66
	global_load_dwordx4 v[8:11], v[68:69], off
	v_lshl_add_u64 v[70:71], v[30:31], 4, s[8:9]
	global_load_dwordx4 v[12:15], v[70:71], off
	v_mul_f64 v[72:73], v[6:7], v[22:23]
	v_mul_f64 v[74:75], v[22:23], -v[4:5]
	v_mul_f64 v[76:77], v[22:23], -v[2:3]
	v_mul_f64 v[78:79], v[0:1], v[22:23]
	v_fma_f64 v[72:73], -v[4:5], v[20:21], v[72:73]
	v_fma_f64 v[74:75], -v[6:7], v[20:21], v[74:75]
	v_fmac_f64_e32 v[76:77], v[0:1], v[20:21]
	v_fmac_f64_e32 v[78:79], v[2:3], v[20:21]
	v_mul_f64 v[4:5], v[74:75], v[42:43]
	v_mul_f64 v[6:7], v[42:43], -v[72:73]
	v_mul_f64 v[42:43], v[50:51], -v[78:79]
	v_mul_f64 v[50:51], v[76:77], v[50:51]
	v_mul_f64 v[80:81], v[74:75], v[46:47]
	v_mul_f64 v[46:47], v[46:47], -v[72:73]
	v_mul_f64 v[82:83], v[54:55], -v[78:79]
	v_mul_f64 v[54:55], v[76:77], v[54:55]
	v_fma_f64 v[86:87], -v[72:73], v[36:37], v[4:5]
	v_fma_f64 v[36:37], -v[74:75], v[36:37], v[6:7]
	v_fmac_f64_e32 v[42:43], v[76:77], v[38:39]
	v_fmac_f64_e32 v[50:51], v[78:79], v[38:39]
	v_fma_f64 v[38:39], -v[72:73], v[24:25], v[80:81]
	v_fma_f64 v[24:25], -v[74:75], v[24:25], v[46:47]
	v_fmac_f64_e32 v[82:83], v[76:77], v[44:45]
	v_fmac_f64_e32 v[54:55], v[78:79], v[44:45]
	v_add_f64 v[42:43], v[86:87], -v[42:43]
	v_add_f64 v[36:37], v[36:37], -v[50:51]
	v_add_u32_e32 v30, s30, v66
	v_add_f64 v[38:39], v[38:39], -v[82:83]
	v_add_f64 v[24:25], v[24:25], -v[54:55]
	v_ashrrev_i32_e32 v67, 31, v66
	v_lshl_add_u64 v[44:45], v[30:31], 4, s[8:9]
	v_add_u32_e32 v30, s31, v66
	v_lshl_add_u64 v[84:85], v[66:67], 4, s[14:15]
	v_lshl_add_u64 v[46:47], v[30:31], 4, s[8:9]
	global_load_dwordx4 v[4:7], v[84:85], off
	v_mul_f64 v[50:51], v[76:77], v[62:63]
	v_fmac_f64_e32 v[50:51], v[78:79], v[58:59]
	s_waitcnt vmcnt(2)
	v_add_f64 v[8:9], v[42:43], v[8:9]
	v_add_f64 v[10:11], v[36:37], v[10:11]
	global_store_dwordx4 v[68:69], v[8:11], off
	v_mul_f64 v[42:43], v[60:61], -v[72:73]
	s_waitcnt vmcnt(2)
	v_add_f64 v[8:9], v[38:39], v[12:13]
	v_add_f64 v[10:11], v[24:25], v[14:15]
	global_load_dwordx4 v[36:39], v[44:45], off
	v_mul_f64 v[24:25], v[74:75], v[60:61]
	global_store_dwordx4 v[70:71], v[8:11], off
	global_load_dwordx4 v[12:15], v[46:47], off
	v_fma_f64 v[24:25], -v[72:73], v[56:57], v[24:25]
	v_mul_f64 v[8:9], v[2:3], -v[22:23]
	v_mul_f64 v[2:3], v[2:3], v[20:21]
	v_fmac_f64_e32 v[8:9], v[20:21], v[0:1]
	v_fmac_f64_e32 v[2:3], v[22:23], v[0:1]
	v_mul_f64 v[0:1], v[74:75], v[48:49]
	v_mul_f64 v[10:11], v[48:49], -v[72:73]
	v_mul_f64 v[20:21], v[52:53], -v[78:79]
	v_mul_f64 v[22:23], v[76:77], v[52:53]
	v_mul_f64 v[52:53], v[18:19], -v[2:3]
	v_mul_f64 v[18:19], v[18:19], v[8:9]
	v_mul_f64 v[48:49], v[62:63], -v[78:79]
	v_fma_f64 v[0:1], -v[72:73], v[26:27], v[0:1]
	v_fma_f64 v[10:11], -v[74:75], v[26:27], v[10:11]
	v_fmac_f64_e32 v[20:21], v[76:77], v[40:41]
	v_fmac_f64_e32 v[22:23], v[78:79], v[40:41]
	;; [unrolled: 1-line block ×4, first 2 shown]
	v_fma_f64 v[26:27], -v[74:75], v[56:57], v[42:43]
	v_fmac_f64_e32 v[48:49], v[76:77], v[58:59]
	v_add_f64 v[0:1], v[0:1], -v[20:21]
	v_add_f64 v[2:3], v[10:11], -v[22:23]
	v_mul_f64 v[10:11], v[34:35], -v[18:19]
	v_mul_f64 v[20:21], v[34:35], v[52:53]
	v_add_f64 v[8:9], v[24:25], -v[48:49]
	v_add_f64 v[16:17], v[26:27], -v[50:51]
	v_fmac_f64_e32 v[10:11], v[52:53], v[32:33]
	v_fmac_f64_e32 v[20:21], v[18:19], v[32:33]
	s_waitcnt vmcnt(4)
	v_add_f64 v[10:11], v[4:5], -v[10:11]
	s_waitcnt vmcnt(2)
	v_add_f64 v[0:1], v[0:1], v[36:37]
	v_add_f64 v[2:3], v[2:3], v[38:39]
	global_store_dwordx4 v[44:45], v[0:3], off
	s_waitcnt vmcnt(1)
	s_nop 0
	v_add_f64 v[0:1], v[8:9], v[12:13]
	v_add_f64 v[2:3], v[16:17], v[14:15]
	v_add_f64 v[8:9], v[6:7], -v[20:21]
	global_store_dwordx4 v[46:47], v[0:3], off
.LBB319_16:                             ;   in Loop: Header=BB319_5 Depth=1
	s_or_b64 exec, exec, s[20:21]
	s_nop 0
	v_mov_b64_e32 v[2:3], v[8:9]
	v_mov_b64_e32 v[0:1], v[10:11]
                                        ; implicit-def: $vgpr4_vgpr5
                                        ; implicit-def: $vgpr12_vgpr13
                                        ; implicit-def: $vgpr8_vgpr9
                                        ; implicit-def: $vgpr34_vgpr35
                                        ; implicit-def: $vgpr32_vgpr33
                                        ; implicit-def: $vgpr42
                                        ; implicit-def: $vgpr38
                                        ; implicit-def: $vgpr36
.LBB319_17:                             ;   in Loop: Header=BB319_5 Depth=1
	s_or_saveexec_b64 s[2:3], s[4:5]
	v_mov_b32_e32 v10, s27
	s_xor_b64 exec, exec, s[2:3]
	s_cbranch_execz .LBB319_4
; %bb.18:                               ;   in Loop: Header=BB319_5 Depth=1
	v_lshl_add_u64 v[52:53], v[30:31], 4, s[8:9]
	v_mov_b32_e32 v43, v31
	v_mov_b32_e32 v39, v31
	;; [unrolled: 1-line block ×3, first 2 shown]
	global_load_dwordx4 v[16:19], v[52:53], off
	v_lshl_add_u64 v[54:55], v[42:43], 4, s[8:9]
	v_lshl_add_u64 v[38:39], v[38:39], 4, s[8:9]
	;; [unrolled: 1-line block ×3, first 2 shown]
	global_load_dwordx4 v[40:43], v[54:55], off
	global_load_dwordx4 v[48:51], v[56:57], off
	;; [unrolled: 1-line block ×3, first 2 shown]
	v_mul_f64 v[10:11], v[2:3], v[2:3]
	v_fmac_f64_e32 v[10:11], v[0:1], v[0:1]
	v_div_scale_f64 v[22:23], s[4:5], v[10:11], v[10:11], 1.0
	v_rcp_f64_e32 v[24:25], v[22:23]
	v_fma_f64 v[20:21], 0, v[2:3], v[0:1]
	v_fma_f64 v[0:1], v[0:1], 0, -v[2:3]
	v_div_scale_f64 v[2:3], vcc, 1.0, v[10:11], 1.0
	v_fma_f64 v[26:27], -v[22:23], v[24:25], 1.0
	v_fmac_f64_e32 v[24:25], v[24:25], v[26:27]
	v_fma_f64 v[26:27], -v[22:23], v[24:25], 1.0
	v_fmac_f64_e32 v[24:25], v[24:25], v[26:27]
	v_mul_f64 v[26:27], v[2:3], v[24:25]
	v_fma_f64 v[2:3], -v[22:23], v[26:27], v[2:3]
	v_div_fmas_f64 v[2:3], v[2:3], v[24:25], v[26:27]
	v_div_fixup_f64 v[2:3], v[2:3], v[10:11], 1.0
	v_mul_f64 v[36:37], v[0:1], v[2:3]
	v_mul_f64 v[10:11], v[20:21], v[2:3]
	s_waitcnt vmcnt(3)
	v_mul_f64 v[24:25], v[36:37], -v[18:19]
	v_mul_f64 v[26:27], v[36:37], v[16:17]
	v_fmac_f64_e32 v[24:25], v[16:17], v[10:11]
	v_fmac_f64_e32 v[26:27], v[18:19], v[10:11]
	s_waitcnt vmcnt(2)
	v_mul_f64 v[20:21], v[36:37], -v[42:43]
	v_mul_f64 v[22:23], v[36:37], v[40:41]
	s_waitcnt vmcnt(0)
	v_mul_f64 v[16:17], v[36:37], -v[46:47]
	v_mul_f64 v[18:19], v[36:37], v[44:45]
	v_mul_f64 v[0:1], v[36:37], -v[50:51]
	v_mul_f64 v[2:3], v[36:37], v[48:49]
	v_fmac_f64_e32 v[20:21], v[40:41], v[10:11]
	v_fmac_f64_e32 v[22:23], v[42:43], v[10:11]
	;; [unrolled: 1-line block ×6, first 2 shown]
	global_store_dwordx4 v[52:53], v[24:27], off
	global_store_dwordx4 v[54:55], v[20:23], off
	;; [unrolled: 1-line block ×4, first 2 shown]
	s_and_saveexec_b64 s[4:5], s[0:1]
	s_cbranch_execz .LBB319_3
; %bb.19:                               ;   in Loop: Header=BB319_5 Depth=1
	v_add_u32_e32 v52, v64, v29
	v_add_u32_e32 v30, s28, v52
	v_lshl_add_u64 v[46:47], v[30:31], 4, s[8:9]
	v_add_u32_e32 v30, s29, v52
	global_load_dwordx4 v[38:41], v[46:47], off
	v_lshl_add_u64 v[48:49], v[30:31], 4, s[8:9]
	global_load_dwordx4 v[42:45], v[48:49], off
	v_add_u32_e32 v30, s30, v52
	v_lshl_add_u64 v[50:51], v[30:31], 4, s[8:9]
	v_add_u32_e32 v30, s31, v52
	v_lshl_add_u64 v[52:53], v[30:31], 4, s[8:9]
	s_waitcnt vmcnt(1)
	v_fma_f64 v[38:39], -v[4:5], v[24:25], v[38:39]
	v_fma_f64 v[24:25], -v[6:7], v[24:25], v[40:41]
	v_fmac_f64_e32 v[38:39], v[6:7], v[26:27]
	v_fma_f64 v[40:41], -v[4:5], v[26:27], v[24:25]
	s_waitcnt vmcnt(0)
	v_fma_f64 v[24:25], -v[4:5], v[20:21], v[42:43]
	v_fma_f64 v[20:21], -v[6:7], v[20:21], v[44:45]
	global_store_dwordx4 v[46:47], v[38:41], off
	v_fmac_f64_e32 v[24:25], v[6:7], v[22:23]
	v_fma_f64 v[26:27], -v[4:5], v[22:23], v[20:21]
	global_load_dwordx4 v[38:41], v[50:51], off
	s_nop 0
	global_store_dwordx4 v[48:49], v[24:27], off
	global_load_dwordx4 v[20:23], v[52:53], off
	s_waitcnt vmcnt(2)
	v_fma_f64 v[24:25], -v[4:5], v[16:17], v[38:39]
	v_fma_f64 v[16:17], -v[6:7], v[16:17], v[40:41]
	;; [unrolled: 1-line block ×3, first 2 shown]
	s_waitcnt vmcnt(0)
	v_fma_f64 v[16:17], -v[4:5], v[0:1], v[20:21]
	v_fma_f64 v[0:1], -v[6:7], v[0:1], v[22:23]
	v_fmac_f64_e32 v[24:25], v[6:7], v[18:19]
	v_fmac_f64_e32 v[16:17], v[6:7], v[2:3]
	v_fma_f64 v[18:19], -v[4:5], v[2:3], v[0:1]
	global_store_dwordx4 v[50:51], v[24:27], off
	global_store_dwordx4 v[52:53], v[16:19], off
	s_branch .LBB319_3
.LBB319_20:
	s_or_b64 exec, exec, s[18:19]
	s_branch .LBB319_22
.LBB319_21:
	v_mov_b32_e32 v29, 0
.LBB319_22:
	v_subrev_u32_e32 v2, s22, v29
	v_add_u32_e32 v0, v2, v28
	v_ashrrev_i32_e32 v1, 31, v0
	s_waitcnt lgkmcnt(0)
	v_lshl_add_u64 v[0:1], v[0:1], 2, s[6:7]
	buffer_wbl2 sc1
	s_waitcnt vmcnt(0)
	buffer_inv sc1
	global_load_dword v0, v[0:1], off
	s_waitcnt vmcnt(0)
	v_mul_lo_u32 v0, v0, s22
	v_sub_u32_e32 v8, v2, v0
	v_cmp_lt_i32_e32 vcc, -1, v8
	s_and_b64 exec, exec, vcc
	s_cbranch_execz .LBB319_29
; %bb.23:
	s_lshl_b32 s4, s24, 2
	s_add_i32 s5, s4, s23
	s_add_i32 s12, s5, s23
	;; [unrolled: 1-line block ×3, first 2 shown]
	s_lshl_b32 s14, s22, 1
	s_mov_b64 s[0:1], 0
	v_mov_b32_e32 v5, 0
	s_branch .LBB319_25
.LBB319_24:                             ;   in Loop: Header=BB319_25 Depth=1
	s_or_b64 exec, exec, s[2:3]
	v_sub_u32_e32 v8, v8, v4
	v_cmp_gt_i32_e32 vcc, 0, v8
	s_or_b64 s[0:1], vcc, s[0:1]
	s_andn2_b64 exec, exec, s[0:1]
	s_cbranch_execz .LBB319_29
.LBB319_25:                             ; =>This Inner Loop Header: Depth=1
	v_add_u32_e32 v6, v8, v28
	v_ashrrev_i32_e32 v7, 31, v6
	s_waitcnt vmcnt(0)
	v_lshl_add_u64 v[0:1], v[6:7], 2, s[6:7]
	global_load_dword v4, v[0:1], off
	v_lshl_add_u64 v[0:1], v[6:7], 4, s[10:11]
	global_load_dwordx4 v[0:3], v[0:1], off
	s_waitcnt vmcnt(1)
	v_cmp_ne_u32_e32 vcc, 1, v4
	s_and_saveexec_b64 s[2:3], vcc
	s_xor_b64 s[2:3], exec, s[2:3]
	s_cbranch_execz .LBB319_27
; %bb.26:                               ;   in Loop: Header=BB319_25 Depth=1
	v_add_u32_e32 v7, v64, v8
	v_add_u32_e32 v4, s4, v7
	v_lshl_add_u64 v[26:27], v[4:5], 4, s[8:9]
	v_add_u32_e32 v4, s5, v7
	v_lshl_add_u64 v[34:35], v[4:5], 4, s[8:9]
	;; [unrolled: 2-line block ×5, first 2 shown]
	global_load_dwordx4 v[10:13], v[40:41], off
	global_load_dwordx4 v[14:17], v[26:27], off
	;; [unrolled: 1-line block ×5, first 2 shown]
	v_add_u32_e32 v4, s5, v6
	v_lshl_add_u64 v[26:27], v[4:5], 4, s[8:9]
	v_add_u32_e32 v4, s12, v6
	v_lshl_add_u64 v[34:35], v[4:5], 4, s[8:9]
	;; [unrolled: 2-line block ×3, first 2 shown]
	v_subrev_u32_e32 v4, s22, v8
	s_waitcnt vmcnt(3)
	v_fma_f64 v[10:11], -v[0:1], v[14:15], v[10:11]
	v_fma_f64 v[12:13], -v[2:3], v[14:15], v[12:13]
	v_fmac_f64_e32 v[10:11], v[2:3], v[16:17]
	v_fma_f64 v[12:13], -v[0:1], v[16:17], v[12:13]
	global_store_dwordx4 v[40:41], v[10:13], off
	global_load_dwordx4 v[10:13], v[26:27], off
	s_waitcnt vmcnt(0)
	v_fma_f64 v[10:11], -v[0:1], v[18:19], v[10:11]
	v_fma_f64 v[12:13], -v[2:3], v[18:19], v[12:13]
	v_fmac_f64_e32 v[10:11], v[2:3], v[20:21]
	v_fma_f64 v[12:13], -v[0:1], v[20:21], v[12:13]
	global_store_dwordx4 v[26:27], v[10:13], off
	global_load_dwordx4 v[10:13], v[34:35], off
	v_add_u32_e32 v26, v4, v28
	v_ashrrev_i32_e32 v27, 31, v26
	v_add_u32_e32 v4, s4, v26
	v_lshl_add_u64 v[38:39], v[4:5], 4, s[8:9]
	v_add_u32_e32 v4, s5, v26
	s_waitcnt vmcnt(0)
	v_fma_f64 v[10:11], -v[0:1], v[22:23], v[10:11]
	v_fma_f64 v[12:13], -v[2:3], v[22:23], v[12:13]
	v_fmac_f64_e32 v[10:11], v[2:3], v[24:25]
	v_fma_f64 v[12:13], -v[0:1], v[24:25], v[12:13]
	global_store_dwordx4 v[34:35], v[10:13], off
	global_load_dwordx4 v[10:13], v[6:7], off
	v_lshl_add_u64 v[34:35], v[26:27], 4, s[10:11]
	global_load_dwordx4 v[34:37], v[34:35], off
	s_waitcnt vmcnt(1)
	v_fma_f64 v[10:11], -v[0:1], v[30:31], v[10:11]
	v_fma_f64 v[12:13], -v[2:3], v[30:31], v[12:13]
	v_fmac_f64_e32 v[10:11], v[2:3], v[32:33]
	v_fma_f64 v[12:13], -v[0:1], v[32:33], v[12:13]
	global_store_dwordx4 v[6:7], v[10:13], off
	global_load_dwordx4 v[0:3], v[38:39], off
	v_lshl_add_u64 v[6:7], v[4:5], 4, s[8:9]
	v_add_u32_e32 v4, s12, v26
	v_lshl_add_u64 v[10:11], v[4:5], 4, s[8:9]
	v_add_u32_e32 v4, s13, v26
	s_waitcnt vmcnt(0)
	v_fma_f64 v[0:1], -v[34:35], v[14:15], v[0:1]
	v_fma_f64 v[2:3], -v[36:37], v[14:15], v[2:3]
	v_fmac_f64_e32 v[0:1], v[36:37], v[16:17]
	v_fma_f64 v[2:3], -v[34:35], v[16:17], v[2:3]
	global_store_dwordx4 v[38:39], v[0:3], off
	global_load_dwordx4 v[0:3], v[6:7], off
	s_waitcnt vmcnt(0)
	v_fma_f64 v[0:1], -v[34:35], v[18:19], v[0:1]
	v_fma_f64 v[2:3], -v[36:37], v[18:19], v[2:3]
	v_fmac_f64_e32 v[0:1], v[36:37], v[20:21]
	v_fma_f64 v[2:3], -v[34:35], v[20:21], v[2:3]
	global_store_dwordx4 v[6:7], v[0:3], off
	global_load_dwordx4 v[0:3], v[10:11], off
	v_lshl_add_u64 v[6:7], v[4:5], 4, s[8:9]
	s_waitcnt vmcnt(0)
	v_fma_f64 v[0:1], -v[34:35], v[22:23], v[0:1]
	v_fma_f64 v[2:3], -v[36:37], v[22:23], v[2:3]
	v_fmac_f64_e32 v[0:1], v[36:37], v[24:25]
	v_fma_f64 v[2:3], -v[34:35], v[24:25], v[2:3]
	global_store_dwordx4 v[10:11], v[0:3], off
	global_load_dwordx4 v[0:3], v[6:7], off
	s_waitcnt vmcnt(0)
	v_fma_f64 v[0:1], -v[34:35], v[30:31], v[0:1]
	v_fma_f64 v[2:3], -v[36:37], v[30:31], v[2:3]
	v_fmac_f64_e32 v[0:1], v[36:37], v[32:33]
	v_fma_f64 v[2:3], -v[34:35], v[32:33], v[2:3]
	global_store_dwordx4 v[6:7], v[0:3], off
                                        ; implicit-def: $vgpr6
                                        ; implicit-def: $vgpr0_vgpr1
.LBB319_27:                             ;   in Loop: Header=BB319_25 Depth=1
	s_or_saveexec_b64 s[2:3], s[2:3]
	v_mov_b32_e32 v4, s14
	s_xor_b64 exec, exec, s[2:3]
	s_cbranch_execz .LBB319_24
; %bb.28:                               ;   in Loop: Header=BB319_25 Depth=1
	v_add_u32_e32 v7, v64, v8
	v_add_u32_e32 v4, s4, v7
	v_lshl_add_u64 v[18:19], v[4:5], 4, s[8:9]
	v_add_u32_e32 v4, s4, v6
	v_lshl_add_u64 v[20:21], v[4:5], 4, s[8:9]
	global_load_dwordx4 v[10:13], v[18:19], off
	global_load_dwordx4 v[14:17], v[20:21], off
	v_add_u32_e32 v4, s5, v7
	v_lshl_add_u64 v[18:19], v[4:5], 4, s[8:9]
	v_add_u32_e32 v4, s5, v6
	v_lshl_add_u64 v[22:23], v[4:5], 4, s[8:9]
	v_add_u32_e32 v4, s12, v7
	s_waitcnt vmcnt(0)
	v_fma_f64 v[14:15], -v[0:1], v[10:11], v[14:15]
	v_fma_f64 v[10:11], -v[2:3], v[10:11], v[16:17]
	v_fmac_f64_e32 v[14:15], v[2:3], v[12:13]
	v_fma_f64 v[16:17], -v[0:1], v[12:13], v[10:11]
	global_store_dwordx4 v[20:21], v[14:17], off
	global_load_dwordx4 v[10:13], v[18:19], off
	s_nop 0
	global_load_dwordx4 v[14:17], v[22:23], off
	v_lshl_add_u64 v[18:19], v[4:5], 4, s[8:9]
	v_add_u32_e32 v4, s12, v6
	v_lshl_add_u64 v[20:21], v[4:5], 4, s[8:9]
	v_add_u32_e32 v4, s13, v7
	s_waitcnt vmcnt(0)
	v_fma_f64 v[14:15], -v[0:1], v[10:11], v[14:15]
	v_fma_f64 v[10:11], -v[2:3], v[10:11], v[16:17]
	v_fmac_f64_e32 v[14:15], v[2:3], v[12:13]
	v_fma_f64 v[16:17], -v[0:1], v[12:13], v[10:11]
	global_store_dwordx4 v[22:23], v[14:17], off
	global_load_dwordx4 v[10:13], v[18:19], off
	s_nop 0
	global_load_dwordx4 v[14:17], v[20:21], off
	v_lshl_add_u64 v[18:19], v[4:5], 4, s[8:9]
	v_add_u32_e32 v4, s13, v6
	v_lshl_add_u64 v[6:7], v[4:5], 4, s[8:9]
	v_mov_b32_e32 v4, s22
	s_waitcnt vmcnt(0)
	v_fma_f64 v[14:15], -v[0:1], v[10:11], v[14:15]
	v_fma_f64 v[10:11], -v[2:3], v[10:11], v[16:17]
	v_fmac_f64_e32 v[14:15], v[2:3], v[12:13]
	v_fma_f64 v[16:17], -v[0:1], v[12:13], v[10:11]
	global_store_dwordx4 v[20:21], v[14:17], off
	global_load_dwordx4 v[10:13], v[18:19], off
	s_nop 0
	global_load_dwordx4 v[14:17], v[6:7], off
	s_waitcnt vmcnt(0)
	v_fma_f64 v[14:15], -v[0:1], v[10:11], v[14:15]
	v_fma_f64 v[10:11], -v[2:3], v[10:11], v[16:17]
	v_fmac_f64_e32 v[14:15], v[2:3], v[12:13]
	v_fma_f64 v[16:17], -v[0:1], v[12:13], v[10:11]
	global_store_dwordx4 v[6:7], v[14:17], off
	s_branch .LBB319_24
.LBB319_29:
	s_endpgm
	.section	.rodata,"a",@progbits
	.p2align	6, 0x0
	.amdhsa_kernel _ZN9rocsparseL19gtsv_LBM_rhs_kernelILj256ELj32ELj4E21rocsparse_complex_numIdEEEviiiPKT2_S5_S5_PS3_S5_PKi
		.amdhsa_group_segment_fixed_size 0
		.amdhsa_private_segment_fixed_size 0
		.amdhsa_kernarg_size 64
		.amdhsa_user_sgpr_count 2
		.amdhsa_user_sgpr_dispatch_ptr 0
		.amdhsa_user_sgpr_queue_ptr 0
		.amdhsa_user_sgpr_kernarg_segment_ptr 1
		.amdhsa_user_sgpr_dispatch_id 0
		.amdhsa_user_sgpr_kernarg_preload_length 0
		.amdhsa_user_sgpr_kernarg_preload_offset 0
		.amdhsa_user_sgpr_private_segment_size 0
		.amdhsa_uses_dynamic_stack 0
		.amdhsa_enable_private_segment 0
		.amdhsa_system_sgpr_workgroup_id_x 1
		.amdhsa_system_sgpr_workgroup_id_y 1
		.amdhsa_system_sgpr_workgroup_id_z 0
		.amdhsa_system_sgpr_workgroup_info 0
		.amdhsa_system_vgpr_workitem_id 0
		.amdhsa_next_free_vgpr 98
		.amdhsa_next_free_sgpr 32
		.amdhsa_accum_offset 100
		.amdhsa_reserve_vcc 1
		.amdhsa_float_round_mode_32 0
		.amdhsa_float_round_mode_16_64 0
		.amdhsa_float_denorm_mode_32 3
		.amdhsa_float_denorm_mode_16_64 3
		.amdhsa_dx10_clamp 1
		.amdhsa_ieee_mode 1
		.amdhsa_fp16_overflow 0
		.amdhsa_tg_split 0
		.amdhsa_exception_fp_ieee_invalid_op 0
		.amdhsa_exception_fp_denorm_src 0
		.amdhsa_exception_fp_ieee_div_zero 0
		.amdhsa_exception_fp_ieee_overflow 0
		.amdhsa_exception_fp_ieee_underflow 0
		.amdhsa_exception_fp_ieee_inexact 0
		.amdhsa_exception_int_div_zero 0
	.end_amdhsa_kernel
	.section	.text._ZN9rocsparseL19gtsv_LBM_rhs_kernelILj256ELj32ELj4E21rocsparse_complex_numIdEEEviiiPKT2_S5_S5_PS3_S5_PKi,"axG",@progbits,_ZN9rocsparseL19gtsv_LBM_rhs_kernelILj256ELj32ELj4E21rocsparse_complex_numIdEEEviiiPKT2_S5_S5_PS3_S5_PKi,comdat
.Lfunc_end319:
	.size	_ZN9rocsparseL19gtsv_LBM_rhs_kernelILj256ELj32ELj4E21rocsparse_complex_numIdEEEviiiPKT2_S5_S5_PS3_S5_PKi, .Lfunc_end319-_ZN9rocsparseL19gtsv_LBM_rhs_kernelILj256ELj32ELj4E21rocsparse_complex_numIdEEEviiiPKT2_S5_S5_PS3_S5_PKi
                                        ; -- End function
	.set _ZN9rocsparseL19gtsv_LBM_rhs_kernelILj256ELj32ELj4E21rocsparse_complex_numIdEEEviiiPKT2_S5_S5_PS3_S5_PKi.num_vgpr, 98
	.set _ZN9rocsparseL19gtsv_LBM_rhs_kernelILj256ELj32ELj4E21rocsparse_complex_numIdEEEviiiPKT2_S5_S5_PS3_S5_PKi.num_agpr, 0
	.set _ZN9rocsparseL19gtsv_LBM_rhs_kernelILj256ELj32ELj4E21rocsparse_complex_numIdEEEviiiPKT2_S5_S5_PS3_S5_PKi.numbered_sgpr, 32
	.set _ZN9rocsparseL19gtsv_LBM_rhs_kernelILj256ELj32ELj4E21rocsparse_complex_numIdEEEviiiPKT2_S5_S5_PS3_S5_PKi.num_named_barrier, 0
	.set _ZN9rocsparseL19gtsv_LBM_rhs_kernelILj256ELj32ELj4E21rocsparse_complex_numIdEEEviiiPKT2_S5_S5_PS3_S5_PKi.private_seg_size, 0
	.set _ZN9rocsparseL19gtsv_LBM_rhs_kernelILj256ELj32ELj4E21rocsparse_complex_numIdEEEviiiPKT2_S5_S5_PS3_S5_PKi.uses_vcc, 1
	.set _ZN9rocsparseL19gtsv_LBM_rhs_kernelILj256ELj32ELj4E21rocsparse_complex_numIdEEEviiiPKT2_S5_S5_PS3_S5_PKi.uses_flat_scratch, 0
	.set _ZN9rocsparseL19gtsv_LBM_rhs_kernelILj256ELj32ELj4E21rocsparse_complex_numIdEEEviiiPKT2_S5_S5_PS3_S5_PKi.has_dyn_sized_stack, 0
	.set _ZN9rocsparseL19gtsv_LBM_rhs_kernelILj256ELj32ELj4E21rocsparse_complex_numIdEEEviiiPKT2_S5_S5_PS3_S5_PKi.has_recursion, 0
	.set _ZN9rocsparseL19gtsv_LBM_rhs_kernelILj256ELj32ELj4E21rocsparse_complex_numIdEEEviiiPKT2_S5_S5_PS3_S5_PKi.has_indirect_call, 0
	.section	.AMDGPU.csdata,"",@progbits
; Kernel info:
; codeLenInByte = 4168
; TotalNumSgprs: 38
; NumVgprs: 98
; NumAgprs: 0
; TotalNumVgprs: 98
; ScratchSize: 0
; MemoryBound: 1
; FloatMode: 240
; IeeeMode: 1
; LDSByteSize: 0 bytes/workgroup (compile time only)
; SGPRBlocks: 4
; VGPRBlocks: 12
; NumSGPRsForWavesPerEU: 38
; NumVGPRsForWavesPerEU: 98
; AccumOffset: 100
; Occupancy: 4
; WaveLimiterHint : 0
; COMPUTE_PGM_RSRC2:SCRATCH_EN: 0
; COMPUTE_PGM_RSRC2:USER_SGPR: 2
; COMPUTE_PGM_RSRC2:TRAP_HANDLER: 0
; COMPUTE_PGM_RSRC2:TGID_X_EN: 1
; COMPUTE_PGM_RSRC2:TGID_Y_EN: 1
; COMPUTE_PGM_RSRC2:TGID_Z_EN: 0
; COMPUTE_PGM_RSRC2:TIDIG_COMP_CNT: 0
; COMPUTE_PGM_RSRC3_GFX90A:ACCUM_OFFSET: 24
; COMPUTE_PGM_RSRC3_GFX90A:TG_SPLIT: 0
	.section	.text._ZN9rocsparseL19gtsv_LBM_rhs_kernelILj256ELj32ELj2E21rocsparse_complex_numIdEEEviiiPKT2_S5_S5_PS3_S5_PKi,"axG",@progbits,_ZN9rocsparseL19gtsv_LBM_rhs_kernelILj256ELj32ELj2E21rocsparse_complex_numIdEEEviiiPKT2_S5_S5_PS3_S5_PKi,comdat
	.globl	_ZN9rocsparseL19gtsv_LBM_rhs_kernelILj256ELj32ELj2E21rocsparse_complex_numIdEEEviiiPKT2_S5_S5_PS3_S5_PKi ; -- Begin function _ZN9rocsparseL19gtsv_LBM_rhs_kernelILj256ELj32ELj2E21rocsparse_complex_numIdEEEviiiPKT2_S5_S5_PS3_S5_PKi
	.p2align	8
	.type	_ZN9rocsparseL19gtsv_LBM_rhs_kernelILj256ELj32ELj2E21rocsparse_complex_numIdEEEviiiPKT2_S5_S5_PS3_S5_PKi,@function
_ZN9rocsparseL19gtsv_LBM_rhs_kernelILj256ELj32ELj2E21rocsparse_complex_numIdEEEviiiPKT2_S5_S5_PS3_S5_PKi: ; @_ZN9rocsparseL19gtsv_LBM_rhs_kernelILj256ELj32ELj2E21rocsparse_complex_numIdEEEviiiPKT2_S5_S5_PS3_S5_PKi
; %bb.0:
	s_load_dword s23, s[0:1], 0x0
	v_lshl_or_b32 v24, s2, 8, v0
	s_waitcnt lgkmcnt(0)
	s_lshr_b32 s22, s23, 5
	v_cmp_gt_i32_e32 vcc, s22, v24
	s_and_saveexec_b64 s[4:5], vcc
	s_cbranch_execz .LBB320_29
; %bb.1:
	s_load_dwordx4 s[8:11], s[0:1], 0x28
	s_load_dwordx2 s[6:7], s[0:1], 0x38
	s_cmp_lt_i32 s23, 1
	v_add_u32_e32 v58, s22, v24
	s_mul_i32 s24, s3, s23
	s_cbranch_scc1 .LBB320_21
; %bb.2:
	s_load_dwordx4 s[12:15], s[0:1], 0x10
	s_load_dwordx2 s[16:17], s[0:1], 0x20
	v_ashrrev_i32_e32 v25, 31, v24
	s_lshl_b32 s28, s24, 1
	s_mul_i32 s25, s22, 31
	s_waitcnt lgkmcnt(0)
	v_lshl_add_u64 v[0:1], v[24:25], 4, s[14:15]
	global_load_dwordx4 v[4:7], v[0:1], off
	s_mul_i32 s26, s22, 30
	s_lshl_b32 s27, s22, 1
	v_add_u32_e32 v59, s22, v58
	s_add_i32 s29, s28, s23
	v_mov_b32_e32 v27, 0
	s_mov_b64 s[18:19], 0
	v_mov_b32_e32 v25, 0
	s_branch .LBB320_5
.LBB320_3:                              ;   in Loop: Header=BB320_5 Depth=1
	s_or_b64 exec, exec, s[4:5]
	v_fmac_f64_e32 v[30:31], v[0:1], v[8:9]
	v_fmac_f64_e32 v[28:29], v[2:3], v[8:9]
	v_mul_f64 v[0:1], v[20:21], -v[28:29]
	v_mul_f64 v[2:3], v[20:21], v[30:31]
	v_fmac_f64_e32 v[0:1], v[30:31], v[10:11]
	v_fmac_f64_e32 v[2:3], v[28:29], v[10:11]
	v_add_f64 v[4:5], v[12:13], -v[0:1]
	v_add_f64 v[6:7], v[14:15], -v[2:3]
	v_mov_b32_e32 v10, s22
.LBB320_4:                              ;   in Loop: Header=BB320_5 Depth=1
	s_or_b64 exec, exec, s[2:3]
	v_add_u32_e32 v25, v10, v25
	v_cmp_le_i32_e32 vcc, s23, v25
	s_or_b64 s[18:19], vcc, s[18:19]
	s_andn2_b64 exec, exec, s[18:19]
	s_cbranch_execz .LBB320_20
.LBB320_5:                              ; =>This Inner Loop Header: Depth=1
	v_add_u32_e32 v32, v25, v24
	v_ashrrev_i32_e32 v33, 31, v32
	v_lshl_add_u64 v[0:1], v[32:33], 4, s[16:17]
	global_load_dwordx4 v[8:11], v[0:1], off
	v_cmp_gt_u32_e64 s[0:1], s25, v25
	v_mov_b64_e32 v[12:13], 0
	v_mov_b64_e32 v[0:1], 0
	;; [unrolled: 1-line block ×3, first 2 shown]
	s_and_saveexec_b64 s[2:3], s[0:1]
	s_cbranch_execz .LBB320_7
; %bb.6:                                ;   in Loop: Header=BB320_5 Depth=1
	v_add_u32_e32 v0, v58, v25
	v_ashrrev_i32_e32 v1, 31, v0
	v_lshl_add_u64 v[0:1], v[0:1], 4, s[12:13]
	global_load_dwordx4 v[0:3], v[0:1], off
.LBB320_7:                              ;   in Loop: Header=BB320_5 Depth=1
	s_or_b64 exec, exec, s[2:3]
	v_mov_b64_e32 v[14:15], 0
	s_and_saveexec_b64 s[2:3], s[0:1]
	s_cbranch_execz .LBB320_9
; %bb.8:                                ;   in Loop: Header=BB320_5 Depth=1
	v_add_u32_e32 v12, v58, v25
	v_ashrrev_i32_e32 v13, 31, v12
	v_lshl_add_u64 v[12:13], v[12:13], 4, s[14:15]
	global_load_dwordx4 v[12:15], v[12:13], off
.LBB320_9:                              ;   in Loop: Header=BB320_5 Depth=1
	s_or_b64 exec, exec, s[2:3]
	v_mov_b64_e32 v[20:21], 0
	v_mov_b64_e32 v[16:17], 0
	v_mov_b64_e32 v[18:19], 0
	s_and_saveexec_b64 s[2:3], s[0:1]
	s_cbranch_execz .LBB320_11
; %bb.10:                               ;   in Loop: Header=BB320_5 Depth=1
	v_add_u32_e32 v16, v58, v25
	v_ashrrev_i32_e32 v17, 31, v16
	v_lshl_add_u64 v[16:17], v[16:17], 4, s[16:17]
	global_load_dwordx4 v[16:19], v[16:17], off
.LBB320_11:                             ;   in Loop: Header=BB320_5 Depth=1
	s_or_b64 exec, exec, s[2:3]
	v_cmp_gt_u32_e64 s[2:3], s26, v25
	v_mov_b64_e32 v[22:23], 0
	s_and_saveexec_b64 s[4:5], s[2:3]
	s_cbranch_execz .LBB320_13
; %bb.12:                               ;   in Loop: Header=BB320_5 Depth=1
	v_add_u32_e32 v20, v59, v25
	v_ashrrev_i32_e32 v21, 31, v20
	v_lshl_add_u64 v[20:21], v[20:21], 4, s[12:13]
	global_load_dwordx4 v[20:23], v[20:21], off
.LBB320_13:                             ;   in Loop: Header=BB320_5 Depth=1
	s_or_b64 exec, exec, s[4:5]
	v_lshl_add_u64 v[28:29], v[32:33], 2, s[6:7]
	global_load_dword v33, v[28:29], off
	v_cmp_ne_u32_e32 vcc, s25, v25
	s_waitcnt vmcnt(1)
	v_mul_f64 v[30:31], v[10:11], -v[2:3]
	v_mul_f64 v[28:29], v[10:11], v[0:1]
	v_add_u32_e32 v26, s28, v32
	v_add_u32_e32 v32, s29, v32
	s_waitcnt vmcnt(0)
	v_cmp_ne_u32_e64 s[4:5], 1, v33
	s_and_b64 s[4:5], vcc, s[4:5]
	s_and_saveexec_b64 s[20:21], s[4:5]
	s_xor_b64 s[4:5], exec, s[20:21]
	s_cbranch_execz .LBB320_17
; %bb.14:                               ;   in Loop: Header=BB320_5 Depth=1
	v_mov_b32_e32 v33, v27
	v_lshl_add_u64 v[38:39], v[26:27], 4, s[8:9]
	v_lshl_add_u64 v[34:35], v[32:33], 4, s[8:9]
	v_add_u32_e32 v32, v58, v25
	global_load_dwordx4 v[42:45], v[38:39], off
	v_add_u32_e32 v26, s28, v32
	global_load_dwordx4 v[52:55], v[34:35], off
	v_lshl_add_u64 v[36:37], v[26:27], 4, s[8:9]
	global_load_dwordx4 v[60:63], v[36:37], off
	v_add_u32_e32 v26, s29, v32
	v_lshl_add_u64 v[32:33], v[26:27], 4, s[8:9]
	global_load_dwordx4 v[64:67], v[32:33], off
	v_mul_f64 v[46:47], v[4:5], v[14:15]
	v_mul_f64 v[40:41], v[14:15], -v[6:7]
	v_fmac_f64_e32 v[28:29], v[2:3], v[8:9]
	v_fmac_f64_e32 v[46:47], v[6:7], v[12:13]
	;; [unrolled: 1-line block ×4, first 2 shown]
	v_add_f64 v[28:29], v[46:47], -v[28:29]
	v_add_f64 v[30:31], v[40:41], -v[30:31]
	v_mul_f64 v[40:41], v[28:29], v[28:29]
	v_fmac_f64_e32 v[40:41], v[30:31], v[30:31]
	v_div_scale_f64 v[48:49], s[20:21], v[40:41], v[40:41], 1.0
	v_rcp_f64_e32 v[50:51], v[48:49]
	v_fma_f64 v[46:47], 0, v[28:29], v[30:31]
	v_fma_f64 v[30:31], v[30:31], 0, -v[28:29]
	v_div_scale_f64 v[28:29], vcc, 1.0, v[40:41], 1.0
	v_fma_f64 v[68:69], -v[48:49], v[50:51], 1.0
	v_fmac_f64_e32 v[50:51], v[50:51], v[68:69]
	v_fma_f64 v[68:69], -v[48:49], v[50:51], 1.0
	v_fmac_f64_e32 v[50:51], v[50:51], v[68:69]
	v_mul_f64 v[68:69], v[28:29], v[50:51]
	v_fma_f64 v[28:29], -v[48:49], v[68:69], v[28:29]
	v_div_fmas_f64 v[28:29], v[28:29], v[50:51], v[68:69]
	v_div_fixup_f64 v[40:41], v[28:29], v[40:41], 1.0
	v_mul_f64 v[30:31], v[30:31], v[40:41]
	v_mul_f64 v[28:29], v[46:47], v[40:41]
	v_mov_b64_e32 v[56:57], 0
	s_waitcnt vmcnt(3)
	v_mul_f64 v[40:41], v[30:31], -v[44:45]
	v_mul_f64 v[48:49], v[30:31], v[42:43]
	v_fmac_f64_e32 v[40:41], v[42:43], v[28:29]
	s_waitcnt vmcnt(2)
	v_mul_f64 v[42:43], v[30:31], -v[54:55]
	v_mul_f64 v[50:51], v[30:31], v[52:53]
	v_fmac_f64_e32 v[48:49], v[44:45], v[28:29]
	v_fmac_f64_e32 v[42:43], v[52:53], v[28:29]
	;; [unrolled: 1-line block ×3, first 2 shown]
	s_waitcnt vmcnt(1)
	v_mul_f64 v[44:45], v[30:31], -v[62:63]
	v_mul_f64 v[52:53], v[30:31], v[60:61]
	v_mul_f64 v[68:69], v[48:49], -v[14:15]
	v_fmac_f64_e32 v[44:45], v[60:61], v[28:29]
	v_fmac_f64_e32 v[52:53], v[62:63], v[28:29]
	v_mul_f64 v[60:61], v[50:51], -v[14:15]
	v_mul_f64 v[70:71], v[12:13], v[48:49]
	s_waitcnt vmcnt(0)
	v_mul_f64 v[54:55], v[30:31], v[64:65]
	v_fmac_f64_e32 v[68:69], v[12:13], v[40:41]
	v_mul_f64 v[62:63], v[12:13], v[50:51]
	v_fmac_f64_e32 v[60:61], v[12:13], v[42:43]
	v_mul_f64 v[12:13], v[52:53], -v[10:11]
	v_mul_f64 v[46:47], v[30:31], -v[66:67]
	v_fmac_f64_e32 v[70:71], v[14:15], v[40:41]
	v_fmac_f64_e32 v[54:55], v[66:67], v[28:29]
	;; [unrolled: 1-line block ×3, first 2 shown]
	v_mul_f64 v[14:15], v[8:9], v[52:53]
	v_fmac_f64_e32 v[12:13], v[8:9], v[44:45]
	v_mul_f64 v[72:73], v[2:3], v[48:49]
	v_mul_f64 v[74:75], v[48:49], -v[0:1]
	v_fmac_f64_e32 v[46:47], v[64:65], v[28:29]
	v_mul_f64 v[64:65], v[52:53], -v[6:7]
	v_mul_f64 v[66:67], v[4:5], v[52:53]
	v_fmac_f64_e32 v[14:15], v[10:11], v[44:45]
	v_mul_f64 v[76:77], v[54:55], -v[10:11]
	v_add_f64 v[12:13], v[68:69], -v[12:13]
	v_mul_f64 v[68:69], v[8:9], v[54:55]
	v_fma_f64 v[72:73], -v[0:1], v[40:41], v[72:73]
	v_fma_f64 v[74:75], -v[2:3], v[40:41], v[74:75]
	v_add_f64 v[14:15], v[70:71], -v[14:15]
	v_fmac_f64_e32 v[64:65], v[4:5], v[44:45]
	v_fmac_f64_e32 v[66:67], v[6:7], v[44:45]
	;; [unrolled: 1-line block ×4, first 2 shown]
	v_add_f64 v[8:9], v[72:73], v[64:65]
	v_add_f64 v[10:11], v[74:75], v[66:67]
	global_store_dwordx4 v[38:39], v[12:15], off
	s_nop 1
	v_add_f64 v[12:13], v[60:61], -v[76:77]
	v_add_f64 v[14:15], v[62:63], -v[68:69]
	global_store_dwordx4 v[34:35], v[12:15], off
	global_store_dwordx4 v[36:37], v[8:11], off
	s_nop 0
	v_mul_f64 v[12:13], v[54:55], -v[6:7]
	v_mul_f64 v[8:9], v[2:3], v[50:51]
	v_mul_f64 v[10:11], v[50:51], -v[0:1]
	v_mul_f64 v[14:15], v[4:5], v[54:55]
	v_fma_f64 v[8:9], -v[0:1], v[42:43], v[8:9]
	v_fma_f64 v[10:11], -v[2:3], v[42:43], v[10:11]
	v_fmac_f64_e32 v[12:13], v[4:5], v[46:47]
	v_fmac_f64_e32 v[14:15], v[6:7], v[46:47]
	v_add_f64 v[8:9], v[8:9], v[12:13]
	v_add_f64 v[10:11], v[10:11], v[14:15]
	global_store_dwordx4 v[32:33], v[8:11], off
	s_nop 1
	v_mov_b64_e32 v[8:9], 0
	s_and_saveexec_b64 s[20:21], s[2:3]
	s_cbranch_execz .LBB320_16
; %bb.15:                               ;   in Loop: Header=BB320_5 Depth=1
	v_add_u32_e32 v12, v59, v25
	v_add_u32_e32 v26, s28, v12
	v_lshl_add_u64 v[36:37], v[26:27], 4, s[8:9]
	v_add_u32_e32 v26, s29, v12
	v_ashrrev_i32_e32 v13, 31, v12
	global_load_dwordx4 v[8:11], v[36:37], off
	v_lshl_add_u64 v[12:13], v[12:13], 4, s[14:15]
	v_lshl_add_u64 v[38:39], v[26:27], 4, s[8:9]
	global_load_dwordx4 v[12:15], v[12:13], off
	v_mul_f64 v[56:57], v[2:3], v[22:23]
	global_load_dwordx4 v[32:35], v[38:39], off
	v_mul_f64 v[60:61], v[22:23], -v[0:1]
	v_mul_f64 v[62:63], v[22:23], -v[6:7]
	v_mul_f64 v[64:65], v[4:5], v[22:23]
	v_mul_f64 v[66:67], v[6:7], -v[22:23]
	v_mul_f64 v[68:69], v[6:7], v[20:21]
	v_fma_f64 v[0:1], -v[0:1], v[20:21], v[56:57]
	v_fma_f64 v[2:3], -v[2:3], v[20:21], v[60:61]
	v_fmac_f64_e32 v[62:63], v[4:5], v[20:21]
	v_fmac_f64_e32 v[64:65], v[6:7], v[20:21]
	;; [unrolled: 1-line block ×4, first 2 shown]
	v_mul_f64 v[4:5], v[2:3], v[48:49]
	v_mul_f64 v[6:7], v[48:49], -v[0:1]
	v_mul_f64 v[20:21], v[52:53], -v[64:65]
	v_mul_f64 v[22:23], v[62:63], v[52:53]
	v_mul_f64 v[56:57], v[18:19], -v[68:69]
	v_mul_f64 v[18:19], v[18:19], v[66:67]
	v_mul_f64 v[48:49], v[2:3], v[50:51]
	v_mul_f64 v[50:51], v[50:51], -v[0:1]
	v_mul_f64 v[52:53], v[54:55], -v[64:65]
	v_mul_f64 v[54:55], v[62:63], v[54:55]
	v_fma_f64 v[4:5], -v[0:1], v[40:41], v[4:5]
	v_fma_f64 v[6:7], -v[2:3], v[40:41], v[6:7]
	v_fmac_f64_e32 v[20:21], v[62:63], v[44:45]
	v_fmac_f64_e32 v[22:23], v[64:65], v[44:45]
	v_fmac_f64_e32 v[56:57], v[66:67], v[16:17]
	v_fmac_f64_e32 v[18:19], v[68:69], v[16:17]
	v_fma_f64 v[0:1], -v[0:1], v[42:43], v[48:49]
	v_fma_f64 v[2:3], -v[2:3], v[42:43], v[50:51]
	v_fmac_f64_e32 v[52:53], v[62:63], v[46:47]
	v_fmac_f64_e32 v[54:55], v[64:65], v[46:47]
	v_add_f64 v[4:5], v[4:5], -v[20:21]
	v_add_f64 v[6:7], v[6:7], -v[22:23]
	v_mul_f64 v[22:23], v[30:31], -v[18:19]
	v_mul_f64 v[30:31], v[30:31], v[56:57]
	v_add_f64 v[16:17], v[0:1], -v[52:53]
	v_add_f64 v[20:21], v[2:3], -v[54:55]
	v_fmac_f64_e32 v[22:23], v[56:57], v[28:29]
	v_fmac_f64_e32 v[30:31], v[18:19], v[28:29]
	s_waitcnt vmcnt(2)
	v_add_f64 v[0:1], v[4:5], v[8:9]
	v_add_f64 v[2:3], v[6:7], v[10:11]
	global_store_dwordx4 v[36:37], v[0:3], off
	s_waitcnt vmcnt(2)
	v_add_f64 v[8:9], v[12:13], -v[22:23]
	v_add_f64 v[56:57], v[14:15], -v[30:31]
	s_waitcnt vmcnt(1)
	v_add_f64 v[0:1], v[16:17], v[32:33]
	v_add_f64 v[2:3], v[20:21], v[34:35]
	global_store_dwordx4 v[38:39], v[0:3], off
.LBB320_16:                             ;   in Loop: Header=BB320_5 Depth=1
	s_or_b64 exec, exec, s[20:21]
	v_mov_b64_e32 v[6:7], v[56:57]
	v_mov_b64_e32 v[4:5], v[8:9]
                                        ; implicit-def: $vgpr0_vgpr1
                                        ; implicit-def: $vgpr12_vgpr13
                                        ; implicit-def: $vgpr8_vgpr9
                                        ; implicit-def: $vgpr30_vgpr31
                                        ; implicit-def: $vgpr28_vgpr29
                                        ; implicit-def: $vgpr32
.LBB320_17:                             ;   in Loop: Header=BB320_5 Depth=1
	s_or_saveexec_b64 s[2:3], s[4:5]
	v_mov_b32_e32 v10, s27
	s_xor_b64 exec, exec, s[2:3]
	s_cbranch_execz .LBB320_4
; %bb.18:                               ;   in Loop: Header=BB320_5 Depth=1
	v_mov_b32_e32 v33, v27
	v_lshl_add_u64 v[22:23], v[26:27], 4, s[8:9]
	v_lshl_add_u64 v[32:33], v[32:33], 4, s[8:9]
	global_load_dwordx4 v[34:37], v[22:23], off
	global_load_dwordx4 v[38:41], v[32:33], off
	v_mul_f64 v[10:11], v[6:7], v[6:7]
	v_fmac_f64_e32 v[10:11], v[4:5], v[4:5]
	v_div_scale_f64 v[18:19], s[4:5], v[10:11], v[10:11], 1.0
	v_rcp_f64_e32 v[20:21], v[18:19]
	v_fma_f64 v[16:17], 0, v[6:7], v[4:5]
	v_fma_f64 v[4:5], v[4:5], 0, -v[6:7]
	v_div_scale_f64 v[6:7], vcc, 1.0, v[10:11], 1.0
	v_fma_f64 v[42:43], -v[18:19], v[20:21], 1.0
	v_fmac_f64_e32 v[20:21], v[20:21], v[42:43]
	v_fma_f64 v[42:43], -v[18:19], v[20:21], 1.0
	v_fmac_f64_e32 v[20:21], v[20:21], v[42:43]
	v_mul_f64 v[42:43], v[6:7], v[20:21]
	v_fma_f64 v[6:7], -v[18:19], v[42:43], v[6:7]
	v_div_fmas_f64 v[6:7], v[6:7], v[20:21], v[42:43]
	v_div_fixup_f64 v[6:7], v[6:7], v[10:11], 1.0
	v_mul_f64 v[20:21], v[4:5], v[6:7]
	v_mul_f64 v[10:11], v[16:17], v[6:7]
	s_waitcnt vmcnt(1)
	v_mul_f64 v[16:17], v[20:21], -v[36:37]
	v_mul_f64 v[18:19], v[20:21], v[34:35]
	s_waitcnt vmcnt(0)
	v_mul_f64 v[4:5], v[20:21], -v[40:41]
	v_mul_f64 v[6:7], v[20:21], v[38:39]
	v_fmac_f64_e32 v[16:17], v[34:35], v[10:11]
	v_fmac_f64_e32 v[18:19], v[36:37], v[10:11]
	;; [unrolled: 1-line block ×4, first 2 shown]
	global_store_dwordx4 v[22:23], v[16:19], off
	global_store_dwordx4 v[32:33], v[4:7], off
	s_and_saveexec_b64 s[4:5], s[0:1]
	s_cbranch_execz .LBB320_3
; %bb.19:                               ;   in Loop: Header=BB320_5 Depth=1
	v_add_u32_e32 v36, v58, v25
	v_add_u32_e32 v26, s28, v36
	v_lshl_add_u64 v[22:23], v[26:27], 4, s[8:9]
	v_add_u32_e32 v26, s29, v36
	global_load_dwordx4 v[32:35], v[22:23], off
	v_lshl_add_u64 v[40:41], v[26:27], 4, s[8:9]
	global_load_dwordx4 v[36:39], v[40:41], off
	s_waitcnt vmcnt(1)
	v_fma_f64 v[32:33], -v[0:1], v[16:17], v[32:33]
	v_fma_f64 v[16:17], -v[2:3], v[16:17], v[34:35]
	v_fma_f64 v[34:35], -v[0:1], v[18:19], v[16:17]
	s_waitcnt vmcnt(0)
	v_fma_f64 v[16:17], -v[0:1], v[4:5], v[36:37]
	v_fma_f64 v[4:5], -v[2:3], v[4:5], v[38:39]
	v_fmac_f64_e32 v[32:33], v[2:3], v[18:19]
	v_fmac_f64_e32 v[16:17], v[2:3], v[6:7]
	v_fma_f64 v[18:19], -v[0:1], v[6:7], v[4:5]
	global_store_dwordx4 v[22:23], v[32:35], off
	global_store_dwordx4 v[40:41], v[16:19], off
	s_branch .LBB320_3
.LBB320_20:
	s_or_b64 exec, exec, s[18:19]
	s_branch .LBB320_22
.LBB320_21:
	v_mov_b32_e32 v25, 0
.LBB320_22:
	v_subrev_u32_e32 v2, s22, v25
	v_add_u32_e32 v0, v2, v24
	v_ashrrev_i32_e32 v1, 31, v0
	s_waitcnt lgkmcnt(0)
	v_lshl_add_u64 v[0:1], v[0:1], 2, s[6:7]
	buffer_wbl2 sc1
	s_waitcnt vmcnt(0)
	buffer_inv sc1
	global_load_dword v0, v[0:1], off
	s_waitcnt vmcnt(0)
	v_mul_lo_u32 v0, v0, s22
	v_sub_u32_e32 v8, v2, v0
	v_cmp_lt_i32_e32 vcc, -1, v8
	s_and_b64 exec, exec, vcc
	s_cbranch_execz .LBB320_29
; %bb.23:
	s_lshl_b32 s4, s24, 1
	s_add_i32 s5, s4, s23
	s_lshl_b32 s12, s22, 1
	s_mov_b64 s[0:1], 0
	v_mov_b32_e32 v5, 0
	s_branch .LBB320_25
.LBB320_24:                             ;   in Loop: Header=BB320_25 Depth=1
	s_or_b64 exec, exec, s[2:3]
	v_sub_u32_e32 v8, v8, v4
	v_cmp_gt_i32_e32 vcc, 0, v8
	s_or_b64 s[0:1], vcc, s[0:1]
	s_andn2_b64 exec, exec, s[0:1]
	s_cbranch_execz .LBB320_29
.LBB320_25:                             ; =>This Inner Loop Header: Depth=1
	v_add_u32_e32 v6, v8, v24
	v_ashrrev_i32_e32 v7, 31, v6
	s_waitcnt vmcnt(0)
	v_lshl_add_u64 v[0:1], v[6:7], 2, s[6:7]
	global_load_dword v4, v[0:1], off
	v_lshl_add_u64 v[0:1], v[6:7], 4, s[10:11]
	global_load_dwordx4 v[0:3], v[0:1], off
	s_waitcnt vmcnt(1)
	v_cmp_ne_u32_e32 vcc, 1, v4
	s_and_saveexec_b64 s[2:3], vcc
	s_xor_b64 s[2:3], exec, s[2:3]
	s_cbranch_execz .LBB320_27
; %bb.26:                               ;   in Loop: Header=BB320_25 Depth=1
	v_add_u32_e32 v7, v58, v8
	v_add_u32_e32 v4, s4, v7
	v_lshl_add_u64 v[22:23], v[4:5], 4, s[8:9]
	v_add_u32_e32 v4, s5, v7
	v_lshl_add_u64 v[26:27], v[4:5], 4, s[8:9]
	;; [unrolled: 2-line block ×3, first 2 shown]
	global_load_dwordx4 v[10:13], v[28:29], off
	global_load_dwordx4 v[14:17], v[22:23], off
	;; [unrolled: 1-line block ×3, first 2 shown]
	v_add_u32_e32 v4, s5, v6
	v_lshl_add_u64 v[6:7], v[4:5], 4, s[8:9]
	v_subrev_u32_e32 v4, s22, v8
	v_add_u32_e32 v22, v4, v24
	v_ashrrev_i32_e32 v23, 31, v22
	v_add_u32_e32 v4, s4, v22
	v_lshl_add_u64 v[26:27], v[22:23], 4, s[10:11]
	v_lshl_add_u64 v[30:31], v[4:5], 4, s[8:9]
	v_add_u32_e32 v4, s5, v22
	s_waitcnt vmcnt(1)
	v_fma_f64 v[10:11], -v[0:1], v[14:15], v[10:11]
	v_fma_f64 v[12:13], -v[2:3], v[14:15], v[12:13]
	v_fmac_f64_e32 v[10:11], v[2:3], v[16:17]
	v_fma_f64 v[12:13], -v[0:1], v[16:17], v[12:13]
	global_store_dwordx4 v[28:29], v[10:13], off
	global_load_dwordx4 v[10:13], v[6:7], off
	s_nop 0
	global_load_dwordx4 v[26:29], v[26:27], off
	s_waitcnt vmcnt(1)
	v_fma_f64 v[10:11], -v[0:1], v[18:19], v[10:11]
	v_fma_f64 v[12:13], -v[2:3], v[18:19], v[12:13]
	v_fmac_f64_e32 v[10:11], v[2:3], v[20:21]
	v_fma_f64 v[12:13], -v[0:1], v[20:21], v[12:13]
	global_store_dwordx4 v[6:7], v[10:13], off
	global_load_dwordx4 v[0:3], v[30:31], off
	v_lshl_add_u64 v[6:7], v[4:5], 4, s[8:9]
	s_waitcnt vmcnt(0)
	v_fma_f64 v[0:1], -v[26:27], v[14:15], v[0:1]
	v_fma_f64 v[2:3], -v[28:29], v[14:15], v[2:3]
	v_fmac_f64_e32 v[0:1], v[28:29], v[16:17]
	v_fma_f64 v[2:3], -v[26:27], v[16:17], v[2:3]
	global_store_dwordx4 v[30:31], v[0:3], off
	global_load_dwordx4 v[0:3], v[6:7], off
	s_waitcnt vmcnt(0)
	v_fma_f64 v[0:1], -v[26:27], v[18:19], v[0:1]
	v_fma_f64 v[2:3], -v[28:29], v[18:19], v[2:3]
	v_fmac_f64_e32 v[0:1], v[28:29], v[20:21]
	v_fma_f64 v[2:3], -v[26:27], v[20:21], v[2:3]
	global_store_dwordx4 v[6:7], v[0:3], off
                                        ; implicit-def: $vgpr6
                                        ; implicit-def: $vgpr0_vgpr1
.LBB320_27:                             ;   in Loop: Header=BB320_25 Depth=1
	s_or_saveexec_b64 s[2:3], s[2:3]
	v_mov_b32_e32 v4, s12
	s_xor_b64 exec, exec, s[2:3]
	s_cbranch_execz .LBB320_24
; %bb.28:                               ;   in Loop: Header=BB320_25 Depth=1
	v_add_u32_e32 v7, v58, v8
	v_add_u32_e32 v4, s4, v7
	v_lshl_add_u64 v[18:19], v[4:5], 4, s[8:9]
	v_add_u32_e32 v4, s4, v6
	v_lshl_add_u64 v[20:21], v[4:5], 4, s[8:9]
	global_load_dwordx4 v[10:13], v[18:19], off
	global_load_dwordx4 v[14:17], v[20:21], off
	v_add_u32_e32 v4, s5, v7
	v_lshl_add_u64 v[18:19], v[4:5], 4, s[8:9]
	v_add_u32_e32 v4, s5, v6
	v_lshl_add_u64 v[6:7], v[4:5], 4, s[8:9]
	v_mov_b32_e32 v4, s22
	s_waitcnt vmcnt(0)
	v_fma_f64 v[14:15], -v[0:1], v[10:11], v[14:15]
	v_fma_f64 v[10:11], -v[2:3], v[10:11], v[16:17]
	v_fmac_f64_e32 v[14:15], v[2:3], v[12:13]
	v_fma_f64 v[16:17], -v[0:1], v[12:13], v[10:11]
	global_store_dwordx4 v[20:21], v[14:17], off
	global_load_dwordx4 v[10:13], v[18:19], off
	s_nop 0
	global_load_dwordx4 v[14:17], v[6:7], off
	s_waitcnt vmcnt(0)
	v_fma_f64 v[14:15], -v[0:1], v[10:11], v[14:15]
	v_fma_f64 v[10:11], -v[2:3], v[10:11], v[16:17]
	v_fmac_f64_e32 v[14:15], v[2:3], v[12:13]
	v_fma_f64 v[16:17], -v[0:1], v[12:13], v[10:11]
	global_store_dwordx4 v[6:7], v[14:17], off
	s_branch .LBB320_24
.LBB320_29:
	s_endpgm
	.section	.rodata,"a",@progbits
	.p2align	6, 0x0
	.amdhsa_kernel _ZN9rocsparseL19gtsv_LBM_rhs_kernelILj256ELj32ELj2E21rocsparse_complex_numIdEEEviiiPKT2_S5_S5_PS3_S5_PKi
		.amdhsa_group_segment_fixed_size 0
		.amdhsa_private_segment_fixed_size 0
		.amdhsa_kernarg_size 64
		.amdhsa_user_sgpr_count 2
		.amdhsa_user_sgpr_dispatch_ptr 0
		.amdhsa_user_sgpr_queue_ptr 0
		.amdhsa_user_sgpr_kernarg_segment_ptr 1
		.amdhsa_user_sgpr_dispatch_id 0
		.amdhsa_user_sgpr_kernarg_preload_length 0
		.amdhsa_user_sgpr_kernarg_preload_offset 0
		.amdhsa_user_sgpr_private_segment_size 0
		.amdhsa_uses_dynamic_stack 0
		.amdhsa_enable_private_segment 0
		.amdhsa_system_sgpr_workgroup_id_x 1
		.amdhsa_system_sgpr_workgroup_id_y 1
		.amdhsa_system_sgpr_workgroup_id_z 0
		.amdhsa_system_sgpr_workgroup_info 0
		.amdhsa_system_vgpr_workitem_id 0
		.amdhsa_next_free_vgpr 78
		.amdhsa_next_free_sgpr 30
		.amdhsa_accum_offset 80
		.amdhsa_reserve_vcc 1
		.amdhsa_float_round_mode_32 0
		.amdhsa_float_round_mode_16_64 0
		.amdhsa_float_denorm_mode_32 3
		.amdhsa_float_denorm_mode_16_64 3
		.amdhsa_dx10_clamp 1
		.amdhsa_ieee_mode 1
		.amdhsa_fp16_overflow 0
		.amdhsa_tg_split 0
		.amdhsa_exception_fp_ieee_invalid_op 0
		.amdhsa_exception_fp_denorm_src 0
		.amdhsa_exception_fp_ieee_div_zero 0
		.amdhsa_exception_fp_ieee_overflow 0
		.amdhsa_exception_fp_ieee_underflow 0
		.amdhsa_exception_fp_ieee_inexact 0
		.amdhsa_exception_int_div_zero 0
	.end_amdhsa_kernel
	.section	.text._ZN9rocsparseL19gtsv_LBM_rhs_kernelILj256ELj32ELj2E21rocsparse_complex_numIdEEEviiiPKT2_S5_S5_PS3_S5_PKi,"axG",@progbits,_ZN9rocsparseL19gtsv_LBM_rhs_kernelILj256ELj32ELj2E21rocsparse_complex_numIdEEEviiiPKT2_S5_S5_PS3_S5_PKi,comdat
.Lfunc_end320:
	.size	_ZN9rocsparseL19gtsv_LBM_rhs_kernelILj256ELj32ELj2E21rocsparse_complex_numIdEEEviiiPKT2_S5_S5_PS3_S5_PKi, .Lfunc_end320-_ZN9rocsparseL19gtsv_LBM_rhs_kernelILj256ELj32ELj2E21rocsparse_complex_numIdEEEviiiPKT2_S5_S5_PS3_S5_PKi
                                        ; -- End function
	.set _ZN9rocsparseL19gtsv_LBM_rhs_kernelILj256ELj32ELj2E21rocsparse_complex_numIdEEEviiiPKT2_S5_S5_PS3_S5_PKi.num_vgpr, 78
	.set _ZN9rocsparseL19gtsv_LBM_rhs_kernelILj256ELj32ELj2E21rocsparse_complex_numIdEEEviiiPKT2_S5_S5_PS3_S5_PKi.num_agpr, 0
	.set _ZN9rocsparseL19gtsv_LBM_rhs_kernelILj256ELj32ELj2E21rocsparse_complex_numIdEEEviiiPKT2_S5_S5_PS3_S5_PKi.numbered_sgpr, 30
	.set _ZN9rocsparseL19gtsv_LBM_rhs_kernelILj256ELj32ELj2E21rocsparse_complex_numIdEEEviiiPKT2_S5_S5_PS3_S5_PKi.num_named_barrier, 0
	.set _ZN9rocsparseL19gtsv_LBM_rhs_kernelILj256ELj32ELj2E21rocsparse_complex_numIdEEEviiiPKT2_S5_S5_PS3_S5_PKi.private_seg_size, 0
	.set _ZN9rocsparseL19gtsv_LBM_rhs_kernelILj256ELj32ELj2E21rocsparse_complex_numIdEEEviiiPKT2_S5_S5_PS3_S5_PKi.uses_vcc, 1
	.set _ZN9rocsparseL19gtsv_LBM_rhs_kernelILj256ELj32ELj2E21rocsparse_complex_numIdEEEviiiPKT2_S5_S5_PS3_S5_PKi.uses_flat_scratch, 0
	.set _ZN9rocsparseL19gtsv_LBM_rhs_kernelILj256ELj32ELj2E21rocsparse_complex_numIdEEEviiiPKT2_S5_S5_PS3_S5_PKi.has_dyn_sized_stack, 0
	.set _ZN9rocsparseL19gtsv_LBM_rhs_kernelILj256ELj32ELj2E21rocsparse_complex_numIdEEEviiiPKT2_S5_S5_PS3_S5_PKi.has_recursion, 0
	.set _ZN9rocsparseL19gtsv_LBM_rhs_kernelILj256ELj32ELj2E21rocsparse_complex_numIdEEEviiiPKT2_S5_S5_PS3_S5_PKi.has_indirect_call, 0
	.section	.AMDGPU.csdata,"",@progbits
; Kernel info:
; codeLenInByte = 2732
; TotalNumSgprs: 36
; NumVgprs: 78
; NumAgprs: 0
; TotalNumVgprs: 78
; ScratchSize: 0
; MemoryBound: 1
; FloatMode: 240
; IeeeMode: 1
; LDSByteSize: 0 bytes/workgroup (compile time only)
; SGPRBlocks: 4
; VGPRBlocks: 9
; NumSGPRsForWavesPerEU: 36
; NumVGPRsForWavesPerEU: 78
; AccumOffset: 80
; Occupancy: 6
; WaveLimiterHint : 0
; COMPUTE_PGM_RSRC2:SCRATCH_EN: 0
; COMPUTE_PGM_RSRC2:USER_SGPR: 2
; COMPUTE_PGM_RSRC2:TRAP_HANDLER: 0
; COMPUTE_PGM_RSRC2:TGID_X_EN: 1
; COMPUTE_PGM_RSRC2:TGID_Y_EN: 1
; COMPUTE_PGM_RSRC2:TGID_Z_EN: 0
; COMPUTE_PGM_RSRC2:TIDIG_COMP_CNT: 0
; COMPUTE_PGM_RSRC3_GFX90A:ACCUM_OFFSET: 19
; COMPUTE_PGM_RSRC3_GFX90A:TG_SPLIT: 0
	.section	.text._ZN9rocsparseL19gtsv_LBM_rhs_kernelILj256ELj32ELj1E21rocsparse_complex_numIdEEEviiiPKT2_S5_S5_PS3_S5_PKi,"axG",@progbits,_ZN9rocsparseL19gtsv_LBM_rhs_kernelILj256ELj32ELj1E21rocsparse_complex_numIdEEEviiiPKT2_S5_S5_PS3_S5_PKi,comdat
	.globl	_ZN9rocsparseL19gtsv_LBM_rhs_kernelILj256ELj32ELj1E21rocsparse_complex_numIdEEEviiiPKT2_S5_S5_PS3_S5_PKi ; -- Begin function _ZN9rocsparseL19gtsv_LBM_rhs_kernelILj256ELj32ELj1E21rocsparse_complex_numIdEEEviiiPKT2_S5_S5_PS3_S5_PKi
	.p2align	8
	.type	_ZN9rocsparseL19gtsv_LBM_rhs_kernelILj256ELj32ELj1E21rocsparse_complex_numIdEEEviiiPKT2_S5_S5_PS3_S5_PKi,@function
_ZN9rocsparseL19gtsv_LBM_rhs_kernelILj256ELj32ELj1E21rocsparse_complex_numIdEEEviiiPKT2_S5_S5_PS3_S5_PKi: ; @_ZN9rocsparseL19gtsv_LBM_rhs_kernelILj256ELj32ELj1E21rocsparse_complex_numIdEEEviiiPKT2_S5_S5_PS3_S5_PKi
; %bb.0:
	s_load_dword s24, s[0:1], 0x0
	v_lshl_or_b32 v24, s2, 8, v0
	s_waitcnt lgkmcnt(0)
	s_lshr_b32 s22, s24, 5
	v_cmp_gt_i32_e32 vcc, s22, v24
	s_and_saveexec_b64 s[4:5], vcc
	s_cbranch_execz .LBB321_29
; %bb.1:
	s_load_dwordx4 s[8:11], s[0:1], 0x28
	s_load_dwordx2 s[6:7], s[0:1], 0x38
	s_cmp_lt_i32 s24, 1
	s_mul_i32 s23, s24, s3
	s_cbranch_scc1 .LBB321_21
; %bb.2:
	s_load_dwordx4 s[12:15], s[0:1], 0x10
	s_load_dwordx2 s[16:17], s[0:1], 0x20
	v_ashrrev_i32_e32 v25, 31, v24
	v_add_u32_e32 v42, s22, v24
	s_mul_i32 s25, s22, 31
	s_waitcnt lgkmcnt(0)
	v_lshl_add_u64 v[0:1], v[24:25], 4, s[14:15]
	global_load_dwordx4 v[0:3], v[0:1], off
	s_mul_i32 s26, s22, 30
	s_lshl_b32 s27, s22, 1
	v_add_u32_e32 v43, s22, v42
	v_add_u32_e32 v44, s23, v42
	v_mov_b32_e32 v27, 0
	s_mov_b64 s[18:19], 0
	v_mov_b32_e32 v25, 0
	s_branch .LBB321_5
.LBB321_3:                              ;   in Loop: Header=BB321_5 Depth=1
	s_or_b64 exec, exec, s[4:5]
	v_fmac_f64_e32 v[30:31], v[4:5], v[8:9]
	v_fmac_f64_e32 v[28:29], v[6:7], v[8:9]
	v_mul_f64 v[0:1], v[16:17], -v[28:29]
	v_mul_f64 v[2:3], v[16:17], v[30:31]
	v_fmac_f64_e32 v[0:1], v[30:31], v[10:11]
	v_fmac_f64_e32 v[2:3], v[28:29], v[10:11]
	v_add_f64 v[0:1], v[12:13], -v[0:1]
	v_add_f64 v[2:3], v[14:15], -v[2:3]
	v_mov_b32_e32 v10, s22
.LBB321_4:                              ;   in Loop: Header=BB321_5 Depth=1
	s_or_b64 exec, exec, s[2:3]
	v_add_u32_e32 v25, v10, v25
	v_cmp_le_i32_e32 vcc, s24, v25
	s_or_b64 s[18:19], vcc, s[18:19]
	s_andn2_b64 exec, exec, s[18:19]
	s_cbranch_execz .LBB321_20
.LBB321_5:                              ; =>This Inner Loop Header: Depth=1
	v_add_u32_e32 v32, v25, v24
	v_ashrrev_i32_e32 v33, 31, v32
	v_lshl_add_u64 v[4:5], v[32:33], 4, s[16:17]
	global_load_dwordx4 v[8:11], v[4:5], off
	v_cmp_gt_u32_e64 s[0:1], s25, v25
	v_mov_b64_e32 v[12:13], 0
	v_add_u32_e32 v22, v42, v25
	v_mov_b64_e32 v[4:5], 0
	v_mov_b64_e32 v[6:7], 0
	s_and_saveexec_b64 s[2:3], s[0:1]
	s_cbranch_execz .LBB321_7
; %bb.6:                                ;   in Loop: Header=BB321_5 Depth=1
	v_ashrrev_i32_e32 v23, 31, v22
	v_lshl_add_u64 v[4:5], v[22:23], 4, s[12:13]
	global_load_dwordx4 v[4:7], v[4:5], off
.LBB321_7:                              ;   in Loop: Header=BB321_5 Depth=1
	s_or_b64 exec, exec, s[2:3]
	v_mov_b64_e32 v[14:15], 0
	s_and_saveexec_b64 s[2:3], s[0:1]
	s_cbranch_execz .LBB321_9
; %bb.8:                                ;   in Loop: Header=BB321_5 Depth=1
	v_ashrrev_i32_e32 v23, 31, v22
	v_lshl_add_u64 v[12:13], v[22:23], 4, s[14:15]
	global_load_dwordx4 v[12:15], v[12:13], off
.LBB321_9:                              ;   in Loop: Header=BB321_5 Depth=1
	s_or_b64 exec, exec, s[2:3]
	v_mov_b64_e32 v[20:21], 0
	v_mov_b64_e32 v[16:17], 0
	;; [unrolled: 1-line block ×3, first 2 shown]
	s_and_saveexec_b64 s[2:3], s[0:1]
	s_cbranch_execz .LBB321_11
; %bb.10:                               ;   in Loop: Header=BB321_5 Depth=1
	v_ashrrev_i32_e32 v23, 31, v22
	v_lshl_add_u64 v[16:17], v[22:23], 4, s[16:17]
	global_load_dwordx4 v[16:19], v[16:17], off
.LBB321_11:                             ;   in Loop: Header=BB321_5 Depth=1
	s_or_b64 exec, exec, s[2:3]
	v_cmp_gt_u32_e64 s[2:3], s26, v25
	v_mov_b64_e32 v[22:23], 0
	s_and_saveexec_b64 s[4:5], s[2:3]
	s_cbranch_execz .LBB321_13
; %bb.12:                               ;   in Loop: Header=BB321_5 Depth=1
	v_add_u32_e32 v20, v43, v25
	v_ashrrev_i32_e32 v21, 31, v20
	v_lshl_add_u64 v[20:21], v[20:21], 4, s[12:13]
	global_load_dwordx4 v[20:23], v[20:21], off
.LBB321_13:                             ;   in Loop: Header=BB321_5 Depth=1
	s_or_b64 exec, exec, s[4:5]
	v_lshl_add_u64 v[28:29], v[32:33], 2, s[6:7]
	global_load_dword v26, v[28:29], off
	v_cmp_ne_u32_e32 vcc, s25, v25
	s_waitcnt vmcnt(1)
	v_mul_f64 v[30:31], v[10:11], -v[6:7]
	v_mul_f64 v[28:29], v[10:11], v[4:5]
	s_waitcnt vmcnt(0)
	v_cmp_ne_u32_e64 s[4:5], 1, v26
	s_and_b64 s[4:5], vcc, s[4:5]
	v_add_u32_e32 v26, s23, v32
	s_and_saveexec_b64 s[20:21], s[4:5]
	s_xor_b64 s[4:5], exec, s[20:21]
	s_cbranch_execz .LBB321_17
; %bb.14:                               ;   in Loop: Header=BB321_5 Depth=1
	v_lshl_add_u64 v[54:55], v[26:27], 4, s[8:9]
	v_add_u32_e32 v26, v44, v25
	global_load_dwordx4 v[46:49], v[54:55], off
	v_lshl_add_u64 v[56:57], v[26:27], 4, s[8:9]
	global_load_dwordx4 v[50:53], v[56:57], off
	v_mul_f64 v[34:35], v[0:1], v[14:15]
	v_mul_f64 v[32:33], v[14:15], -v[2:3]
	v_fmac_f64_e32 v[28:29], v[6:7], v[8:9]
	v_fmac_f64_e32 v[34:35], v[2:3], v[12:13]
	;; [unrolled: 1-line block ×4, first 2 shown]
	v_add_f64 v[28:29], v[34:35], -v[28:29]
	v_add_f64 v[30:31], v[32:33], -v[30:31]
	v_mul_f64 v[32:33], v[28:29], v[28:29]
	v_fmac_f64_e32 v[32:33], v[30:31], v[30:31]
	v_div_scale_f64 v[36:37], s[20:21], v[32:33], v[32:33], 1.0
	v_rcp_f64_e32 v[38:39], v[36:37]
	v_fma_f64 v[34:35], 0, v[28:29], v[30:31]
	v_fma_f64 v[30:31], v[30:31], 0, -v[28:29]
	v_div_scale_f64 v[28:29], vcc, 1.0, v[32:33], 1.0
	v_fma_f64 v[58:59], -v[36:37], v[38:39], 1.0
	v_fmac_f64_e32 v[38:39], v[38:39], v[58:59]
	v_fma_f64 v[58:59], -v[36:37], v[38:39], 1.0
	v_fmac_f64_e32 v[38:39], v[38:39], v[58:59]
	v_mul_f64 v[58:59], v[28:29], v[38:39]
	v_fma_f64 v[28:29], -v[36:37], v[58:59], v[28:29]
	v_div_fmas_f64 v[28:29], v[28:29], v[38:39], v[58:59]
	v_div_fixup_f64 v[32:33], v[28:29], v[32:33], 1.0
	v_mul_f64 v[30:31], v[30:31], v[32:33]
	v_mul_f64 v[28:29], v[34:35], v[32:33]
	v_mov_b64_e32 v[40:41], 0
	s_waitcnt vmcnt(1)
	v_mul_f64 v[36:37], v[30:31], v[46:47]
	v_mul_f64 v[32:33], v[30:31], -v[48:49]
	v_fmac_f64_e32 v[36:37], v[48:49], v[28:29]
	s_waitcnt vmcnt(0)
	v_mul_f64 v[38:39], v[30:31], v[50:51]
	v_fmac_f64_e32 v[32:33], v[46:47], v[28:29]
	v_mul_f64 v[34:35], v[30:31], -v[52:53]
	v_fmac_f64_e32 v[38:39], v[52:53], v[28:29]
	v_mul_f64 v[46:47], v[36:37], -v[14:15]
	v_mul_f64 v[48:49], v[12:13], v[36:37]
	v_fmac_f64_e32 v[34:35], v[50:51], v[28:29]
	v_fmac_f64_e32 v[46:47], v[12:13], v[32:33]
	;; [unrolled: 1-line block ×3, first 2 shown]
	v_mul_f64 v[12:13], v[38:39], -v[10:11]
	v_mul_f64 v[14:15], v[8:9], v[38:39]
	v_mul_f64 v[50:51], v[6:7], v[36:37]
	v_mul_f64 v[52:53], v[36:37], -v[4:5]
	v_mul_f64 v[58:59], v[38:39], -v[2:3]
	v_mul_f64 v[60:61], v[0:1], v[38:39]
	v_fmac_f64_e32 v[12:13], v[8:9], v[34:35]
	v_fmac_f64_e32 v[14:15], v[10:11], v[34:35]
	v_fma_f64 v[50:51], -v[4:5], v[32:33], v[50:51]
	v_fma_f64 v[52:53], -v[6:7], v[32:33], v[52:53]
	v_fmac_f64_e32 v[58:59], v[0:1], v[34:35]
	v_fmac_f64_e32 v[60:61], v[2:3], v[34:35]
	v_add_f64 v[8:9], v[46:47], -v[12:13]
	v_add_f64 v[10:11], v[48:49], -v[14:15]
	v_add_f64 v[12:13], v[50:51], v[58:59]
	v_add_f64 v[14:15], v[52:53], v[60:61]
	global_store_dwordx4 v[54:55], v[8:11], off
	global_store_dwordx4 v[56:57], v[12:15], off
	s_nop 0
	v_mov_b64_e32 v[8:9], 0
	s_and_saveexec_b64 s[20:21], s[2:3]
	s_cbranch_execz .LBB321_16
; %bb.15:                               ;   in Loop: Header=BB321_5 Depth=1
	v_add_u32_e32 v12, v43, v25
	v_add_u32_e32 v26, s23, v12
	v_lshl_add_u64 v[40:41], v[26:27], 4, s[8:9]
	v_ashrrev_i32_e32 v13, 31, v12
	global_load_dwordx4 v[8:11], v[40:41], off
	v_lshl_add_u64 v[12:13], v[12:13], 4, s[14:15]
	global_load_dwordx4 v[12:15], v[12:13], off
	v_mul_f64 v[46:47], v[6:7], v[22:23]
	v_mul_f64 v[48:49], v[22:23], -v[4:5]
	v_mul_f64 v[50:51], v[22:23], -v[2:3]
	v_mul_f64 v[52:53], v[0:1], v[22:23]
	v_mul_f64 v[54:55], v[2:3], -v[22:23]
	v_mul_f64 v[56:57], v[2:3], v[20:21]
	v_fma_f64 v[4:5], -v[4:5], v[20:21], v[46:47]
	v_fma_f64 v[6:7], -v[6:7], v[20:21], v[48:49]
	v_fmac_f64_e32 v[50:51], v[0:1], v[20:21]
	v_fmac_f64_e32 v[52:53], v[2:3], v[20:21]
	;; [unrolled: 1-line block ×4, first 2 shown]
	v_mul_f64 v[0:1], v[6:7], v[36:37]
	v_mul_f64 v[2:3], v[36:37], -v[4:5]
	v_mul_f64 v[20:21], v[38:39], -v[52:53]
	v_mul_f64 v[22:23], v[50:51], v[38:39]
	v_mul_f64 v[36:37], v[18:19], -v[56:57]
	v_mul_f64 v[18:19], v[18:19], v[54:55]
	v_fma_f64 v[0:1], -v[4:5], v[32:33], v[0:1]
	v_fma_f64 v[2:3], -v[6:7], v[32:33], v[2:3]
	v_fmac_f64_e32 v[20:21], v[50:51], v[34:35]
	v_fmac_f64_e32 v[22:23], v[52:53], v[34:35]
	;; [unrolled: 1-line block ×4, first 2 shown]
	v_add_f64 v[0:1], v[0:1], -v[20:21]
	v_add_f64 v[2:3], v[2:3], -v[22:23]
	v_mul_f64 v[4:5], v[30:31], -v[18:19]
	v_mul_f64 v[6:7], v[30:31], v[36:37]
	v_fmac_f64_e32 v[4:5], v[36:37], v[28:29]
	v_fmac_f64_e32 v[6:7], v[18:19], v[28:29]
	s_waitcnt vmcnt(1)
	v_add_f64 v[0:1], v[0:1], v[8:9]
	v_add_f64 v[2:3], v[2:3], v[10:11]
	s_waitcnt vmcnt(0)
	v_add_f64 v[8:9], v[12:13], -v[4:5]
	global_store_dwordx4 v[40:41], v[0:3], off
	v_add_f64 v[40:41], v[14:15], -v[6:7]
.LBB321_16:                             ;   in Loop: Header=BB321_5 Depth=1
	s_or_b64 exec, exec, s[20:21]
	v_mov_b64_e32 v[2:3], v[40:41]
	v_mov_b64_e32 v[0:1], v[8:9]
                                        ; implicit-def: $vgpr4_vgpr5
                                        ; implicit-def: $vgpr12_vgpr13
                                        ; implicit-def: $vgpr8_vgpr9
                                        ; implicit-def: $vgpr30_vgpr31
                                        ; implicit-def: $vgpr28_vgpr29
.LBB321_17:                             ;   in Loop: Header=BB321_5 Depth=1
	s_or_saveexec_b64 s[2:3], s[4:5]
	v_mov_b32_e32 v10, s27
	s_xor_b64 exec, exec, s[2:3]
	s_cbranch_execz .LBB321_4
; %bb.18:                               ;   in Loop: Header=BB321_5 Depth=1
	v_lshl_add_u64 v[22:23], v[26:27], 4, s[8:9]
	global_load_dwordx4 v[18:21], v[22:23], off
	v_mul_f64 v[10:11], v[2:3], v[2:3]
	v_fmac_f64_e32 v[10:11], v[0:1], v[0:1]
	v_div_scale_f64 v[32:33], s[4:5], v[10:11], v[10:11], 1.0
	v_rcp_f64_e32 v[34:35], v[32:33]
	v_fma_f64 v[16:17], 0, v[2:3], v[0:1]
	v_fma_f64 v[0:1], v[0:1], 0, -v[2:3]
	v_div_scale_f64 v[2:3], vcc, 1.0, v[10:11], 1.0
	v_fma_f64 v[36:37], -v[32:33], v[34:35], 1.0
	v_fmac_f64_e32 v[34:35], v[34:35], v[36:37]
	v_fma_f64 v[36:37], -v[32:33], v[34:35], 1.0
	v_fmac_f64_e32 v[34:35], v[34:35], v[36:37]
	v_mul_f64 v[36:37], v[2:3], v[34:35]
	v_fma_f64 v[2:3], -v[32:33], v[36:37], v[2:3]
	v_div_fmas_f64 v[2:3], v[2:3], v[34:35], v[36:37]
	v_div_fixup_f64 v[2:3], v[2:3], v[10:11], 1.0
	v_mul_f64 v[10:11], v[16:17], v[2:3]
	v_mul_f64 v[16:17], v[0:1], v[2:3]
	s_waitcnt vmcnt(0)
	v_mul_f64 v[0:1], v[16:17], -v[20:21]
	v_mul_f64 v[2:3], v[16:17], v[18:19]
	v_fmac_f64_e32 v[0:1], v[18:19], v[10:11]
	v_fmac_f64_e32 v[2:3], v[20:21], v[10:11]
	global_store_dwordx4 v[22:23], v[0:3], off
	s_and_saveexec_b64 s[4:5], s[0:1]
	s_cbranch_execz .LBB321_3
; %bb.19:                               ;   in Loop: Header=BB321_5 Depth=1
	v_add_u32_e32 v26, v44, v25
	v_lshl_add_u64 v[22:23], v[26:27], 4, s[8:9]
	global_load_dwordx4 v[18:21], v[22:23], off
	s_waitcnt vmcnt(0)
	v_fma_f64 v[18:19], -v[4:5], v[0:1], v[18:19]
	v_fma_f64 v[0:1], -v[6:7], v[0:1], v[20:21]
	v_fmac_f64_e32 v[18:19], v[6:7], v[2:3]
	v_fma_f64 v[20:21], -v[4:5], v[2:3], v[0:1]
	global_store_dwordx4 v[22:23], v[18:21], off
	s_branch .LBB321_3
.LBB321_20:
	s_or_b64 exec, exec, s[18:19]
	s_branch .LBB321_22
.LBB321_21:
	v_mov_b32_e32 v25, 0
.LBB321_22:
	v_subrev_u32_e32 v2, s22, v25
	v_add_u32_e32 v0, v2, v24
	v_ashrrev_i32_e32 v1, 31, v0
	s_waitcnt lgkmcnt(0)
	v_lshl_add_u64 v[0:1], v[0:1], 2, s[6:7]
	buffer_wbl2 sc1
	s_waitcnt vmcnt(0)
	buffer_inv sc1
	global_load_dword v0, v[0:1], off
	s_waitcnt vmcnt(0)
	v_mul_lo_u32 v0, v0, s22
	v_sub_u32_e32 v8, v2, v0
	v_cmp_lt_i32_e32 vcc, -1, v8
	s_and_b64 exec, exec, vcc
	s_cbranch_execz .LBB321_29
; %bb.23:
	s_add_i32 s0, s23, s22
	v_add_u32_e32 v9, s0, v24
	s_lshl_b32 s4, s22, 1
	s_mov_b64 s[0:1], 0
	v_mov_b32_e32 v5, 0
	s_branch .LBB321_25
.LBB321_24:                             ;   in Loop: Header=BB321_25 Depth=1
	s_or_b64 exec, exec, s[2:3]
	v_sub_u32_e32 v8, v8, v4
	v_cmp_gt_i32_e32 vcc, 0, v8
	s_or_b64 s[0:1], vcc, s[0:1]
	s_andn2_b64 exec, exec, s[0:1]
	s_cbranch_execz .LBB321_29
.LBB321_25:                             ; =>This Inner Loop Header: Depth=1
	v_add_u32_e32 v6, v8, v24
	v_ashrrev_i32_e32 v7, 31, v6
	s_waitcnt vmcnt(0)
	v_lshl_add_u64 v[0:1], v[6:7], 2, s[6:7]
	global_load_dword v4, v[0:1], off
	v_lshl_add_u64 v[0:1], v[6:7], 4, s[10:11]
	global_load_dwordx4 v[0:3], v[0:1], off
	s_waitcnt vmcnt(1)
	v_cmp_ne_u32_e32 vcc, 1, v4
	s_and_saveexec_b64 s[2:3], vcc
	s_xor_b64 s[2:3], exec, s[2:3]
	s_cbranch_execz .LBB321_27
; %bb.26:                               ;   in Loop: Header=BB321_25 Depth=1
	v_add_u32_e32 v4, v9, v8
	v_lshl_add_u64 v[18:19], v[4:5], 4, s[8:9]
	v_add_u32_e32 v4, s23, v6
	v_lshl_add_u64 v[6:7], v[4:5], 4, s[8:9]
	global_load_dwordx4 v[10:13], v[18:19], off
	global_load_dwordx4 v[14:17], v[6:7], off
	v_subrev_u32_e32 v4, s22, v8
	v_add_u32_e32 v18, v4, v24
	v_ashrrev_i32_e32 v19, 31, v18
	v_add_u32_e32 v4, s23, v18
	v_lshl_add_u64 v[18:19], v[18:19], 4, s[10:11]
	v_lshl_add_u64 v[22:23], v[4:5], 4, s[8:9]
	global_load_dwordx4 v[18:21], v[18:19], off
	s_waitcnt vmcnt(1)
	v_fma_f64 v[14:15], -v[0:1], v[10:11], v[14:15]
	v_fma_f64 v[16:17], -v[2:3], v[10:11], v[16:17]
	v_fmac_f64_e32 v[14:15], v[2:3], v[12:13]
	v_fma_f64 v[16:17], -v[0:1], v[12:13], v[16:17]
	global_store_dwordx4 v[6:7], v[14:17], off
	global_load_dwordx4 v[0:3], v[22:23], off
                                        ; implicit-def: $vgpr6
	s_waitcnt vmcnt(0)
	v_fma_f64 v[0:1], -v[18:19], v[10:11], v[0:1]
	v_fma_f64 v[2:3], -v[20:21], v[10:11], v[2:3]
	v_fmac_f64_e32 v[0:1], v[20:21], v[12:13]
	v_fma_f64 v[2:3], -v[18:19], v[12:13], v[2:3]
	global_store_dwordx4 v[22:23], v[0:3], off
                                        ; implicit-def: $vgpr0_vgpr1
.LBB321_27:                             ;   in Loop: Header=BB321_25 Depth=1
	s_or_saveexec_b64 s[2:3], s[2:3]
	v_mov_b32_e32 v4, s4
	s_xor_b64 exec, exec, s[2:3]
	s_cbranch_execz .LBB321_24
; %bb.28:                               ;   in Loop: Header=BB321_25 Depth=1
	v_add_u32_e32 v4, v9, v8
	v_lshl_add_u64 v[18:19], v[4:5], 4, s[8:9]
	v_add_u32_e32 v4, s23, v6
	v_lshl_add_u64 v[6:7], v[4:5], 4, s[8:9]
	global_load_dwordx4 v[10:13], v[18:19], off
	global_load_dwordx4 v[14:17], v[6:7], off
	v_mov_b32_e32 v4, s22
	s_waitcnt vmcnt(0)
	v_fma_f64 v[14:15], -v[0:1], v[10:11], v[14:15]
	v_fma_f64 v[10:11], -v[2:3], v[10:11], v[16:17]
	v_fmac_f64_e32 v[14:15], v[2:3], v[12:13]
	v_fma_f64 v[16:17], -v[0:1], v[12:13], v[10:11]
	global_store_dwordx4 v[6:7], v[14:17], off
	s_branch .LBB321_24
.LBB321_29:
	s_endpgm
	.section	.rodata,"a",@progbits
	.p2align	6, 0x0
	.amdhsa_kernel _ZN9rocsparseL19gtsv_LBM_rhs_kernelILj256ELj32ELj1E21rocsparse_complex_numIdEEEviiiPKT2_S5_S5_PS3_S5_PKi
		.amdhsa_group_segment_fixed_size 0
		.amdhsa_private_segment_fixed_size 0
		.amdhsa_kernarg_size 64
		.amdhsa_user_sgpr_count 2
		.amdhsa_user_sgpr_dispatch_ptr 0
		.amdhsa_user_sgpr_queue_ptr 0
		.amdhsa_user_sgpr_kernarg_segment_ptr 1
		.amdhsa_user_sgpr_dispatch_id 0
		.amdhsa_user_sgpr_kernarg_preload_length 0
		.amdhsa_user_sgpr_kernarg_preload_offset 0
		.amdhsa_user_sgpr_private_segment_size 0
		.amdhsa_uses_dynamic_stack 0
		.amdhsa_enable_private_segment 0
		.amdhsa_system_sgpr_workgroup_id_x 1
		.amdhsa_system_sgpr_workgroup_id_y 1
		.amdhsa_system_sgpr_workgroup_id_z 0
		.amdhsa_system_sgpr_workgroup_info 0
		.amdhsa_system_vgpr_workitem_id 0
		.amdhsa_next_free_vgpr 62
		.amdhsa_next_free_sgpr 28
		.amdhsa_accum_offset 64
		.amdhsa_reserve_vcc 1
		.amdhsa_float_round_mode_32 0
		.amdhsa_float_round_mode_16_64 0
		.amdhsa_float_denorm_mode_32 3
		.amdhsa_float_denorm_mode_16_64 3
		.amdhsa_dx10_clamp 1
		.amdhsa_ieee_mode 1
		.amdhsa_fp16_overflow 0
		.amdhsa_tg_split 0
		.amdhsa_exception_fp_ieee_invalid_op 0
		.amdhsa_exception_fp_denorm_src 0
		.amdhsa_exception_fp_ieee_div_zero 0
		.amdhsa_exception_fp_ieee_overflow 0
		.amdhsa_exception_fp_ieee_underflow 0
		.amdhsa_exception_fp_ieee_inexact 0
		.amdhsa_exception_int_div_zero 0
	.end_amdhsa_kernel
	.section	.text._ZN9rocsparseL19gtsv_LBM_rhs_kernelILj256ELj32ELj1E21rocsparse_complex_numIdEEEviiiPKT2_S5_S5_PS3_S5_PKi,"axG",@progbits,_ZN9rocsparseL19gtsv_LBM_rhs_kernelILj256ELj32ELj1E21rocsparse_complex_numIdEEEviiiPKT2_S5_S5_PS3_S5_PKi,comdat
.Lfunc_end321:
	.size	_ZN9rocsparseL19gtsv_LBM_rhs_kernelILj256ELj32ELj1E21rocsparse_complex_numIdEEEviiiPKT2_S5_S5_PS3_S5_PKi, .Lfunc_end321-_ZN9rocsparseL19gtsv_LBM_rhs_kernelILj256ELj32ELj1E21rocsparse_complex_numIdEEEviiiPKT2_S5_S5_PS3_S5_PKi
                                        ; -- End function
	.set _ZN9rocsparseL19gtsv_LBM_rhs_kernelILj256ELj32ELj1E21rocsparse_complex_numIdEEEviiiPKT2_S5_S5_PS3_S5_PKi.num_vgpr, 62
	.set _ZN9rocsparseL19gtsv_LBM_rhs_kernelILj256ELj32ELj1E21rocsparse_complex_numIdEEEviiiPKT2_S5_S5_PS3_S5_PKi.num_agpr, 0
	.set _ZN9rocsparseL19gtsv_LBM_rhs_kernelILj256ELj32ELj1E21rocsparse_complex_numIdEEEviiiPKT2_S5_S5_PS3_S5_PKi.numbered_sgpr, 28
	.set _ZN9rocsparseL19gtsv_LBM_rhs_kernelILj256ELj32ELj1E21rocsparse_complex_numIdEEEviiiPKT2_S5_S5_PS3_S5_PKi.num_named_barrier, 0
	.set _ZN9rocsparseL19gtsv_LBM_rhs_kernelILj256ELj32ELj1E21rocsparse_complex_numIdEEEviiiPKT2_S5_S5_PS3_S5_PKi.private_seg_size, 0
	.set _ZN9rocsparseL19gtsv_LBM_rhs_kernelILj256ELj32ELj1E21rocsparse_complex_numIdEEEviiiPKT2_S5_S5_PS3_S5_PKi.uses_vcc, 1
	.set _ZN9rocsparseL19gtsv_LBM_rhs_kernelILj256ELj32ELj1E21rocsparse_complex_numIdEEEviiiPKT2_S5_S5_PS3_S5_PKi.uses_flat_scratch, 0
	.set _ZN9rocsparseL19gtsv_LBM_rhs_kernelILj256ELj32ELj1E21rocsparse_complex_numIdEEEviiiPKT2_S5_S5_PS3_S5_PKi.has_dyn_sized_stack, 0
	.set _ZN9rocsparseL19gtsv_LBM_rhs_kernelILj256ELj32ELj1E21rocsparse_complex_numIdEEEviiiPKT2_S5_S5_PS3_S5_PKi.has_recursion, 0
	.set _ZN9rocsparseL19gtsv_LBM_rhs_kernelILj256ELj32ELj1E21rocsparse_complex_numIdEEEviiiPKT2_S5_S5_PS3_S5_PKi.has_indirect_call, 0
	.section	.AMDGPU.csdata,"",@progbits
; Kernel info:
; codeLenInByte = 1980
; TotalNumSgprs: 34
; NumVgprs: 62
; NumAgprs: 0
; TotalNumVgprs: 62
; ScratchSize: 0
; MemoryBound: 1
; FloatMode: 240
; IeeeMode: 1
; LDSByteSize: 0 bytes/workgroup (compile time only)
; SGPRBlocks: 4
; VGPRBlocks: 7
; NumSGPRsForWavesPerEU: 34
; NumVGPRsForWavesPerEU: 62
; AccumOffset: 64
; Occupancy: 8
; WaveLimiterHint : 0
; COMPUTE_PGM_RSRC2:SCRATCH_EN: 0
; COMPUTE_PGM_RSRC2:USER_SGPR: 2
; COMPUTE_PGM_RSRC2:TRAP_HANDLER: 0
; COMPUTE_PGM_RSRC2:TGID_X_EN: 1
; COMPUTE_PGM_RSRC2:TGID_Y_EN: 1
; COMPUTE_PGM_RSRC2:TGID_Z_EN: 0
; COMPUTE_PGM_RSRC2:TIDIG_COMP_CNT: 0
; COMPUTE_PGM_RSRC3_GFX90A:ACCUM_OFFSET: 15
; COMPUTE_PGM_RSRC3_GFX90A:TG_SPLIT: 0
	.section	.text._ZN9rocsparseL29gtsv_spike_block_level_kernelILj256ELj32E21rocsparse_complex_numIdEEEviiiPT1_PKS3_S6_S4_S4_S4_S4_S4_,"axG",@progbits,_ZN9rocsparseL29gtsv_spike_block_level_kernelILj256ELj32E21rocsparse_complex_numIdEEEviiiPT1_PKS3_S6_S4_S4_S4_S4_S4_,comdat
	.globl	_ZN9rocsparseL29gtsv_spike_block_level_kernelILj256ELj32E21rocsparse_complex_numIdEEEviiiPT1_PKS3_S6_S4_S4_S4_S4_S4_ ; -- Begin function _ZN9rocsparseL29gtsv_spike_block_level_kernelILj256ELj32E21rocsparse_complex_numIdEEEviiiPT1_PKS3_S6_S4_S4_S4_S4_S4_
	.p2align	8
	.type	_ZN9rocsparseL29gtsv_spike_block_level_kernelILj256ELj32E21rocsparse_complex_numIdEEEviiiPT1_PKS3_S6_S4_S4_S4_S4_S4_,@function
_ZN9rocsparseL29gtsv_spike_block_level_kernelILj256ELj32E21rocsparse_complex_numIdEEEviiiPT1_PKS3_S6_S4_S4_S4_S4_S4_: ; @_ZN9rocsparseL29gtsv_spike_block_level_kernelILj256ELj32E21rocsparse_complex_numIdEEEviiiPT1_PKS3_S6_S4_S4_S4_S4_S4_
; %bb.0:
	s_load_dword s12, s[0:1], 0x0
	s_load_dwordx2 s[8:9], s[0:1], 0x18
	v_lshl_or_b32 v6, s2, 8, v0
	v_mov_b64_e32 v[2:3], 0
	v_mov_b64_e32 v[12:13], 0
	s_waitcnt lgkmcnt(0)
	s_lshr_b32 s20, s12, 5
	v_cmp_gt_i32_e64 s[4:5], s20, v6
	v_mov_b64_e32 v[14:15], 0
	s_and_saveexec_b64 s[6:7], s[4:5]
	s_cbranch_execz .LBB322_2
; %bb.1:
	v_ashrrev_i32_e32 v7, 31, v6
	v_lshl_add_u64 v[4:5], v[6:7], 4, s[8:9]
	global_load_dwordx4 v[12:15], v[4:5], off
.LBB322_2:
	s_or_b64 exec, exec, s[6:7]
	s_load_dwordx2 s[6:7], s[0:1], 0x20
	v_lshlrev_b32_e32 v1, 4, v0
	v_or_b32_e32 v10, 0x2000, v1
	v_mov_b64_e32 v[4:5], 0
	s_waitcnt vmcnt(0)
	ds_write_b128 v1, v[12:15] offset:8192
	s_and_saveexec_b64 s[10:11], s[4:5]
	s_cbranch_execz .LBB322_4
; %bb.3:
	v_mad_u64_u32 v[2:3], s[14:15], s20, 31, v[6:7]
	v_mov_b32_e32 v3, 0
	v_lshl_add_u64 v[2:3], v[2:3], 4, s[8:9]
	global_load_dwordx4 v[2:5], v[2:3], off
.LBB322_4:
	s_or_b64 exec, exec, s[10:11]
	s_waitcnt vmcnt(0)
	ds_write_b128 v10, v[2:5] offset:4096
	v_mov_b64_e32 v[2:3], 0
	v_mov_b64_e32 v[12:13], 0
	v_mov_b64_e32 v[14:15], 0
	s_and_saveexec_b64 s[8:9], s[4:5]
	s_cbranch_execz .LBB322_6
; %bb.5:
	v_ashrrev_i32_e32 v7, 31, v6
	s_waitcnt lgkmcnt(0)
	v_lshl_add_u64 v[4:5], v[6:7], 4, s[6:7]
	global_load_dwordx4 v[12:15], v[4:5], off
.LBB322_6:
	s_or_b64 exec, exec, s[8:9]
	s_load_dwordx2 s[16:17], s[0:1], 0x10
	v_mov_b64_e32 v[4:5], 0
	s_waitcnt vmcnt(0)
	ds_write_b128 v1, v[12:15]
	s_and_saveexec_b64 s[8:9], s[4:5]
	s_cbranch_execz .LBB322_8
; %bb.7:
	v_mad_u64_u32 v[2:3], s[10:11], s20, 31, v[6:7]
	v_mov_b32_e32 v3, 0
	s_waitcnt lgkmcnt(0)
	v_lshl_add_u64 v[2:3], v[2:3], 4, s[6:7]
	global_load_dwordx4 v[2:5], v[2:3], off
.LBB322_8:
	s_or_b64 exec, exec, s[8:9]
	s_mul_i32 s14, s12, s3
	s_waitcnt vmcnt(0)
	ds_write_b128 v1, v[2:5] offset:4096
	v_mov_b64_e32 v[2:3], 0
	v_add_u32_e32 v8, s14, v6
	v_mov_b64_e32 v[12:13], 0
	v_mov_b64_e32 v[14:15], 0
	s_waitcnt lgkmcnt(0)
	s_and_saveexec_b64 s[6:7], s[4:5]
	s_cbranch_execz .LBB322_10
; %bb.9:
	v_ashrrev_i32_e32 v9, 31, v8
	v_lshl_add_u64 v[4:5], v[8:9], 4, s[16:17]
	global_load_dwordx4 v[12:15], v[4:5], off
.LBB322_10:
	s_or_b64 exec, exec, s[6:7]
	s_load_dwordx2 s[6:7], s[0:1], 0x48
	s_load_dwordx4 s[8:11], s[0:1], 0x38
	v_or_b32_e32 v9, 0x4000, v1
	s_mul_i32 s21, s20, 31
	v_mov_b64_e32 v[4:5], 0
	s_waitcnt vmcnt(0)
	ds_write_b128 v1, v[12:15] offset:16384
	s_and_saveexec_b64 s[12:13], s[4:5]
	s_cbranch_execz .LBB322_12
; %bb.11:
	s_mul_i32 s15, s20, 31
	s_add_i32 s15, s15, s14
	v_add_u32_e32 v2, s15, v6
	v_mov_b32_e32 v3, 0
	v_lshl_add_u64 v[2:3], v[2:3], 4, s[16:17]
	global_load_dwordx4 v[2:5], v[2:3], off
.LBB322_12:
	s_or_b64 exec, exec, s[12:13]
	s_load_dwordx4 s[12:15], s[0:1], 0x28
	v_add_u32_e32 v13, 0x1000, v10
	v_or_b32_e32 v12, 0x1000, v1
	v_add_u32_e32 v11, 0x1000, v9
	s_mov_b32 s22, 2
	s_waitcnt vmcnt(0)
	ds_write_b128 v9, v[2:5] offset:4096
	s_waitcnt lgkmcnt(0)
	s_barrier
	s_branch .LBB322_14
.LBB322_13:                             ;   in Loop: Header=BB322_14 Depth=1
	s_or_b64 exec, exec, s[18:19]
	s_lshl_b32 s18, s22, 1
	s_cmpk_lt_u32 s22, 0x81
	s_mov_b32 s22, s18
	s_waitcnt lgkmcnt(0)
	s_barrier
	s_cbranch_scc0 .LBB322_16
.LBB322_14:                             ; =>This Inner Loop Header: Depth=1
	s_ff1_i32_b32 s18, s22
	s_lshr_b32 s18, 0x100, s18
	v_cmp_gt_u32_e32 vcc, s18, v0
	s_and_saveexec_b64 s[18:19], vcc
	s_cbranch_execz .LBB322_13
; %bb.15:                               ;   in Loop: Header=BB322_14 Depth=1
	v_mul_lo_u32 v7, s22, v0
	s_lshr_b32 s23, s22, 1
	v_add_u32_e32 v46, s23, v7
	v_lshlrev_b32_e32 v47, 4, v46
	ds_read_b128 v[14:17], v47 offset:8192
	ds_read_b128 v[2:5], v47 offset:4080
	ds_read_b128 v[18:21], v47
	ds_read_b128 v[22:25], v47 offset:12272
	v_lshlrev_b32_e32 v7, 4, v7
	v_add_lshl_u32 v46, v46, s23, 4
	s_waitcnt lgkmcnt(2)
	v_mul_f64 v[28:29], v[4:5], v[14:15]
	v_mul_f64 v[26:27], v[4:5], -v[16:17]
	v_fmac_f64_e32 v[28:29], v[16:17], v[2:3]
	v_fmac_f64_e32 v[26:27], v[14:15], v[2:3]
	v_add_f64 v[36:37], -v[28:29], 0
	v_add_f64 v[34:35], -v[26:27], 1.0
	v_mul_f64 v[26:27], v[36:37], v[36:37]
	v_fmac_f64_e32 v[26:27], v[34:35], v[34:35]
	v_div_scale_f64 v[28:29], s[24:25], v[26:27], v[26:27], 1.0
	v_rcp_f64_e32 v[30:31], v[28:29]
	v_fma_f64 v[40:41], 0, v[36:37], v[34:35]
	v_fma_f64 v[34:35], v[34:35], 0, -v[36:37]
	v_fma_f64 v[32:33], -v[28:29], v[30:31], 1.0
	v_fmac_f64_e32 v[30:31], v[30:31], v[32:33]
	v_fma_f64 v[32:33], -v[28:29], v[30:31], 1.0
	v_fmac_f64_e32 v[30:31], v[30:31], v[32:33]
	v_div_scale_f64 v[32:33], vcc, 1.0, v[26:27], 1.0
	v_mul_f64 v[38:39], v[32:33], v[30:31]
	v_fma_f64 v[28:29], -v[28:29], v[38:39], v[32:33]
	s_nop 1
	v_div_fmas_f64 v[28:29], v[28:29], v[30:31], v[38:39]
	v_div_fixup_f64 v[38:39], v[28:29], v[26:27], 1.0
	ds_read_b128 v[26:29], v47 offset:20464
	ds_read_b128 v[30:33], v47 offset:16384
	v_mul_f64 v[44:45], v[34:35], v[38:39]
	v_mul_f64 v[42:43], v[40:41], v[38:39]
	s_waitcnt lgkmcnt(0)
	v_mul_f64 v[34:35], v[32:33], -v[4:5]
	v_mul_f64 v[36:37], v[2:3], v[32:33]
	v_fmac_f64_e32 v[34:35], v[2:3], v[30:31]
	v_fmac_f64_e32 v[36:37], v[4:5], v[30:31]
	v_add_f64 v[38:39], v[26:27], -v[34:35]
	v_add_f64 v[40:41], v[28:29], -v[36:37]
	v_mul_f64 v[34:35], v[44:45], -v[40:41]
	v_mul_f64 v[36:37], v[44:45], v[38:39]
	v_fmac_f64_e32 v[34:35], v[38:39], v[42:43]
	v_fmac_f64_e32 v[36:37], v[40:41], v[42:43]
	ds_write_b128 v47, v[34:37] offset:20464
	v_mul_f64 v[34:35], v[16:17], -v[28:29]
	v_fmac_f64_e32 v[34:35], v[26:27], v[14:15]
	v_mul_f64 v[26:27], v[16:17], v[26:27]
	v_fmac_f64_e32 v[26:27], v[28:29], v[14:15]
	v_add_f64 v[28:29], v[30:31], -v[34:35]
	v_add_f64 v[30:31], v[32:33], -v[26:27]
	v_mul_f64 v[26:27], v[44:45], -v[30:31]
	v_fmac_f64_e32 v[26:27], v[28:29], v[42:43]
	v_mul_f64 v[28:29], v[28:29], v[44:45]
	v_mul_f64 v[38:39], v[16:17], -v[24:25]
	v_mul_f64 v[16:17], v[16:17], v[22:23]
	v_fmac_f64_e32 v[28:29], v[30:31], v[42:43]
	ds_read_b128 v[30:33], v7
	v_fmac_f64_e32 v[16:17], v[24:25], v[14:15]
	v_fmac_f64_e32 v[38:39], v[22:23], v[14:15]
	v_mul_f64 v[14:15], v[44:45], v[16:17]
	v_mul_f64 v[16:17], v[16:17], -v[42:43]
	v_fma_f64 v[14:15], -v[42:43], v[38:39], v[14:15]
	v_fma_f64 v[16:17], -v[44:45], v[38:39], v[16:17]
	v_mul_f64 v[38:39], v[24:25], -v[44:45]
	v_mul_f64 v[40:41], v[42:43], v[24:25]
	v_fmac_f64_e32 v[38:39], v[42:43], v[22:23]
	v_fmac_f64_e32 v[40:41], v[44:45], v[22:23]
	ds_read_b128 v[34:37], v46 offset:12272
	ds_write_b128 v47, v[14:17] offset:8192
	ds_write_b128 v47, v[38:41] offset:12272
	ds_read_b128 v[22:25], v7 offset:8192
	s_waitcnt lgkmcnt(4)
	v_mul_f64 v[38:39], v[28:29], -v[32:33]
	v_fmac_f64_e32 v[38:39], v[30:31], v[26:27]
	v_mul_f64 v[30:31], v[28:29], v[30:31]
	v_mul_f64 v[40:41], v[2:3], v[20:21]
	ds_write_b128 v47, v[26:29] offset:16384
	v_fmac_f64_e32 v[30:31], v[32:33], v[26:27]
	v_mul_f64 v[32:33], v[20:21], -v[4:5]
	v_fmac_f64_e32 v[40:41], v[4:5], v[18:19]
	ds_read_b128 v[26:29], v7 offset:16384
	v_fmac_f64_e32 v[32:33], v[2:3], v[18:19]
	v_mul_f64 v[2:3], v[44:45], v[40:41]
	v_mul_f64 v[4:5], v[40:41], -v[42:43]
	v_fma_f64 v[2:3], -v[42:43], v[32:33], v[2:3]
	v_fma_f64 v[4:5], -v[44:45], v[32:33], v[4:5]
	ds_write_b128 v47, v[2:5] offset:4080
	v_mul_f64 v[2:3], v[20:21], -v[44:45]
	v_mul_f64 v[4:5], v[42:43], v[20:21]
	v_fmac_f64_e32 v[2:3], v[42:43], v[18:19]
	v_fmac_f64_e32 v[4:5], v[44:45], v[18:19]
	ds_write_b128 v47, v[2:5]
	ds_read_b128 v[18:21], v7
	s_waitcnt lgkmcnt(3)
	v_add_f64 v[26:27], v[26:27], -v[38:39]
	v_add_f64 v[28:29], v[28:29], -v[30:31]
	ds_write_b128 v7, v[26:29] offset:16384
	ds_read_b128 v[26:29], v47 offset:20464
	s_waitcnt lgkmcnt(2)
	v_mul_f64 v[30:31], v[4:5], v[20:21]
	v_mul_f64 v[4:5], v[4:5], -v[18:19]
	v_fma_f64 v[30:31], -v[18:19], v[2:3], v[30:31]
	v_fma_f64 v[32:33], -v[20:21], v[2:3], v[4:5]
	ds_write_b128 v7, v[30:33]
	s_waitcnt lgkmcnt(1)
	v_mul_f64 v[30:31], v[28:29], -v[36:37]
	v_fmac_f64_e32 v[30:31], v[34:35], v[26:27]
	v_mul_f64 v[32:33], v[28:29], v[34:35]
	v_mul_f64 v[34:35], v[16:17], -v[20:21]
	v_mul_f64 v[16:17], v[16:17], v[18:19]
	v_fmac_f64_e32 v[34:35], v[18:19], v[14:15]
	v_fmac_f64_e32 v[16:17], v[20:21], v[14:15]
	ds_read_b128 v[2:5], v46 offset:4080
	v_fmac_f64_e32 v[32:33], v[36:37], v[26:27]
	ds_read_b128 v[26:29], v46 offset:20464
	v_add_f64 v[14:15], v[22:23], -v[34:35]
	v_add_f64 v[16:17], v[24:25], -v[16:17]
	ds_write_b128 v7, v[14:17] offset:8192
	ds_read_b128 v[14:17], v46 offset:12272
	ds_read_b128 v[18:21], v47 offset:4080
	s_waitcnt lgkmcnt(3)
	v_add_f64 v[22:23], v[26:27], -v[30:31]
	v_add_f64 v[24:25], v[28:29], -v[32:33]
	ds_write_b128 v46, v[22:25] offset:20464
	ds_read_b128 v[22:25], v47 offset:12272
	s_waitcnt lgkmcnt(2)
	v_mul_f64 v[26:27], v[16:17], -v[20:21]
	v_fmac_f64_e32 v[26:27], v[18:19], v[14:15]
	v_mul_f64 v[18:19], v[16:17], v[18:19]
	v_fmac_f64_e32 v[18:19], v[20:21], v[14:15]
	v_add_f64 v[2:3], v[2:3], -v[26:27]
	v_add_f64 v[4:5], v[4:5], -v[18:19]
	ds_write_b128 v46, v[2:5] offset:4080
	s_waitcnt lgkmcnt(1)
	v_mul_f64 v[2:3], v[16:17], v[24:25]
	v_mul_f64 v[4:5], v[24:25], -v[14:15]
	v_fma_f64 v[2:3], -v[14:15], v[22:23], v[2:3]
	v_fma_f64 v[4:5], -v[16:17], v[22:23], v[4:5]
	ds_write_b128 v46, v[2:5] offset:12272
	s_branch .LBB322_13
.LBB322_16:
	s_and_saveexec_b64 s[18:19], s[4:5]
	s_cbranch_execnz .LBB322_19
; %bb.17:
	s_or_b64 exec, exec, s[18:19]
	v_cmp_eq_u32_e32 vcc, 0, v0
	s_and_saveexec_b64 s[4:5], vcc
	s_cbranch_execnz .LBB322_23
.LBB322_18:
	s_endpgm
.LBB322_19:
	s_cmp_eq_u32 s3, 0
	s_cbranch_scc1 .LBB322_27
; %bb.20:
	s_mul_i32 s20, s20, 31
	s_cbranch_execnz .LBB322_22
.LBB322_21:
	ds_read2_b64 v[2:5], v10 offset1:1
	ds_read2_b64 v[14:17], v13 offset1:1
	v_ashrrev_i32_e32 v7, 31, v6
	v_lshlrev_b64 v[22:23], 4, v[6:7]
	v_lshl_add_u64 v[18:19], s[12:13], 0, v[22:23]
	s_waitcnt lgkmcnt(1)
	global_store_dwordx4 v[18:19], v[2:5], off
	ds_read2_b64 v[18:21], v12 offset1:1
	v_lshl_add_u64 v[12:13], s[14:15], 0, v[22:23]
	v_add_u32_e32 v2, s21, v6
	v_mov_b32_e32 v3, 0
	v_lshlrev_b64 v[6:7], 4, v[2:3]
	ds_read2_b64 v[2:5], v1 offset1:1
	v_lshl_add_u64 v[24:25], s[12:13], 0, v[6:7]
	s_mov_b32 s20, s21
	s_waitcnt lgkmcnt(2)
	global_store_dwordx4 v[24:25], v[14:17], off
	s_waitcnt lgkmcnt(0)
	global_store_dwordx4 v[12:13], v[2:5], off
	s_nop 1
	v_lshl_add_u64 v[2:3], s[14:15], 0, v[6:7]
	global_store_dwordx4 v[2:3], v[18:21], off
.LBB322_22:
	ds_read2_b64 v[2:5], v9 offset1:1
	ds_read2_b64 v[10:13], v11 offset1:1
	v_ashrrev_i32_e32 v9, 31, v8
	v_add_u32_e32 v6, s20, v8
	v_lshl_add_u64 v[8:9], v[8:9], 4, s[16:17]
	v_mov_b32_e32 v7, 0
	s_waitcnt lgkmcnt(1)
	global_store_dwordx4 v[8:9], v[2:5], off
	s_nop 1
	v_lshl_add_u64 v[2:3], v[6:7], 4, s[16:17]
	s_waitcnt lgkmcnt(0)
	global_store_dwordx4 v[2:3], v[10:13], off
	s_or_b64 exec, exec, s[18:19]
	v_cmp_eq_u32_e32 vcc, 0, v0
	s_and_saveexec_b64 s[4:5], vcc
	s_cbranch_execz .LBB322_18
.LBB322_23:
	s_cmp_eq_u32 s3, 0
	s_cbranch_scc1 .LBB322_28
; %bb.24:
	s_load_dword s12, s[0:1], 0x50
	s_cbranch_execnz .LBB322_26
.LBB322_25:
	v_mov_b32_e32 v8, 0
	ds_read_b128 v[0:3], v8 offset:8192
	ds_read_b128 v[4:7], v8 offset:16368
	s_waitcnt lgkmcnt(0)
	s_load_dword s12, s[0:1], 0x50
	s_mov_b32 s4, s3
	s_ashr_i32 s3, s2, 31
	s_lshl_b64 s[14:15], s[2:3], 4
	s_add_u32 s0, s10, s14
	s_addc_u32 s1, s11, s15
	global_store_dwordx4 v8, v[0:3], s[0:1]
	s_waitcnt lgkmcnt(0)
	s_add_i32 s0, s12, s2
	s_mov_b32 s1, 0
	s_lshl_b64 s[0:1], s[0:1], 4
	s_mov_b32 s3, s4
	s_add_u32 s4, s10, s0
	s_addc_u32 s5, s11, s1
	ds_read_b128 v[0:3], v8
	global_store_dwordx4 v8, v[4:7], s[4:5]
	ds_read_b128 v[4:7], v8 offset:8176
	s_add_u32 s4, s6, s14
	s_addc_u32 s5, s7, s15
	s_add_u32 s0, s6, s0
	s_addc_u32 s1, s7, s1
	s_waitcnt lgkmcnt(1)
	global_store_dwordx4 v8, v[0:3], s[4:5]
	s_waitcnt lgkmcnt(0)
	global_store_dwordx4 v8, v[4:7], s[0:1]
.LBB322_26:
	s_waitcnt lgkmcnt(0)
	s_mul_i32 s0, s12, s3
	s_lshl_b32 s0, s0, 1
	s_add_i32 s0, s0, s2
	s_mov_b32 s1, 0
	v_mov_b32_e32 v8, 0
	s_lshl_b64 s[2:3], s[0:1], 4
	ds_read_b128 v[0:3], v8 offset:16384
	ds_read_b128 v[4:7], v8 offset:24560
	s_add_u32 s2, s8, s2
	s_addc_u32 s3, s9, s3
	s_add_i32 s0, s0, s12
	s_lshl_b64 s[0:1], s[0:1], 4
	s_add_u32 s0, s8, s0
	s_addc_u32 s1, s9, s1
	s_waitcnt lgkmcnt(1)
	global_store_dwordx4 v8, v[0:3], s[2:3]
	s_waitcnt lgkmcnt(0)
	global_store_dwordx4 v8, v[4:7], s[0:1]
	s_endpgm
.LBB322_27:
                                        ; implicit-def: $sgpr20
	s_branch .LBB322_21
.LBB322_28:
                                        ; implicit-def: $sgpr12
	s_branch .LBB322_25
	.section	.rodata,"a",@progbits
	.p2align	6, 0x0
	.amdhsa_kernel _ZN9rocsparseL29gtsv_spike_block_level_kernelILj256ELj32E21rocsparse_complex_numIdEEEviiiPT1_PKS3_S6_S4_S4_S4_S4_S4_
		.amdhsa_group_segment_fixed_size 24576
		.amdhsa_private_segment_fixed_size 0
		.amdhsa_kernarg_size 336
		.amdhsa_user_sgpr_count 2
		.amdhsa_user_sgpr_dispatch_ptr 0
		.amdhsa_user_sgpr_queue_ptr 0
		.amdhsa_user_sgpr_kernarg_segment_ptr 1
		.amdhsa_user_sgpr_dispatch_id 0
		.amdhsa_user_sgpr_kernarg_preload_length 0
		.amdhsa_user_sgpr_kernarg_preload_offset 0
		.amdhsa_user_sgpr_private_segment_size 0
		.amdhsa_uses_dynamic_stack 0
		.amdhsa_enable_private_segment 0
		.amdhsa_system_sgpr_workgroup_id_x 1
		.amdhsa_system_sgpr_workgroup_id_y 1
		.amdhsa_system_sgpr_workgroup_id_z 0
		.amdhsa_system_sgpr_workgroup_info 0
		.amdhsa_system_vgpr_workitem_id 0
		.amdhsa_next_free_vgpr 73
		.amdhsa_next_free_sgpr 91
		.amdhsa_accum_offset 48
		.amdhsa_reserve_vcc 1
		.amdhsa_float_round_mode_32 0
		.amdhsa_float_round_mode_16_64 0
		.amdhsa_float_denorm_mode_32 3
		.amdhsa_float_denorm_mode_16_64 3
		.amdhsa_dx10_clamp 1
		.amdhsa_ieee_mode 1
		.amdhsa_fp16_overflow 0
		.amdhsa_tg_split 0
		.amdhsa_exception_fp_ieee_invalid_op 0
		.amdhsa_exception_fp_denorm_src 0
		.amdhsa_exception_fp_ieee_div_zero 0
		.amdhsa_exception_fp_ieee_overflow 0
		.amdhsa_exception_fp_ieee_underflow 0
		.amdhsa_exception_fp_ieee_inexact 0
		.amdhsa_exception_int_div_zero 0
	.end_amdhsa_kernel
	.section	.text._ZN9rocsparseL29gtsv_spike_block_level_kernelILj256ELj32E21rocsparse_complex_numIdEEEviiiPT1_PKS3_S6_S4_S4_S4_S4_S4_,"axG",@progbits,_ZN9rocsparseL29gtsv_spike_block_level_kernelILj256ELj32E21rocsparse_complex_numIdEEEviiiPT1_PKS3_S6_S4_S4_S4_S4_S4_,comdat
.Lfunc_end322:
	.size	_ZN9rocsparseL29gtsv_spike_block_level_kernelILj256ELj32E21rocsparse_complex_numIdEEEviiiPT1_PKS3_S6_S4_S4_S4_S4_S4_, .Lfunc_end322-_ZN9rocsparseL29gtsv_spike_block_level_kernelILj256ELj32E21rocsparse_complex_numIdEEEviiiPT1_PKS3_S6_S4_S4_S4_S4_S4_
                                        ; -- End function
	.set _ZN9rocsparseL29gtsv_spike_block_level_kernelILj256ELj32E21rocsparse_complex_numIdEEEviiiPT1_PKS3_S6_S4_S4_S4_S4_S4_.num_vgpr, 48
	.set _ZN9rocsparseL29gtsv_spike_block_level_kernelILj256ELj32E21rocsparse_complex_numIdEEEviiiPT1_PKS3_S6_S4_S4_S4_S4_S4_.num_agpr, 0
	.set _ZN9rocsparseL29gtsv_spike_block_level_kernelILj256ELj32E21rocsparse_complex_numIdEEEviiiPT1_PKS3_S6_S4_S4_S4_S4_S4_.numbered_sgpr, 26
	.set _ZN9rocsparseL29gtsv_spike_block_level_kernelILj256ELj32E21rocsparse_complex_numIdEEEviiiPT1_PKS3_S6_S4_S4_S4_S4_S4_.num_named_barrier, 0
	.set _ZN9rocsparseL29gtsv_spike_block_level_kernelILj256ELj32E21rocsparse_complex_numIdEEEviiiPT1_PKS3_S6_S4_S4_S4_S4_S4_.private_seg_size, 0
	.set _ZN9rocsparseL29gtsv_spike_block_level_kernelILj256ELj32E21rocsparse_complex_numIdEEEviiiPT1_PKS3_S6_S4_S4_S4_S4_S4_.uses_vcc, 1
	.set _ZN9rocsparseL29gtsv_spike_block_level_kernelILj256ELj32E21rocsparse_complex_numIdEEEviiiPT1_PKS3_S6_S4_S4_S4_S4_S4_.uses_flat_scratch, 0
	.set _ZN9rocsparseL29gtsv_spike_block_level_kernelILj256ELj32E21rocsparse_complex_numIdEEEviiiPT1_PKS3_S6_S4_S4_S4_S4_S4_.has_dyn_sized_stack, 0
	.set _ZN9rocsparseL29gtsv_spike_block_level_kernelILj256ELj32E21rocsparse_complex_numIdEEEviiiPT1_PKS3_S6_S4_S4_S4_S4_S4_.has_recursion, 0
	.set _ZN9rocsparseL29gtsv_spike_block_level_kernelILj256ELj32E21rocsparse_complex_numIdEEEviiiPT1_PKS3_S6_S4_S4_S4_S4_S4_.has_indirect_call, 0
	.section	.AMDGPU.csdata,"",@progbits
; Kernel info:
; codeLenInByte = 2088
; TotalNumSgprs: 32
; NumVgprs: 48
; NumAgprs: 0
; TotalNumVgprs: 48
; ScratchSize: 0
; MemoryBound: 1
; FloatMode: 240
; IeeeMode: 1
; LDSByteSize: 24576 bytes/workgroup (compile time only)
; SGPRBlocks: 12
; VGPRBlocks: 9
; NumSGPRsForWavesPerEU: 97
; NumVGPRsForWavesPerEU: 73
; AccumOffset: 48
; Occupancy: 6
; WaveLimiterHint : 0
; COMPUTE_PGM_RSRC2:SCRATCH_EN: 0
; COMPUTE_PGM_RSRC2:USER_SGPR: 2
; COMPUTE_PGM_RSRC2:TRAP_HANDLER: 0
; COMPUTE_PGM_RSRC2:TGID_X_EN: 1
; COMPUTE_PGM_RSRC2:TGID_Y_EN: 1
; COMPUTE_PGM_RSRC2:TGID_Z_EN: 0
; COMPUTE_PGM_RSRC2:TIDIG_COMP_CNT: 0
; COMPUTE_PGM_RSRC3_GFX90A:ACCUM_OFFSET: 11
; COMPUTE_PGM_RSRC3_GFX90A:TG_SPLIT: 0
	.section	.text._ZN9rocsparseL33gtsv_solve_spike_propagate_kernelILj256ELj32E21rocsparse_complex_numIdEEEviiiPT1_PKS3_S6_S6_,"axG",@progbits,_ZN9rocsparseL33gtsv_solve_spike_propagate_kernelILj256ELj32E21rocsparse_complex_numIdEEEviiiPT1_PKS3_S6_S6_,comdat
	.globl	_ZN9rocsparseL33gtsv_solve_spike_propagate_kernelILj256ELj32E21rocsparse_complex_numIdEEEviiiPT1_PKS3_S6_S6_ ; -- Begin function _ZN9rocsparseL33gtsv_solve_spike_propagate_kernelILj256ELj32E21rocsparse_complex_numIdEEEviiiPT1_PKS3_S6_S6_
	.p2align	8
	.type	_ZN9rocsparseL33gtsv_solve_spike_propagate_kernelILj256ELj32E21rocsparse_complex_numIdEEEviiiPT1_PKS3_S6_S6_,@function
_ZN9rocsparseL33gtsv_solve_spike_propagate_kernelILj256ELj32E21rocsparse_complex_numIdEEEviiiPT1_PKS3_S6_S6_: ; @_ZN9rocsparseL33gtsv_solve_spike_propagate_kernelILj256ELj32E21rocsparse_complex_numIdEEEviiiPT1_PKS3_S6_S6_
; %bb.0:
	s_load_dword s8, s[0:1], 0x0
	v_lshl_or_b32 v2, s2, 8, v0
	v_lshlrev_b32_e32 v4, 4, v0
	s_waitcnt lgkmcnt(0)
	s_lshr_b32 s20, s8, 5
	v_cmp_gt_i32_e32 vcc, s20, v2
	v_cmp_le_i32_e64 s[4:5], s20, v2
	s_and_saveexec_b64 s[6:7], s[4:5]
	s_xor_b64 s[6:7], exec, s[6:7]
; %bb.1:
	v_mov_b32_e32 v6, 0
	v_mov_b32_e32 v7, v6
	;; [unrolled: 1-line block ×4, first 2 shown]
	ds_write_b128 v4, v[6:9] offset:16416
; %bb.2:
	s_or_saveexec_b64 s[6:7], s[6:7]
	v_mov_b64_e32 v[6:7], 0
	v_ashrrev_i32_e32 v3, 31, v2
	v_mov_b64_e32 v[8:9], 0
	s_xor_b64 exec, exec, s[6:7]
	s_cbranch_execz .LBB323_4
; %bb.3:
	s_load_dwordx2 s[10:11], s[0:1], 0x18
	v_mad_u64_u32 v[6:7], s[12:13], s20, 31, v[2:3]
	v_mov_b32_e32 v7, 0
	s_waitcnt lgkmcnt(0)
	v_lshl_add_u64 v[14:15], v[2:3], 4, s[10:11]
	v_lshl_add_u64 v[16:17], v[6:7], 4, s[10:11]
	global_load_dwordx4 v[10:13], v[14:15], off
	global_load_dwordx4 v[6:9], v[16:17], off
	s_waitcnt vmcnt(1)
	ds_write_b128 v4, v[10:13] offset:16416
.LBB323_4:
	s_or_b64 exec, exec, s[6:7]
	s_waitcnt vmcnt(0)
	ds_write_b128 v4, v[6:9] offset:20512
	s_and_saveexec_b64 s[6:7], s[4:5]
	s_xor_b64 s[4:5], exec, s[6:7]
; %bb.5:
	v_mov_b32_e32 v6, 0
	v_mov_b32_e32 v7, v6
	;; [unrolled: 1-line block ×4, first 2 shown]
	ds_write_b128 v4, v[6:9] offset:8224
; %bb.6:
	s_or_saveexec_b64 s[4:5], s[4:5]
	s_load_dwordx2 s[6:7], s[0:1], 0x10
	v_mov_b64_e32 v[8:9], 0
	v_mov_b64_e32 v[10:11], 0
	v_mov_b64_e32 v[12:13], 0
	s_xor_b64 exec, exec, s[4:5]
	s_cbranch_execz .LBB323_8
; %bb.7:
	s_load_dwordx2 s[10:11], s[0:1], 0x20
	v_mad_u64_u32 v[6:7], s[12:13], s20, 31, v[2:3]
	v_mov_b32_e32 v7, 0
	s_waitcnt lgkmcnt(0)
	v_lshl_add_u64 v[18:19], v[2:3], 4, s[10:11]
	v_lshl_add_u64 v[6:7], v[6:7], 4, s[10:11]
	global_load_dwordx4 v[14:17], v[18:19], off
	global_load_dwordx4 v[10:13], v[6:7], off
	s_waitcnt vmcnt(1)
	ds_write_b128 v4, v[14:17] offset:8224
.LBB323_8:
	s_or_b64 exec, exec, s[4:5]
	s_mul_i32 s8, s8, s3
	v_mov_b64_e32 v[6:7], 0
	s_waitcnt vmcnt(0)
	ds_write_b128 v4, v[10:13] offset:12320
	s_and_saveexec_b64 s[4:5], vcc
	s_cbranch_execz .LBB323_10
; %bb.9:
	s_mul_i32 s9, s20, 31
	s_add_i32 s9, s9, s8
	v_add_u32_e32 v6, s9, v2
	v_mov_b32_e32 v7, 0
	s_waitcnt lgkmcnt(0)
	v_lshl_add_u64 v[6:7], v[6:7], 4, s[6:7]
	global_load_dwordx4 v[6:9], v[6:7], off
.LBB323_10:
	s_or_b64 exec, exec, s[4:5]
	s_waitcnt vmcnt(0)
	ds_write_b128 v4, v[6:9] offset:16
	v_mov_b64_e32 v[8:9], 0
	v_add_u32_e32 v2, s8, v2
	v_mov_b64_e32 v[6:7], 0
	s_and_saveexec_b64 s[4:5], vcc
	s_cbranch_execz .LBB323_12
; %bb.11:
	v_ashrrev_i32_e32 v3, 31, v2
	s_waitcnt lgkmcnt(0)
	v_lshl_add_u64 v[6:7], v[2:3], 4, s[6:7]
	global_load_dwordx4 v[6:9], v[6:7], off
.LBB323_12:
	s_or_b64 exec, exec, s[4:5]
	v_cmp_eq_u32_e64 s[4:5], 0, v0
	s_waitcnt vmcnt(0)
	ds_write_b128 v4, v[6:9] offset:4112
	s_waitcnt lgkmcnt(0)
	s_barrier
	s_and_saveexec_b64 s[16:17], s[4:5]
	s_cbranch_execz .LBB323_18
; %bb.13:
	s_load_dword s21, s[0:1], 0x30
	s_load_dwordx2 s[18:19], s[0:1], 0x28
	s_cmp_lt_i32 s2, 1
	s_mov_b64 s[10:11], 0
	s_mov_b64 s[14:15], 0
	s_waitcnt lgkmcnt(0)
	s_mul_i32 s3, s3, s21
	s_mov_b64 s[12:13], 0
	s_cbranch_scc1 .LBB323_15
; %bb.14:
	s_lshl_b32 s0, s3, 1
	s_add_i32 s1, s2, s21
	s_add_i32 s0, s1, s0
	s_add_i32 s0, s0, -1
	s_mov_b32 s1, 0
	s_lshl_b64 s[0:1], s[0:1], 4
	s_add_u32 s0, s18, s0
	s_addc_u32 s1, s19, s1
	s_load_dwordx4 s[12:15], s[0:1], 0x0
.LBB323_15:
	s_add_i32 s0, s21, -1
	s_waitcnt lgkmcnt(0)
	v_mov_b32_e32 v6, s12
	v_mov_b32_e32 v7, s13
	v_mov_b32_e32 v8, s14
	v_mov_b32_e32 v9, s15
	v_mov_b32_e32 v1, 0
	s_cmp_ge_u32 s2, s0
	s_mov_b64 s[8:9], 0
	ds_write_b128 v1, v[6:9]
	s_cbranch_scc1 .LBB323_17
; %bb.16:
	s_lshl_b32 s0, s3, 1
	s_add_i32 s0, s2, s0
	s_add_i32 s0, s0, 1
	s_mov_b32 s1, 0
	s_lshl_b64 s[0:1], s[0:1], 4
	s_add_u32 s0, s18, s0
	s_addc_u32 s1, s19, s1
	s_load_dwordx4 s[8:11], s[0:1], 0x0
.LBB323_17:
	s_lshl_b32 s0, s3, 1
	s_add_i32 s0, s0, s2
	s_mov_b32 s1, 0
	s_lshl_b64 s[2:3], s[0:1], 4
	s_add_u32 s2, s18, s2
	s_addc_u32 s3, s19, s3
	s_add_i32 s0, s0, s21
	s_lshl_b64 s[0:1], s[0:1], 4
	s_add_u32 s0, s18, s0
	s_addc_u32 s1, s19, s1
	global_load_dwordx4 v[6:9], v1, s[2:3]
	global_load_dwordx4 v[10:13], v1, s[0:1]
	s_waitcnt lgkmcnt(0)
	v_mov_b32_e32 v14, s8
	v_mov_b32_e32 v15, s9
	;; [unrolled: 1-line block ×4, first 2 shown]
	ds_write_b128 v1, v[14:17] offset:8208
	s_waitcnt vmcnt(1)
	ds_write_b128 v1, v[6:9] offset:4112
	s_waitcnt vmcnt(0)
	ds_write_b128 v1, v[10:13] offset:4096
.LBB323_18:
	s_or_b64 exec, exec, s[16:17]
	v_add_u32_e32 v1, 16, v4
	v_add_u32_e32 v3, 0x1010, v4
	s_waitcnt lgkmcnt(0)
	s_barrier
	s_and_saveexec_b64 s[0:1], s[4:5]
	s_cbranch_execz .LBB323_20
; %bb.19:
	v_mov_b32_e32 v34, 0
	ds_read_b128 v[4:7], v34 offset:8208
	ds_read_b128 v[8:11], v34 offset:14352
	;; [unrolled: 1-line block ×5, first 2 shown]
	ds_read_b128 v[24:27], v34
	ds_read_b128 v[28:31], v34 offset:22544
	s_waitcnt lgkmcnt(5)
	v_mul_f64 v[32:33], v[6:7], -v[10:11]
	v_fmac_f64_e32 v[32:33], v[8:9], v[4:5]
	v_mul_f64 v[8:9], v[6:7], v[8:9]
	v_fmac_f64_e32 v[8:9], v[10:11], v[4:5]
	s_waitcnt lgkmcnt(4)
	v_add_f64 v[12:13], v[12:13], -v[32:33]
	s_waitcnt lgkmcnt(0)
	v_mul_f64 v[32:33], v[26:27], -v[30:31]
	v_add_f64 v[14:15], v[14:15], -v[8:9]
	ds_read_b128 v[8:11], v34 offset:18464
	v_fmac_f64_e32 v[32:33], v[28:29], v[24:25]
	v_mul_f64 v[28:29], v[26:27], v[28:29]
	v_fmac_f64_e32 v[28:29], v[30:31], v[24:25]
	v_add_f64 v[12:13], v[12:13], -v[32:33]
	v_add_f64 v[14:15], v[14:15], -v[28:29]
	ds_write_b128 v34, v[12:15] offset:2048
	v_mul_f64 v[12:13], v[6:7], -v[18:19]
	v_fmac_f64_e32 v[12:13], v[16:17], v[4:5]
	v_mul_f64 v[6:7], v[6:7], v[16:17]
	v_fmac_f64_e32 v[6:7], v[18:19], v[4:5]
	v_add_f64 v[4:5], v[20:21], -v[12:13]
	s_waitcnt lgkmcnt(1)
	v_mul_f64 v[12:13], v[26:27], -v[10:11]
	v_fmac_f64_e32 v[12:13], v[8:9], v[24:25]
	v_mul_f64 v[8:9], v[26:27], v[8:9]
	v_add_f64 v[6:7], v[22:23], -v[6:7]
	v_fmac_f64_e32 v[8:9], v[10:11], v[24:25]
	v_add_f64 v[4:5], v[4:5], -v[12:13]
	v_add_f64 v[6:7], v[6:7], -v[8:9]
	ds_write_b128 v34, v[4:7] offset:6160
.LBB323_20:
	s_or_b64 exec, exec, s[0:1]
	v_cmp_gt_u32_e64 s[0:1], 2, v0
	s_waitcnt lgkmcnt(0)
	s_barrier
	s_and_saveexec_b64 s[2:3], s[0:1]
	s_cbranch_execz .LBB323_22
; %bb.21:
	v_lshlrev_b32_e32 v34, 11, v0
	ds_read_b128 v[4:7], v34 offset:6160
	ds_read_b128 v[8:11], v34 offset:13328
	ds_read_b128 v[12:15], v34 offset:1024
	ds_read_b128 v[16:19], v34 offset:9248
	ds_read_b128 v[20:23], v34 offset:5136
	ds_read_b128 v[24:27], v34
	ds_read_b128 v[28:31], v34 offset:21520
	s_waitcnt lgkmcnt(5)
	v_mul_f64 v[32:33], v[6:7], -v[10:11]
	v_fmac_f64_e32 v[32:33], v[8:9], v[4:5]
	v_mul_f64 v[8:9], v[6:7], v[8:9]
	v_fmac_f64_e32 v[8:9], v[10:11], v[4:5]
	s_waitcnt lgkmcnt(4)
	v_add_f64 v[12:13], v[12:13], -v[32:33]
	s_waitcnt lgkmcnt(0)
	v_mul_f64 v[32:33], v[26:27], -v[30:31]
	v_add_f64 v[14:15], v[14:15], -v[8:9]
	ds_read_b128 v[8:11], v34 offset:17440
	v_fmac_f64_e32 v[32:33], v[28:29], v[24:25]
	v_mul_f64 v[28:29], v[26:27], v[28:29]
	v_fmac_f64_e32 v[28:29], v[30:31], v[24:25]
	v_add_f64 v[12:13], v[12:13], -v[32:33]
	v_add_f64 v[14:15], v[14:15], -v[28:29]
	ds_write_b128 v34, v[12:15] offset:1024
	v_mul_f64 v[12:13], v[6:7], -v[18:19]
	v_fmac_f64_e32 v[12:13], v[16:17], v[4:5]
	v_mul_f64 v[6:7], v[6:7], v[16:17]
	v_fmac_f64_e32 v[6:7], v[18:19], v[4:5]
	v_add_f64 v[4:5], v[20:21], -v[12:13]
	s_waitcnt lgkmcnt(1)
	v_mul_f64 v[12:13], v[26:27], -v[10:11]
	v_fmac_f64_e32 v[12:13], v[8:9], v[24:25]
	v_mul_f64 v[8:9], v[26:27], v[8:9]
	v_add_f64 v[6:7], v[22:23], -v[6:7]
	v_fmac_f64_e32 v[8:9], v[10:11], v[24:25]
	v_add_f64 v[4:5], v[4:5], -v[12:13]
	v_add_f64 v[6:7], v[6:7], -v[8:9]
	ds_write_b128 v34, v[4:7] offset:5136
.LBB323_22:
	s_or_b64 exec, exec, s[2:3]
	v_cmp_gt_u32_e64 s[0:1], 4, v0
	s_waitcnt lgkmcnt(0)
	s_barrier
	s_and_saveexec_b64 s[2:3], s[0:1]
	s_cbranch_execz .LBB323_24
; %bb.23:
	v_lshlrev_b32_e32 v34, 10, v0
	ds_read_b128 v[4:7], v34 offset:5136
	ds_read_b128 v[8:11], v34 offset:12816
	ds_read_b128 v[12:15], v34 offset:512
	ds_read_b128 v[16:19], v34 offset:8736
	ds_read_b128 v[20:23], v34 offset:4624
	ds_read_b128 v[24:27], v34
	ds_read_b128 v[28:31], v34 offset:21008
	s_waitcnt lgkmcnt(5)
	v_mul_f64 v[32:33], v[6:7], -v[10:11]
	v_fmac_f64_e32 v[32:33], v[8:9], v[4:5]
	v_mul_f64 v[8:9], v[6:7], v[8:9]
	v_fmac_f64_e32 v[8:9], v[10:11], v[4:5]
	s_waitcnt lgkmcnt(4)
	v_add_f64 v[12:13], v[12:13], -v[32:33]
	s_waitcnt lgkmcnt(0)
	v_mul_f64 v[32:33], v[26:27], -v[30:31]
	v_add_f64 v[14:15], v[14:15], -v[8:9]
	ds_read_b128 v[8:11], v34 offset:16928
	v_fmac_f64_e32 v[32:33], v[28:29], v[24:25]
	v_mul_f64 v[28:29], v[26:27], v[28:29]
	v_fmac_f64_e32 v[28:29], v[30:31], v[24:25]
	v_add_f64 v[12:13], v[12:13], -v[32:33]
	v_add_f64 v[14:15], v[14:15], -v[28:29]
	ds_write_b128 v34, v[12:15] offset:512
	v_mul_f64 v[12:13], v[6:7], -v[18:19]
	v_fmac_f64_e32 v[12:13], v[16:17], v[4:5]
	v_mul_f64 v[6:7], v[6:7], v[16:17]
	v_fmac_f64_e32 v[6:7], v[18:19], v[4:5]
	v_add_f64 v[4:5], v[20:21], -v[12:13]
	s_waitcnt lgkmcnt(1)
	v_mul_f64 v[12:13], v[26:27], -v[10:11]
	v_fmac_f64_e32 v[12:13], v[8:9], v[24:25]
	v_mul_f64 v[8:9], v[26:27], v[8:9]
	v_add_f64 v[6:7], v[22:23], -v[6:7]
	v_fmac_f64_e32 v[8:9], v[10:11], v[24:25]
	v_add_f64 v[4:5], v[4:5], -v[12:13]
	v_add_f64 v[6:7], v[6:7], -v[8:9]
	ds_write_b128 v34, v[4:7] offset:4624
.LBB323_24:
	;; [unrolled: 47-line block ×5, first 2 shown]
	s_or_b64 exec, exec, s[2:3]
	v_cmp_gt_u32_e64 s[0:1], 64, v0
	s_waitcnt lgkmcnt(0)
	s_barrier
	s_and_saveexec_b64 s[2:3], s[0:1]
	s_cbranch_execz .LBB323_32
; %bb.31:
	v_lshlrev_b32_e32 v34, 6, v0
	ds_read_b128 v[4:7], v34 offset:4176
	ds_read_b128 v[8:11], v34 offset:12336
	;; [unrolled: 1-line block ×4, first 2 shown]
	ds_read_b128 v[20:23], v34
	ds_read_b128 v[24:27], v34 offset:32
	ds_read_b128 v[28:31], v34 offset:20528
	s_waitcnt lgkmcnt(5)
	v_mul_f64 v[32:33], v[6:7], -v[10:11]
	v_fmac_f64_e32 v[32:33], v[8:9], v[4:5]
	v_mul_f64 v[8:9], v[6:7], v[8:9]
	v_fmac_f64_e32 v[8:9], v[10:11], v[4:5]
	s_waitcnt lgkmcnt(1)
	v_add_f64 v[24:25], v[24:25], -v[32:33]
	v_add_f64 v[26:27], v[26:27], -v[8:9]
	ds_read_b128 v[8:11], v34 offset:16448
	s_waitcnt lgkmcnt(1)
	v_mul_f64 v[32:33], v[22:23], -v[30:31]
	v_fmac_f64_e32 v[32:33], v[28:29], v[20:21]
	v_mul_f64 v[28:29], v[22:23], v[28:29]
	v_fmac_f64_e32 v[28:29], v[30:31], v[20:21]
	v_add_f64 v[24:25], v[24:25], -v[32:33]
	v_add_f64 v[26:27], v[26:27], -v[28:29]
	ds_write_b128 v34, v[24:27] offset:32
	v_mul_f64 v[24:25], v[6:7], -v[14:15]
	v_fmac_f64_e32 v[24:25], v[12:13], v[4:5]
	v_mul_f64 v[6:7], v[6:7], v[12:13]
	s_waitcnt lgkmcnt(1)
	v_mul_f64 v[12:13], v[22:23], -v[10:11]
	v_fmac_f64_e32 v[6:7], v[14:15], v[4:5]
	v_fmac_f64_e32 v[12:13], v[8:9], v[20:21]
	v_mul_f64 v[8:9], v[22:23], v[8:9]
	v_add_f64 v[4:5], v[16:17], -v[24:25]
	v_add_f64 v[6:7], v[18:19], -v[6:7]
	v_fmac_f64_e32 v[8:9], v[10:11], v[20:21]
	v_add_f64 v[4:5], v[4:5], -v[12:13]
	v_add_f64 v[6:7], v[6:7], -v[8:9]
	ds_write_b128 v34, v[4:7] offset:4144
.LBB323_32:
	s_or_b64 exec, exec, s[2:3]
	s_movk_i32 s0, 0x80
	v_cmp_gt_u32_e64 s[0:1], s0, v0
	s_waitcnt lgkmcnt(0)
	s_barrier
	s_and_saveexec_b64 s[2:3], s[0:1]
	s_cbranch_execz .LBB323_34
; %bb.33:
	v_lshlrev_b32_e32 v0, 5, v0
	ds_read_b128 v[4:7], v0 offset:4144
	ds_read_b128 v[8:11], v0 offset:12320
	ds_read_b128 v[12:15], v0 offset:8240
	ds_read_b128 v[16:19], v0 offset:4128
	ds_read_b128 v[20:23], v0
	ds_read_b128 v[24:27], v0 offset:16
	ds_read_b128 v[28:31], v0 offset:20512
	s_waitcnt lgkmcnt(5)
	v_mul_f64 v[32:33], v[6:7], -v[10:11]
	v_fmac_f64_e32 v[32:33], v[8:9], v[4:5]
	v_mul_f64 v[8:9], v[6:7], v[8:9]
	v_fmac_f64_e32 v[8:9], v[10:11], v[4:5]
	s_waitcnt lgkmcnt(1)
	v_add_f64 v[24:25], v[24:25], -v[32:33]
	v_add_f64 v[26:27], v[26:27], -v[8:9]
	ds_read_b128 v[8:11], v0 offset:16432
	s_waitcnt lgkmcnt(1)
	v_mul_f64 v[32:33], v[22:23], -v[30:31]
	v_fmac_f64_e32 v[32:33], v[28:29], v[20:21]
	v_mul_f64 v[28:29], v[22:23], v[28:29]
	v_fmac_f64_e32 v[28:29], v[30:31], v[20:21]
	v_add_f64 v[24:25], v[24:25], -v[32:33]
	v_add_f64 v[26:27], v[26:27], -v[28:29]
	ds_write_b128 v0, v[24:27] offset:16
	v_mul_f64 v[24:25], v[6:7], -v[14:15]
	v_fmac_f64_e32 v[24:25], v[12:13], v[4:5]
	v_mul_f64 v[6:7], v[6:7], v[12:13]
	s_waitcnt lgkmcnt(1)
	v_mul_f64 v[12:13], v[22:23], -v[10:11]
	v_fmac_f64_e32 v[6:7], v[14:15], v[4:5]
	v_fmac_f64_e32 v[12:13], v[8:9], v[20:21]
	v_mul_f64 v[8:9], v[22:23], v[8:9]
	v_add_f64 v[4:5], v[16:17], -v[24:25]
	v_add_f64 v[6:7], v[18:19], -v[6:7]
	v_fmac_f64_e32 v[8:9], v[10:11], v[20:21]
	v_add_f64 v[4:5], v[4:5], -v[12:13]
	v_add_f64 v[6:7], v[6:7], -v[8:9]
	ds_write_b128 v0, v[4:7] offset:4128
.LBB323_34:
	s_or_b64 exec, exec, s[2:3]
	s_waitcnt lgkmcnt(0)
	s_barrier
	s_and_saveexec_b64 s[0:1], vcc
	s_cbranch_execz .LBB323_36
; %bb.35:
	ds_read2_b64 v[4:7], v3 offset1:1
	ds_read2_b64 v[8:11], v1 offset1:1
	v_ashrrev_i32_e32 v3, 31, v2
	v_lshl_add_u64 v[0:1], v[2:3], 4, s[6:7]
	s_waitcnt lgkmcnt(1)
	global_store_dwordx4 v[0:1], v[4:7], off
	v_mad_u64_u32 v[0:1], s[0:1], s20, 31, v[2:3]
	v_mov_b32_e32 v1, 0
	v_lshl_add_u64 v[0:1], v[0:1], 4, s[6:7]
	s_waitcnt lgkmcnt(0)
	global_store_dwordx4 v[0:1], v[8:11], off
.LBB323_36:
	s_endpgm
	.section	.rodata,"a",@progbits
	.p2align	6, 0x0
	.amdhsa_kernel _ZN9rocsparseL33gtsv_solve_spike_propagate_kernelILj256ELj32E21rocsparse_complex_numIdEEEviiiPT1_PKS3_S6_S6_
		.amdhsa_group_segment_fixed_size 24608
		.amdhsa_private_segment_fixed_size 0
		.amdhsa_kernarg_size 304
		.amdhsa_user_sgpr_count 2
		.amdhsa_user_sgpr_dispatch_ptr 0
		.amdhsa_user_sgpr_queue_ptr 0
		.amdhsa_user_sgpr_kernarg_segment_ptr 1
		.amdhsa_user_sgpr_dispatch_id 0
		.amdhsa_user_sgpr_kernarg_preload_length 0
		.amdhsa_user_sgpr_kernarg_preload_offset 0
		.amdhsa_user_sgpr_private_segment_size 0
		.amdhsa_uses_dynamic_stack 0
		.amdhsa_enable_private_segment 0
		.amdhsa_system_sgpr_workgroup_id_x 1
		.amdhsa_system_sgpr_workgroup_id_y 1
		.amdhsa_system_sgpr_workgroup_id_z 0
		.amdhsa_system_sgpr_workgroup_info 0
		.amdhsa_system_vgpr_workitem_id 0
		.amdhsa_next_free_vgpr 73
		.amdhsa_next_free_sgpr 91
		.amdhsa_accum_offset 36
		.amdhsa_reserve_vcc 1
		.amdhsa_float_round_mode_32 0
		.amdhsa_float_round_mode_16_64 0
		.amdhsa_float_denorm_mode_32 3
		.amdhsa_float_denorm_mode_16_64 3
		.amdhsa_dx10_clamp 1
		.amdhsa_ieee_mode 1
		.amdhsa_fp16_overflow 0
		.amdhsa_tg_split 0
		.amdhsa_exception_fp_ieee_invalid_op 0
		.amdhsa_exception_fp_denorm_src 0
		.amdhsa_exception_fp_ieee_div_zero 0
		.amdhsa_exception_fp_ieee_overflow 0
		.amdhsa_exception_fp_ieee_underflow 0
		.amdhsa_exception_fp_ieee_inexact 0
		.amdhsa_exception_int_div_zero 0
	.end_amdhsa_kernel
	.section	.text._ZN9rocsparseL33gtsv_solve_spike_propagate_kernelILj256ELj32E21rocsparse_complex_numIdEEEviiiPT1_PKS3_S6_S6_,"axG",@progbits,_ZN9rocsparseL33gtsv_solve_spike_propagate_kernelILj256ELj32E21rocsparse_complex_numIdEEEviiiPT1_PKS3_S6_S6_,comdat
.Lfunc_end323:
	.size	_ZN9rocsparseL33gtsv_solve_spike_propagate_kernelILj256ELj32E21rocsparse_complex_numIdEEEviiiPT1_PKS3_S6_S6_, .Lfunc_end323-_ZN9rocsparseL33gtsv_solve_spike_propagate_kernelILj256ELj32E21rocsparse_complex_numIdEEEviiiPT1_PKS3_S6_S6_
                                        ; -- End function
	.set _ZN9rocsparseL33gtsv_solve_spike_propagate_kernelILj256ELj32E21rocsparse_complex_numIdEEEviiiPT1_PKS3_S6_S6_.num_vgpr, 35
	.set _ZN9rocsparseL33gtsv_solve_spike_propagate_kernelILj256ELj32E21rocsparse_complex_numIdEEEviiiPT1_PKS3_S6_S6_.num_agpr, 0
	.set _ZN9rocsparseL33gtsv_solve_spike_propagate_kernelILj256ELj32E21rocsparse_complex_numIdEEEviiiPT1_PKS3_S6_S6_.numbered_sgpr, 22
	.set _ZN9rocsparseL33gtsv_solve_spike_propagate_kernelILj256ELj32E21rocsparse_complex_numIdEEEviiiPT1_PKS3_S6_S6_.num_named_barrier, 0
	.set _ZN9rocsparseL33gtsv_solve_spike_propagate_kernelILj256ELj32E21rocsparse_complex_numIdEEEviiiPT1_PKS3_S6_S6_.private_seg_size, 0
	.set _ZN9rocsparseL33gtsv_solve_spike_propagate_kernelILj256ELj32E21rocsparse_complex_numIdEEEviiiPT1_PKS3_S6_S6_.uses_vcc, 1
	.set _ZN9rocsparseL33gtsv_solve_spike_propagate_kernelILj256ELj32E21rocsparse_complex_numIdEEEviiiPT1_PKS3_S6_S6_.uses_flat_scratch, 0
	.set _ZN9rocsparseL33gtsv_solve_spike_propagate_kernelILj256ELj32E21rocsparse_complex_numIdEEEviiiPT1_PKS3_S6_S6_.has_dyn_sized_stack, 0
	.set _ZN9rocsparseL33gtsv_solve_spike_propagate_kernelILj256ELj32E21rocsparse_complex_numIdEEEviiiPT1_PKS3_S6_S6_.has_recursion, 0
	.set _ZN9rocsparseL33gtsv_solve_spike_propagate_kernelILj256ELj32E21rocsparse_complex_numIdEEEviiiPT1_PKS3_S6_S6_.has_indirect_call, 0
	.section	.AMDGPU.csdata,"",@progbits
; Kernel info:
; codeLenInByte = 3164
; TotalNumSgprs: 28
; NumVgprs: 35
; NumAgprs: 0
; TotalNumVgprs: 35
; ScratchSize: 0
; MemoryBound: 0
; FloatMode: 240
; IeeeMode: 1
; LDSByteSize: 24608 bytes/workgroup (compile time only)
; SGPRBlocks: 12
; VGPRBlocks: 9
; NumSGPRsForWavesPerEU: 97
; NumVGPRsForWavesPerEU: 73
; AccumOffset: 36
; Occupancy: 6
; WaveLimiterHint : 0
; COMPUTE_PGM_RSRC2:SCRATCH_EN: 0
; COMPUTE_PGM_RSRC2:USER_SGPR: 2
; COMPUTE_PGM_RSRC2:TRAP_HANDLER: 0
; COMPUTE_PGM_RSRC2:TGID_X_EN: 1
; COMPUTE_PGM_RSRC2:TGID_Y_EN: 1
; COMPUTE_PGM_RSRC2:TGID_Z_EN: 0
; COMPUTE_PGM_RSRC2:TIDIG_COMP_CNT: 0
; COMPUTE_PGM_RSRC3_GFX90A:ACCUM_OFFSET: 8
; COMPUTE_PGM_RSRC3_GFX90A:TG_SPLIT: 0
	.section	.text._ZN9rocsparseL39gtsv_spike_backward_substitution_kernelILj256ELj32E21rocsparse_complex_numIdEEEviiiPT1_PKS3_S6_,"axG",@progbits,_ZN9rocsparseL39gtsv_spike_backward_substitution_kernelILj256ELj32E21rocsparse_complex_numIdEEEviiiPT1_PKS3_S6_,comdat
	.globl	_ZN9rocsparseL39gtsv_spike_backward_substitution_kernelILj256ELj32E21rocsparse_complex_numIdEEEviiiPT1_PKS3_S6_ ; -- Begin function _ZN9rocsparseL39gtsv_spike_backward_substitution_kernelILj256ELj32E21rocsparse_complex_numIdEEEviiiPT1_PKS3_S6_
	.p2align	8
	.type	_ZN9rocsparseL39gtsv_spike_backward_substitution_kernelILj256ELj32E21rocsparse_complex_numIdEEEviiiPT1_PKS3_S6_,@function
_ZN9rocsparseL39gtsv_spike_backward_substitution_kernelILj256ELj32E21rocsparse_complex_numIdEEEviiiPT1_PKS3_S6_: ; @_ZN9rocsparseL39gtsv_spike_backward_substitution_kernelILj256ELj32E21rocsparse_complex_numIdEEEviiiPT1_PKS3_S6_
; %bb.0:
	s_load_dword s6, s[0:1], 0x0
	s_lshl_b32 s10, s2, 8
	v_or_b32_e32 v10, s10, v0
	s_waitcnt lgkmcnt(0)
	s_lshr_b32 s11, s6, 5
	v_cmp_gt_i32_e32 vcc, s11, v10
	s_and_saveexec_b64 s[4:5], vcc
	s_cbranch_execz .LBB324_9
; %bb.1:
	s_load_dwordx2 s[8:9], s[0:1], 0x10
	v_cmp_lt_i32_e32 vcc, 0, v10
	v_mov_b64_e32 v[2:3], 0
	s_mul_i32 s2, s6, s3
	v_mov_b64_e32 v[4:5], 0
	s_and_saveexec_b64 s[4:5], vcc
	s_cbranch_execz .LBB324_3
; %bb.2:
	s_mul_i32 s7, s11, 31
	s_mul_i32 s3, s6, s3
	s_add_i32 s7, s7, s3
	v_add3_u32 v2, v10, s7, -1
	v_mov_b32_e32 v3, 0
	s_waitcnt lgkmcnt(0)
	v_lshl_add_u64 v[2:3], v[2:3], 4, s[8:9]
	global_load_dwordx4 v[2:5], v[2:3], off
.LBB324_3:
	s_or_b64 exec, exec, s[4:5]
	v_add_u32_e32 v1, 32, v10
	v_cmp_le_u32_e32 vcc, s6, v1
	s_and_saveexec_b64 s[4:5], vcc
	s_xor_b64 s[4:5], exec, s[4:5]
; %bb.4:
                                        ; implicit-def: $vgpr10
; %bb.5:
	s_or_saveexec_b64 s[4:5], s[4:5]
	v_mov_b64_e32 v[6:7], 0
	v_mov_b32_e32 v13, s2
	v_mov_b64_e32 v[8:9], 0
	s_xor_b64 exec, exec, s[4:5]
	s_cbranch_execz .LBB324_7
; %bb.6:
	s_ashr_i32 s3, s2, 31
	v_ashrrev_i32_e32 v11, 31, v10
	v_lshl_add_u64 v[6:7], v[10:11], 0, s[2:3]
	s_waitcnt lgkmcnt(0)
	v_lshl_add_u64 v[6:7], v[6:7], 4, s[8:9]
	global_load_dwordx4 v[6:9], v[6:7], off offset:16
	v_mov_b32_e32 v13, s2
.LBB324_7:
	s_or_b64 exec, exec, s[4:5]
	s_load_dwordx4 s[4:7], s[0:1], 0x18
	s_lshl_b32 s1, s11, 1
	s_mul_i32 s0, s11, 3
	v_add_u32_e32 v11, v0, v13
	v_add_u32_e32 v10, s1, v0
	v_add_u32_e32 v12, s0, v0
	v_add_u32_e32 v0, s11, v0
	v_add_u32_e32 v1, s1, v11
	v_add_u32_e32 v11, s0, v11
	v_add_u32_e32 v13, v0, v13
	s_mov_b32 s1, 30
.LBB324_8:                              ; =>This Inner Loop Header: Depth=1
	s_nop 0
	v_add_u32_e32 v14, s10, v0
	v_ashrrev_i32_e32 v15, 31, v14
	v_add_u32_e32 v16, s10, v13
	v_lshlrev_b64 v[14:15], 4, v[14:15]
	v_ashrrev_i32_e32 v17, 31, v16
	s_waitcnt lgkmcnt(0)
	v_lshl_add_u64 v[26:27], s[4:5], 0, v[14:15]
	v_lshl_add_u64 v[34:35], v[16:17], 4, s[8:9]
	;; [unrolled: 1-line block ×3, first 2 shown]
	global_load_dwordx4 v[14:17], v[26:27], off
	global_load_dwordx4 v[18:21], v[28:29], off
	;; [unrolled: 1-line block ×3, first 2 shown]
	v_add_u32_e32 v26, s10, v10
	v_ashrrev_i32_e32 v27, 31, v26
	v_add_u32_e32 v28, s10, v1
	v_lshlrev_b64 v[26:27], 4, v[26:27]
	v_ashrrev_i32_e32 v29, 31, v28
	v_lshl_add_u64 v[38:39], s[4:5], 0, v[26:27]
	v_lshl_add_u64 v[40:41], s[6:7], 0, v[26:27]
	;; [unrolled: 1-line block ×3, first 2 shown]
	global_load_dwordx4 v[26:29], v[38:39], off
	global_load_dwordx4 v[30:33], v[40:41], off
	s_add_i32 s1, s1, -3
	v_add_u32_e32 v1, s0, v1
	v_add_u32_e32 v10, s0, v10
	;; [unrolled: 1-line block ×4, first 2 shown]
	s_cmp_lg_u32 s1, 0
	s_waitcnt vmcnt(4)
	v_mul_f64 v[38:39], v[4:5], -v[16:17]
	v_mul_f64 v[40:41], v[4:5], v[14:15]
	s_waitcnt vmcnt(3)
	v_mul_f64 v[42:43], v[8:9], -v[20:21]
	v_mul_f64 v[44:45], v[8:9], v[18:19]
	v_fmac_f64_e32 v[38:39], v[14:15], v[2:3]
	v_fmac_f64_e32 v[40:41], v[16:17], v[2:3]
	;; [unrolled: 1-line block ×4, first 2 shown]
	s_waitcnt vmcnt(2)
	v_add_f64 v[14:15], v[22:23], -v[38:39]
	v_add_f64 v[16:17], v[24:25], -v[40:41]
	;; [unrolled: 1-line block ×4, first 2 shown]
	global_store_dwordx4 v[34:35], v[14:17], off
	global_load_dwordx4 v[14:17], v[36:37], off
	v_add_u32_e32 v18, s10, v12
	v_ashrrev_i32_e32 v19, 31, v18
	v_add_u32_e32 v20, s10, v11
	v_lshlrev_b64 v[18:19], 4, v[18:19]
	v_ashrrev_i32_e32 v21, 31, v20
	v_lshl_add_u64 v[38:39], s[4:5], 0, v[18:19]
	v_lshl_add_u64 v[40:41], s[6:7], 0, v[18:19]
	;; [unrolled: 1-line block ×3, first 2 shown]
	global_load_dwordx4 v[18:21], v[38:39], off
	global_load_dwordx4 v[22:25], v[40:41], off
	s_waitcnt vmcnt(5)
	v_mul_f64 v[38:39], v[4:5], -v[28:29]
	v_mul_f64 v[40:41], v[4:5], v[26:27]
	s_waitcnt vmcnt(4)
	v_mul_f64 v[42:43], v[8:9], -v[32:33]
	v_mul_f64 v[44:45], v[8:9], v[30:31]
	v_fmac_f64_e32 v[38:39], v[26:27], v[2:3]
	v_fmac_f64_e32 v[40:41], v[28:29], v[2:3]
	;; [unrolled: 1-line block ×4, first 2 shown]
	v_add_u32_e32 v11, s0, v11
	v_add_u32_e32 v12, s0, v12
	s_waitcnt vmcnt(2)
	v_add_f64 v[14:15], v[14:15], -v[38:39]
	v_add_f64 v[16:17], v[16:17], -v[40:41]
	;; [unrolled: 1-line block ×4, first 2 shown]
	global_store_dwordx4 v[36:37], v[14:17], off
	global_load_dwordx4 v[14:17], v[34:35], off
	s_waitcnt vmcnt(3)
	v_mul_f64 v[26:27], v[4:5], -v[20:21]
	v_mul_f64 v[28:29], v[4:5], v[18:19]
	s_waitcnt vmcnt(2)
	v_mul_f64 v[30:31], v[8:9], -v[24:25]
	v_mul_f64 v[32:33], v[8:9], v[22:23]
	v_fmac_f64_e32 v[26:27], v[18:19], v[2:3]
	v_fmac_f64_e32 v[28:29], v[20:21], v[2:3]
	;; [unrolled: 1-line block ×4, first 2 shown]
	s_waitcnt vmcnt(0)
	v_add_f64 v[14:15], v[14:15], -v[26:27]
	v_add_f64 v[16:17], v[16:17], -v[28:29]
	;; [unrolled: 1-line block ×4, first 2 shown]
	global_store_dwordx4 v[34:35], v[14:17], off
	s_cbranch_scc1 .LBB324_8
.LBB324_9:
	s_endpgm
	.section	.rodata,"a",@progbits
	.p2align	6, 0x0
	.amdhsa_kernel _ZN9rocsparseL39gtsv_spike_backward_substitution_kernelILj256ELj32E21rocsparse_complex_numIdEEEviiiPT1_PKS3_S6_
		.amdhsa_group_segment_fixed_size 0
		.amdhsa_private_segment_fixed_size 0
		.amdhsa_kernarg_size 40
		.amdhsa_user_sgpr_count 2
		.amdhsa_user_sgpr_dispatch_ptr 0
		.amdhsa_user_sgpr_queue_ptr 0
		.amdhsa_user_sgpr_kernarg_segment_ptr 1
		.amdhsa_user_sgpr_dispatch_id 0
		.amdhsa_user_sgpr_kernarg_preload_length 0
		.amdhsa_user_sgpr_kernarg_preload_offset 0
		.amdhsa_user_sgpr_private_segment_size 0
		.amdhsa_uses_dynamic_stack 0
		.amdhsa_enable_private_segment 0
		.amdhsa_system_sgpr_workgroup_id_x 1
		.amdhsa_system_sgpr_workgroup_id_y 1
		.amdhsa_system_sgpr_workgroup_id_z 0
		.amdhsa_system_sgpr_workgroup_info 0
		.amdhsa_system_vgpr_workitem_id 0
		.amdhsa_next_free_vgpr 46
		.amdhsa_next_free_sgpr 12
		.amdhsa_accum_offset 48
		.amdhsa_reserve_vcc 1
		.amdhsa_float_round_mode_32 0
		.amdhsa_float_round_mode_16_64 0
		.amdhsa_float_denorm_mode_32 3
		.amdhsa_float_denorm_mode_16_64 3
		.amdhsa_dx10_clamp 1
		.amdhsa_ieee_mode 1
		.amdhsa_fp16_overflow 0
		.amdhsa_tg_split 0
		.amdhsa_exception_fp_ieee_invalid_op 0
		.amdhsa_exception_fp_denorm_src 0
		.amdhsa_exception_fp_ieee_div_zero 0
		.amdhsa_exception_fp_ieee_overflow 0
		.amdhsa_exception_fp_ieee_underflow 0
		.amdhsa_exception_fp_ieee_inexact 0
		.amdhsa_exception_int_div_zero 0
	.end_amdhsa_kernel
	.section	.text._ZN9rocsparseL39gtsv_spike_backward_substitution_kernelILj256ELj32E21rocsparse_complex_numIdEEEviiiPT1_PKS3_S6_,"axG",@progbits,_ZN9rocsparseL39gtsv_spike_backward_substitution_kernelILj256ELj32E21rocsparse_complex_numIdEEEviiiPT1_PKS3_S6_,comdat
.Lfunc_end324:
	.size	_ZN9rocsparseL39gtsv_spike_backward_substitution_kernelILj256ELj32E21rocsparse_complex_numIdEEEviiiPT1_PKS3_S6_, .Lfunc_end324-_ZN9rocsparseL39gtsv_spike_backward_substitution_kernelILj256ELj32E21rocsparse_complex_numIdEEEviiiPT1_PKS3_S6_
                                        ; -- End function
	.set _ZN9rocsparseL39gtsv_spike_backward_substitution_kernelILj256ELj32E21rocsparse_complex_numIdEEEviiiPT1_PKS3_S6_.num_vgpr, 46
	.set _ZN9rocsparseL39gtsv_spike_backward_substitution_kernelILj256ELj32E21rocsparse_complex_numIdEEEviiiPT1_PKS3_S6_.num_agpr, 0
	.set _ZN9rocsparseL39gtsv_spike_backward_substitution_kernelILj256ELj32E21rocsparse_complex_numIdEEEviiiPT1_PKS3_S6_.numbered_sgpr, 12
	.set _ZN9rocsparseL39gtsv_spike_backward_substitution_kernelILj256ELj32E21rocsparse_complex_numIdEEEviiiPT1_PKS3_S6_.num_named_barrier, 0
	.set _ZN9rocsparseL39gtsv_spike_backward_substitution_kernelILj256ELj32E21rocsparse_complex_numIdEEEviiiPT1_PKS3_S6_.private_seg_size, 0
	.set _ZN9rocsparseL39gtsv_spike_backward_substitution_kernelILj256ELj32E21rocsparse_complex_numIdEEEviiiPT1_PKS3_S6_.uses_vcc, 1
	.set _ZN9rocsparseL39gtsv_spike_backward_substitution_kernelILj256ELj32E21rocsparse_complex_numIdEEEviiiPT1_PKS3_S6_.uses_flat_scratch, 0
	.set _ZN9rocsparseL39gtsv_spike_backward_substitution_kernelILj256ELj32E21rocsparse_complex_numIdEEEviiiPT1_PKS3_S6_.has_dyn_sized_stack, 0
	.set _ZN9rocsparseL39gtsv_spike_backward_substitution_kernelILj256ELj32E21rocsparse_complex_numIdEEEviiiPT1_PKS3_S6_.has_recursion, 0
	.set _ZN9rocsparseL39gtsv_spike_backward_substitution_kernelILj256ELj32E21rocsparse_complex_numIdEEEviiiPT1_PKS3_S6_.has_indirect_call, 0
	.section	.AMDGPU.csdata,"",@progbits
; Kernel info:
; codeLenInByte = 812
; TotalNumSgprs: 18
; NumVgprs: 46
; NumAgprs: 0
; TotalNumVgprs: 46
; ScratchSize: 0
; MemoryBound: 0
; FloatMode: 240
; IeeeMode: 1
; LDSByteSize: 0 bytes/workgroup (compile time only)
; SGPRBlocks: 2
; VGPRBlocks: 5
; NumSGPRsForWavesPerEU: 18
; NumVGPRsForWavesPerEU: 46
; AccumOffset: 48
; Occupancy: 8
; WaveLimiterHint : 0
; COMPUTE_PGM_RSRC2:SCRATCH_EN: 0
; COMPUTE_PGM_RSRC2:USER_SGPR: 2
; COMPUTE_PGM_RSRC2:TRAP_HANDLER: 0
; COMPUTE_PGM_RSRC2:TGID_X_EN: 1
; COMPUTE_PGM_RSRC2:TGID_Y_EN: 1
; COMPUTE_PGM_RSRC2:TGID_Z_EN: 0
; COMPUTE_PGM_RSRC2:TIDIG_COMP_CNT: 0
; COMPUTE_PGM_RSRC3_GFX90A:ACCUM_OFFSET: 11
; COMPUTE_PGM_RSRC3_GFX90A:TG_SPLIT: 0
	.section	.text._ZN9rocsparseL32gtsv_transpose_back_array_kernelILj256ELj32E21rocsparse_complex_numIdEEEviiiPKT1_PS3_,"axG",@progbits,_ZN9rocsparseL32gtsv_transpose_back_array_kernelILj256ELj32E21rocsparse_complex_numIdEEEviiiPKT1_PS3_,comdat
	.globl	_ZN9rocsparseL32gtsv_transpose_back_array_kernelILj256ELj32E21rocsparse_complex_numIdEEEviiiPKT1_PS3_ ; -- Begin function _ZN9rocsparseL32gtsv_transpose_back_array_kernelILj256ELj32E21rocsparse_complex_numIdEEEviiiPKT1_PS3_
	.p2align	8
	.type	_ZN9rocsparseL32gtsv_transpose_back_array_kernelILj256ELj32E21rocsparse_complex_numIdEEEviiiPKT1_PS3_,@function
_ZN9rocsparseL32gtsv_transpose_back_array_kernelILj256ELj32E21rocsparse_complex_numIdEEEviiiPKT1_PS3_: ; @_ZN9rocsparseL32gtsv_transpose_back_array_kernelILj256ELj32E21rocsparse_complex_numIdEEEviiiPKT1_PS3_
; %bb.0:
	s_load_dwordx4 s[4:7], s[0:1], 0x0
	v_lshl_or_b32 v0, s2, 8, v0
	v_lshlrev_b32_e32 v2, 5, v0
	s_waitcnt lgkmcnt(0)
	v_cvt_f32_u32_e32 v1, s5
	s_sub_i32 s2, 0, s5
	v_rcp_iflag_f32_e32 v1, v1
	s_nop 0
	v_mul_f32_e32 v1, 0x4f7ffffe, v1
	v_cvt_u32_f32_e32 v1, v1
	v_mul_lo_u32 v3, s2, v1
	v_mul_hi_u32 v3, v1, v3
	v_add_u32_e32 v1, v1, v3
	v_mul_hi_u32 v1, v2, v1
	v_mul_lo_u32 v3, v1, s5
	v_sub_u32_e32 v3, v2, v3
	v_add_u32_e32 v4, 1, v1
	v_cmp_le_u32_e32 vcc, s5, v3
	s_nop 1
	v_cndmask_b32_e32 v1, v1, v4, vcc
	v_subrev_u32_e32 v4, s5, v3
	v_cndmask_b32_e32 v3, v3, v4, vcc
	v_add_u32_e32 v4, 1, v1
	v_cmp_le_u32_e32 vcc, s5, v3
	s_nop 1
	v_cndmask_b32_e32 v1, v1, v4, vcc
	v_mul_lo_u32 v3, v1, s5
	v_sub_u32_e32 v2, v2, v3
	v_add_u32_e32 v1, v1, v2
	v_cmp_gt_i32_e32 vcc, s4, v1
	s_and_saveexec_b64 s[8:9], vcc
	s_cbranch_execz .LBB325_2
; %bb.1:
	s_load_dwordx4 s[8:11], s[0:1], 0x10
	s_mul_i32 s0, s5, s3
	v_add_u32_e32 v2, s0, v0
	v_ashrrev_i32_e32 v3, 31, v2
	s_mul_i32 s0, s6, s3
	s_waitcnt lgkmcnt(0)
	v_lshl_add_u64 v[2:3], v[2:3], 4, s[8:9]
	global_load_dwordx4 v[2:5], v[2:3], off
	v_add_u32_e32 v0, s0, v1
	v_ashrrev_i32_e32 v1, 31, v0
	v_lshl_add_u64 v[0:1], v[0:1], 4, s[10:11]
	s_waitcnt vmcnt(0)
	global_store_dwordx4 v[0:1], v[2:5], off
.LBB325_2:
	s_endpgm
	.section	.rodata,"a",@progbits
	.p2align	6, 0x0
	.amdhsa_kernel _ZN9rocsparseL32gtsv_transpose_back_array_kernelILj256ELj32E21rocsparse_complex_numIdEEEviiiPKT1_PS3_
		.amdhsa_group_segment_fixed_size 0
		.amdhsa_private_segment_fixed_size 0
		.amdhsa_kernarg_size 32
		.amdhsa_user_sgpr_count 2
		.amdhsa_user_sgpr_dispatch_ptr 0
		.amdhsa_user_sgpr_queue_ptr 0
		.amdhsa_user_sgpr_kernarg_segment_ptr 1
		.amdhsa_user_sgpr_dispatch_id 0
		.amdhsa_user_sgpr_kernarg_preload_length 0
		.amdhsa_user_sgpr_kernarg_preload_offset 0
		.amdhsa_user_sgpr_private_segment_size 0
		.amdhsa_uses_dynamic_stack 0
		.amdhsa_enable_private_segment 0
		.amdhsa_system_sgpr_workgroup_id_x 1
		.amdhsa_system_sgpr_workgroup_id_y 1
		.amdhsa_system_sgpr_workgroup_id_z 0
		.amdhsa_system_sgpr_workgroup_info 0
		.amdhsa_system_vgpr_workitem_id 0
		.amdhsa_next_free_vgpr 6
		.amdhsa_next_free_sgpr 12
		.amdhsa_accum_offset 8
		.amdhsa_reserve_vcc 1
		.amdhsa_float_round_mode_32 0
		.amdhsa_float_round_mode_16_64 0
		.amdhsa_float_denorm_mode_32 3
		.amdhsa_float_denorm_mode_16_64 3
		.amdhsa_dx10_clamp 1
		.amdhsa_ieee_mode 1
		.amdhsa_fp16_overflow 0
		.amdhsa_tg_split 0
		.amdhsa_exception_fp_ieee_invalid_op 0
		.amdhsa_exception_fp_denorm_src 0
		.amdhsa_exception_fp_ieee_div_zero 0
		.amdhsa_exception_fp_ieee_overflow 0
		.amdhsa_exception_fp_ieee_underflow 0
		.amdhsa_exception_fp_ieee_inexact 0
		.amdhsa_exception_int_div_zero 0
	.end_amdhsa_kernel
	.section	.text._ZN9rocsparseL32gtsv_transpose_back_array_kernelILj256ELj32E21rocsparse_complex_numIdEEEviiiPKT1_PS3_,"axG",@progbits,_ZN9rocsparseL32gtsv_transpose_back_array_kernelILj256ELj32E21rocsparse_complex_numIdEEEviiiPKT1_PS3_,comdat
.Lfunc_end325:
	.size	_ZN9rocsparseL32gtsv_transpose_back_array_kernelILj256ELj32E21rocsparse_complex_numIdEEEviiiPKT1_PS3_, .Lfunc_end325-_ZN9rocsparseL32gtsv_transpose_back_array_kernelILj256ELj32E21rocsparse_complex_numIdEEEviiiPKT1_PS3_
                                        ; -- End function
	.set _ZN9rocsparseL32gtsv_transpose_back_array_kernelILj256ELj32E21rocsparse_complex_numIdEEEviiiPKT1_PS3_.num_vgpr, 6
	.set _ZN9rocsparseL32gtsv_transpose_back_array_kernelILj256ELj32E21rocsparse_complex_numIdEEEviiiPKT1_PS3_.num_agpr, 0
	.set _ZN9rocsparseL32gtsv_transpose_back_array_kernelILj256ELj32E21rocsparse_complex_numIdEEEviiiPKT1_PS3_.numbered_sgpr, 12
	.set _ZN9rocsparseL32gtsv_transpose_back_array_kernelILj256ELj32E21rocsparse_complex_numIdEEEviiiPKT1_PS3_.num_named_barrier, 0
	.set _ZN9rocsparseL32gtsv_transpose_back_array_kernelILj256ELj32E21rocsparse_complex_numIdEEEviiiPKT1_PS3_.private_seg_size, 0
	.set _ZN9rocsparseL32gtsv_transpose_back_array_kernelILj256ELj32E21rocsparse_complex_numIdEEEviiiPKT1_PS3_.uses_vcc, 1
	.set _ZN9rocsparseL32gtsv_transpose_back_array_kernelILj256ELj32E21rocsparse_complex_numIdEEEviiiPKT1_PS3_.uses_flat_scratch, 0
	.set _ZN9rocsparseL32gtsv_transpose_back_array_kernelILj256ELj32E21rocsparse_complex_numIdEEEviiiPKT1_PS3_.has_dyn_sized_stack, 0
	.set _ZN9rocsparseL32gtsv_transpose_back_array_kernelILj256ELj32E21rocsparse_complex_numIdEEEviiiPKT1_PS3_.has_recursion, 0
	.set _ZN9rocsparseL32gtsv_transpose_back_array_kernelILj256ELj32E21rocsparse_complex_numIdEEEviiiPKT1_PS3_.has_indirect_call, 0
	.section	.AMDGPU.csdata,"",@progbits
; Kernel info:
; codeLenInByte = 236
; TotalNumSgprs: 18
; NumVgprs: 6
; NumAgprs: 0
; TotalNumVgprs: 6
; ScratchSize: 0
; MemoryBound: 0
; FloatMode: 240
; IeeeMode: 1
; LDSByteSize: 0 bytes/workgroup (compile time only)
; SGPRBlocks: 2
; VGPRBlocks: 0
; NumSGPRsForWavesPerEU: 18
; NumVGPRsForWavesPerEU: 6
; AccumOffset: 8
; Occupancy: 8
; WaveLimiterHint : 0
; COMPUTE_PGM_RSRC2:SCRATCH_EN: 0
; COMPUTE_PGM_RSRC2:USER_SGPR: 2
; COMPUTE_PGM_RSRC2:TRAP_HANDLER: 0
; COMPUTE_PGM_RSRC2:TGID_X_EN: 1
; COMPUTE_PGM_RSRC2:TGID_Y_EN: 1
; COMPUTE_PGM_RSRC2:TGID_Z_EN: 0
; COMPUTE_PGM_RSRC2:TIDIG_COMP_CNT: 0
; COMPUTE_PGM_RSRC3_GFX90A:ACCUM_OFFSET: 1
; COMPUTE_PGM_RSRC3_GFX90A:TG_SPLIT: 0
	.section	.text._ZN9rocsparseL42gtsv_transpose_and_pad_array_shared_kernelILj256ELj64E21rocsparse_complex_numIdEEEviiiPKT1_PS3_S3_,"axG",@progbits,_ZN9rocsparseL42gtsv_transpose_and_pad_array_shared_kernelILj256ELj64E21rocsparse_complex_numIdEEEviiiPKT1_PS3_S3_,comdat
	.globl	_ZN9rocsparseL42gtsv_transpose_and_pad_array_shared_kernelILj256ELj64E21rocsparse_complex_numIdEEEviiiPKT1_PS3_S3_ ; -- Begin function _ZN9rocsparseL42gtsv_transpose_and_pad_array_shared_kernelILj256ELj64E21rocsparse_complex_numIdEEEviiiPKT1_PS3_S3_
	.p2align	8
	.type	_ZN9rocsparseL42gtsv_transpose_and_pad_array_shared_kernelILj256ELj64E21rocsparse_complex_numIdEEEviiiPKT1_PS3_S3_,@function
_ZN9rocsparseL42gtsv_transpose_and_pad_array_shared_kernelILj256ELj64E21rocsparse_complex_numIdEEEviiiPKT1_PS3_S3_: ; @_ZN9rocsparseL42gtsv_transpose_and_pad_array_shared_kernelILj256ELj64E21rocsparse_complex_numIdEEEviiiPKT1_PS3_S3_
; %bb.0:
	s_load_dwordx4 s[4:7], s[0:1], 0x0
	v_lshl_or_b32 v2, s2, 8, v0
	v_lshlrev_b32_e32 v1, 4, v0
	s_waitcnt lgkmcnt(0)
	v_cmp_le_i32_e32 vcc, s4, v2
	s_and_saveexec_b64 s[8:9], vcc
	s_xor_b64 s[8:9], exec, s[8:9]
	s_cbranch_execz .LBB326_2
; %bb.1:
	s_load_dwordx4 s[12:15], s[0:1], 0x20
	s_waitcnt lgkmcnt(0)
	v_mov_b64_e32 v[2:3], s[12:13]
	v_mov_b64_e32 v[4:5], s[14:15]
	ds_write_b128 v1, v[2:5]
                                        ; implicit-def: $vgpr2
                                        ; implicit-def: $vgpr1
.LBB326_2:
	s_andn2_saveexec_b64 s[8:9], s[8:9]
	s_cbranch_execz .LBB326_4
; %bb.3:
	s_load_dwordx2 s[10:11], s[0:1], 0x10
	s_mul_i32 s4, s6, s3
	v_add_u32_e32 v2, s4, v2
	v_ashrrev_i32_e32 v3, 31, v2
	s_waitcnt lgkmcnt(0)
	v_lshl_add_u64 v[2:3], v[2:3], 4, s[10:11]
	global_load_dwordx4 v[2:5], v[2:3], off
	s_waitcnt vmcnt(0)
	ds_write2_b64 v1, v[2:3], v[4:5] offset1:1
.LBB326_4:
	s_or_b64 exec, exec, s[8:9]
	v_and_b32_e32 v3, 3, v0
	v_lshrrev_b32_e32 v2, 2, v0
	s_lshr_b32 s4, s5, 6
	v_lshl_or_b32 v0, s2, 2, v3
	v_mad_u64_u32 v[0:1], s[6:7], s4, v2, v[0:1]
	v_cmp_gt_i32_e32 vcc, s5, v0
	s_waitcnt lgkmcnt(0)
	s_barrier
	s_and_saveexec_b64 s[6:7], vcc
	s_cbranch_execz .LBB326_6
; %bb.5:
	v_lshlrev_b32_e32 v1, 4, v2
	s_load_dwordx2 s[0:1], s[0:1], 0x18
	v_lshl_or_b32 v1, v3, 10, v1
	ds_read2_b64 v[2:5], v1 offset1:1
	s_mul_i32 s2, s5, s3
	v_add_u32_e32 v0, s2, v0
	v_ashrrev_i32_e32 v1, 31, v0
	s_waitcnt lgkmcnt(0)
	v_lshl_add_u64 v[0:1], v[0:1], 4, s[0:1]
	global_store_dwordx4 v[0:1], v[2:5], off
.LBB326_6:
	s_endpgm
	.section	.rodata,"a",@progbits
	.p2align	6, 0x0
	.amdhsa_kernel _ZN9rocsparseL42gtsv_transpose_and_pad_array_shared_kernelILj256ELj64E21rocsparse_complex_numIdEEEviiiPKT1_PS3_S3_
		.amdhsa_group_segment_fixed_size 4096
		.amdhsa_private_segment_fixed_size 0
		.amdhsa_kernarg_size 48
		.amdhsa_user_sgpr_count 2
		.amdhsa_user_sgpr_dispatch_ptr 0
		.amdhsa_user_sgpr_queue_ptr 0
		.amdhsa_user_sgpr_kernarg_segment_ptr 1
		.amdhsa_user_sgpr_dispatch_id 0
		.amdhsa_user_sgpr_kernarg_preload_length 0
		.amdhsa_user_sgpr_kernarg_preload_offset 0
		.amdhsa_user_sgpr_private_segment_size 0
		.amdhsa_uses_dynamic_stack 0
		.amdhsa_enable_private_segment 0
		.amdhsa_system_sgpr_workgroup_id_x 1
		.amdhsa_system_sgpr_workgroup_id_y 1
		.amdhsa_system_sgpr_workgroup_id_z 0
		.amdhsa_system_sgpr_workgroup_info 0
		.amdhsa_system_vgpr_workitem_id 0
		.amdhsa_next_free_vgpr 6
		.amdhsa_next_free_sgpr 16
		.amdhsa_accum_offset 8
		.amdhsa_reserve_vcc 1
		.amdhsa_float_round_mode_32 0
		.amdhsa_float_round_mode_16_64 0
		.amdhsa_float_denorm_mode_32 3
		.amdhsa_float_denorm_mode_16_64 3
		.amdhsa_dx10_clamp 1
		.amdhsa_ieee_mode 1
		.amdhsa_fp16_overflow 0
		.amdhsa_tg_split 0
		.amdhsa_exception_fp_ieee_invalid_op 0
		.amdhsa_exception_fp_denorm_src 0
		.amdhsa_exception_fp_ieee_div_zero 0
		.amdhsa_exception_fp_ieee_overflow 0
		.amdhsa_exception_fp_ieee_underflow 0
		.amdhsa_exception_fp_ieee_inexact 0
		.amdhsa_exception_int_div_zero 0
	.end_amdhsa_kernel
	.section	.text._ZN9rocsparseL42gtsv_transpose_and_pad_array_shared_kernelILj256ELj64E21rocsparse_complex_numIdEEEviiiPKT1_PS3_S3_,"axG",@progbits,_ZN9rocsparseL42gtsv_transpose_and_pad_array_shared_kernelILj256ELj64E21rocsparse_complex_numIdEEEviiiPKT1_PS3_S3_,comdat
.Lfunc_end326:
	.size	_ZN9rocsparseL42gtsv_transpose_and_pad_array_shared_kernelILj256ELj64E21rocsparse_complex_numIdEEEviiiPKT1_PS3_S3_, .Lfunc_end326-_ZN9rocsparseL42gtsv_transpose_and_pad_array_shared_kernelILj256ELj64E21rocsparse_complex_numIdEEEviiiPKT1_PS3_S3_
                                        ; -- End function
	.set _ZN9rocsparseL42gtsv_transpose_and_pad_array_shared_kernelILj256ELj64E21rocsparse_complex_numIdEEEviiiPKT1_PS3_S3_.num_vgpr, 6
	.set _ZN9rocsparseL42gtsv_transpose_and_pad_array_shared_kernelILj256ELj64E21rocsparse_complex_numIdEEEviiiPKT1_PS3_S3_.num_agpr, 0
	.set _ZN9rocsparseL42gtsv_transpose_and_pad_array_shared_kernelILj256ELj64E21rocsparse_complex_numIdEEEviiiPKT1_PS3_S3_.numbered_sgpr, 16
	.set _ZN9rocsparseL42gtsv_transpose_and_pad_array_shared_kernelILj256ELj64E21rocsparse_complex_numIdEEEviiiPKT1_PS3_S3_.num_named_barrier, 0
	.set _ZN9rocsparseL42gtsv_transpose_and_pad_array_shared_kernelILj256ELj64E21rocsparse_complex_numIdEEEviiiPKT1_PS3_S3_.private_seg_size, 0
	.set _ZN9rocsparseL42gtsv_transpose_and_pad_array_shared_kernelILj256ELj64E21rocsparse_complex_numIdEEEviiiPKT1_PS3_S3_.uses_vcc, 1
	.set _ZN9rocsparseL42gtsv_transpose_and_pad_array_shared_kernelILj256ELj64E21rocsparse_complex_numIdEEEviiiPKT1_PS3_S3_.uses_flat_scratch, 0
	.set _ZN9rocsparseL42gtsv_transpose_and_pad_array_shared_kernelILj256ELj64E21rocsparse_complex_numIdEEEviiiPKT1_PS3_S3_.has_dyn_sized_stack, 0
	.set _ZN9rocsparseL42gtsv_transpose_and_pad_array_shared_kernelILj256ELj64E21rocsparse_complex_numIdEEEviiiPKT1_PS3_S3_.has_recursion, 0
	.set _ZN9rocsparseL42gtsv_transpose_and_pad_array_shared_kernelILj256ELj64E21rocsparse_complex_numIdEEEviiiPKT1_PS3_S3_.has_indirect_call, 0
	.section	.AMDGPU.csdata,"",@progbits
; Kernel info:
; codeLenInByte = 244
; TotalNumSgprs: 22
; NumVgprs: 6
; NumAgprs: 0
; TotalNumVgprs: 6
; ScratchSize: 0
; MemoryBound: 0
; FloatMode: 240
; IeeeMode: 1
; LDSByteSize: 4096 bytes/workgroup (compile time only)
; SGPRBlocks: 2
; VGPRBlocks: 0
; NumSGPRsForWavesPerEU: 22
; NumVGPRsForWavesPerEU: 6
; AccumOffset: 8
; Occupancy: 8
; WaveLimiterHint : 0
; COMPUTE_PGM_RSRC2:SCRATCH_EN: 0
; COMPUTE_PGM_RSRC2:USER_SGPR: 2
; COMPUTE_PGM_RSRC2:TRAP_HANDLER: 0
; COMPUTE_PGM_RSRC2:TGID_X_EN: 1
; COMPUTE_PGM_RSRC2:TGID_Y_EN: 1
; COMPUTE_PGM_RSRC2:TGID_Z_EN: 0
; COMPUTE_PGM_RSRC2:TIDIG_COMP_CNT: 0
; COMPUTE_PGM_RSRC3_GFX90A:ACCUM_OFFSET: 1
; COMPUTE_PGM_RSRC3_GFX90A:TG_SPLIT: 0
	.section	.text._ZN9rocsparseL18gtsv_LBM_wv_kernelILj256ELj64E21rocsparse_complex_numIdEEEviiiPKT1_S5_S5_PS3_S6_S6_Pi,"axG",@progbits,_ZN9rocsparseL18gtsv_LBM_wv_kernelILj256ELj64E21rocsparse_complex_numIdEEEviiiPKT1_S5_S5_PS3_S6_S6_Pi,comdat
	.globl	_ZN9rocsparseL18gtsv_LBM_wv_kernelILj256ELj64E21rocsparse_complex_numIdEEEviiiPKT1_S5_S5_PS3_S6_S6_Pi ; -- Begin function _ZN9rocsparseL18gtsv_LBM_wv_kernelILj256ELj64E21rocsparse_complex_numIdEEEviiiPKT1_S5_S5_PS3_S6_S6_Pi
	.p2align	8
	.type	_ZN9rocsparseL18gtsv_LBM_wv_kernelILj256ELj64E21rocsparse_complex_numIdEEEviiiPKT1_S5_S5_PS3_S6_S6_Pi,@function
_ZN9rocsparseL18gtsv_LBM_wv_kernelILj256ELj64E21rocsparse_complex_numIdEEEviiiPKT1_S5_S5_PS3_S6_S6_Pi: ; @_ZN9rocsparseL18gtsv_LBM_wv_kernelILj256ELj64E21rocsparse_complex_numIdEEEviiiPKT1_S5_S5_PS3_S6_S6_Pi
; %bb.0:
	s_load_dword s29, s[0:1], 0x0
	v_lshl_or_b32 v40, s2, 8, v0
	s_waitcnt lgkmcnt(0)
	s_lshr_b32 s28, s29, 6
	v_cmp_gt_i32_e32 vcc, s28, v40
	s_and_saveexec_b64 s[2:3], vcc
	s_cbranch_execz .LBB327_72
; %bb.1:
	s_load_dwordx2 s[16:17], s[0:1], 0x10
	s_load_dwordx8 s[8:15], s[0:1], 0x20
	v_ashrrev_i32_e32 v41, 31, v40
	s_mul_i32 s30, s28, 63
	v_lshlrev_b64 v[8:9], 4, v[40:41]
	v_add_u32_e32 v10, s30, v40
	v_mov_b32_e32 v11, 0
	s_waitcnt lgkmcnt(0)
	v_lshl_add_u64 v[0:1], s[16:17], 0, v[8:9]
	v_lshlrev_b64 v[12:13], 4, v[10:11]
	global_load_dwordx4 v[0:3], v[0:1], off
	v_lshl_add_u64 v[4:5], s[8:9], 0, v[12:13]
	global_load_dwordx4 v[4:7], v[4:5], off
	s_load_dwordx2 s[6:7], s[0:1], 0x40
	s_cmp_lt_i32 s29, 1
	v_add_u32_e32 v58, s28, v40
	v_lshl_add_u64 v[42:43], s[10:11], 0, v[8:9]
	v_mov_b32_e32 v44, v11
	v_lshl_add_u64 v[8:9], s[12:13], 0, v[12:13]
	s_waitcnt vmcnt(1)
	global_store_dwordx4 v[42:43], v[0:3], off
	s_waitcnt vmcnt(1)
	global_store_dwordx4 v[8:9], v[4:7], off
	s_cbranch_scc1 .LBB327_65
; %bb.2:
	s_load_dwordx2 s[18:19], s[0:1], 0x18
	s_mov_b32 s22, 0
	s_mov_b32 s24, 0x372fe950
	s_mul_i32 s31, s28, 62
	s_lshl_b32 s33, s28, 1
	s_waitcnt lgkmcnt(0)
	v_lshl_add_u64 v[0:1], v[40:41], 4, s[18:19]
	global_load_dwordx4 v[0:3], v[0:1], off
	v_add_u32_e32 v41, s28, v58
	v_mov_b32_e32 v44, 0
	s_mov_b64 s[20:21], 0
	s_brev_b32 s23, 8
	v_mov_b32_e32 v59, 0x260
	s_mov_b32 s25, 0x3fe3c6ef
	v_mov_b32_e32 v60, 2
	v_mov_b32_e32 v61, 1
	;; [unrolled: 1-line block ×4, first 2 shown]
	s_branch .LBB327_5
.LBB327_3:                              ;   in Loop: Header=BB327_5 Depth=1
	s_or_b64 exec, exec, s[4:5]
	v_mul_f64 v[4:5], v[2:3], -v[50:51]
	v_mul_f64 v[2:3], v[2:3], v[48:49]
	v_fmac_f64_e32 v[4:5], v[48:49], v[0:1]
	v_fmac_f64_e32 v[2:3], v[50:51], v[0:1]
	v_add_f64 v[0:1], v[8:9], -v[4:5]
	v_add_f64 v[2:3], v[10:11], -v[2:3]
	v_mov_b32_e32 v12, s28
.LBB327_4:                              ;   in Loop: Header=BB327_5 Depth=1
	s_or_b64 exec, exec, s[2:3]
	v_add_u32_e32 v44, v12, v44
	v_cmp_le_i32_e32 vcc, s29, v44
	s_or_b64 s[20:21], vcc, s[20:21]
	s_andn2_b64 exec, exec, s[20:21]
	s_cbranch_execz .LBB327_64
.LBB327_5:                              ; =>This Inner Loop Header: Depth=1
	v_add_u32_e32 v46, v44, v40
	v_ashrrev_i32_e32 v47, 31, v46
	v_lshl_add_u64 v[4:5], v[46:47], 4, s[8:9]
	global_load_dwordx4 v[16:19], v[4:5], off
	v_cmp_gt_u32_e64 s[0:1], s30, v44
	v_mov_b64_e32 v[8:9], 0
	v_mov_b64_e32 v[4:5], 0
	;; [unrolled: 1-line block ×3, first 2 shown]
	s_and_saveexec_b64 s[2:3], s[0:1]
	s_cbranch_execz .LBB327_7
; %bb.6:                                ;   in Loop: Header=BB327_5 Depth=1
	v_add_u32_e32 v4, v58, v44
	v_ashrrev_i32_e32 v5, 31, v4
	v_lshl_add_u64 v[4:5], v[4:5], 4, s[16:17]
	global_load_dwordx4 v[4:7], v[4:5], off
.LBB327_7:                              ;   in Loop: Header=BB327_5 Depth=1
	s_or_b64 exec, exec, s[2:3]
	v_mov_b64_e32 v[10:11], 0
	s_and_saveexec_b64 s[2:3], s[0:1]
	s_cbranch_execz .LBB327_9
; %bb.8:                                ;   in Loop: Header=BB327_5 Depth=1
	v_add_u32_e32 v8, v58, v44
	v_ashrrev_i32_e32 v9, 31, v8
	v_lshl_add_u64 v[8:9], v[8:9], 4, s[18:19]
	global_load_dwordx4 v[8:11], v[8:9], off
.LBB327_9:                              ;   in Loop: Header=BB327_5 Depth=1
	s_or_b64 exec, exec, s[2:3]
	v_mov_b64_e32 v[20:21], 0
	v_mov_b64_e32 v[12:13], 0
	;; [unrolled: 1-line block ×3, first 2 shown]
	s_and_saveexec_b64 s[2:3], s[0:1]
	s_cbranch_execz .LBB327_11
; %bb.10:                               ;   in Loop: Header=BB327_5 Depth=1
	v_add_u32_e32 v12, v58, v44
	v_ashrrev_i32_e32 v13, 31, v12
	v_lshl_add_u64 v[12:13], v[12:13], 4, s[8:9]
	global_load_dwordx4 v[12:15], v[12:13], off
.LBB327_11:                             ;   in Loop: Header=BB327_5 Depth=1
	s_or_b64 exec, exec, s[2:3]
	v_cmp_gt_u32_e64 s[2:3], s31, v44
	v_mov_b64_e32 v[22:23], 0
	s_and_saveexec_b64 s[4:5], s[2:3]
	s_cbranch_execz .LBB327_13
; %bb.12:                               ;   in Loop: Header=BB327_5 Depth=1
	v_add_u32_e32 v20, v41, v44
	v_ashrrev_i32_e32 v21, 31, v20
	v_lshl_add_u64 v[20:21], v[20:21], 4, s[16:17]
	global_load_dwordx4 v[20:23], v[20:21], off
.LBB327_13:                             ;   in Loop: Header=BB327_5 Depth=1
	s_or_b64 exec, exec, s[4:5]
	s_waitcnt vmcnt(0)
	v_xor_b32_e32 v24, 0x80000000, v5
	v_cmp_gt_f64_e32 vcc, 0, v[4:5]
	v_mov_b32_e32 v26, v4
	v_mov_b32_e32 v28, v6
	v_cndmask_b32_e32 v27, v5, v24, vcc
	v_xor_b32_e32 v24, 0x80000000, v7
	v_cmp_gt_f64_e32 vcc, 0, v[6:7]
	s_nop 1
	v_cndmask_b32_e32 v29, v7, v24, vcc
	v_cmp_ngt_f64_e32 vcc, v[26:27], v[28:29]
                                        ; implicit-def: $vgpr24_vgpr25
	s_and_saveexec_b64 s[4:5], vcc
	s_xor_b64 s[4:5], exec, s[4:5]
	s_cbranch_execz .LBB327_17
; %bb.14:                               ;   in Loop: Header=BB327_5 Depth=1
	v_mov_b64_e32 v[24:25], 0
	v_cmp_neq_f64_e32 vcc, 0, v[6:7]
	s_and_saveexec_b64 s[26:27], vcc
	s_cbranch_execz .LBB327_16
; %bb.15:                               ;   in Loop: Header=BB327_5 Depth=1
	v_div_scale_f64 v[24:25], s[34:35], v[28:29], v[28:29], v[26:27]
	v_rcp_f64_e32 v[30:31], v[24:25]
	v_div_scale_f64 v[32:33], vcc, v[26:27], v[28:29], v[26:27]
	v_fma_f64 v[34:35], -v[24:25], v[30:31], 1.0
	v_fmac_f64_e32 v[30:31], v[30:31], v[34:35]
	v_fma_f64 v[34:35], -v[24:25], v[30:31], 1.0
	v_fmac_f64_e32 v[30:31], v[30:31], v[34:35]
	v_mul_f64 v[34:35], v[32:33], v[30:31]
	v_fma_f64 v[24:25], -v[24:25], v[34:35], v[32:33]
	v_div_fmas_f64 v[24:25], v[24:25], v[30:31], v[34:35]
	v_div_fixup_f64 v[24:25], v[24:25], v[28:29], v[26:27]
	v_fma_f64 v[24:25], v[24:25], v[24:25], 1.0
	v_cmp_gt_f64_e32 vcc, s[22:23], v[24:25]
	s_nop 1
	v_cndmask_b32_e32 v26, 0, v62, vcc
	v_ldexp_f64 v[24:25], v[24:25], v26
	v_rsq_f64_e32 v[26:27], v[24:25]
	s_nop 0
	v_mul_f64 v[30:31], v[24:25], v[26:27]
	v_mul_f64 v[26:27], v[26:27], 0.5
	v_fma_f64 v[32:33], -v[26:27], v[30:31], 0.5
	v_fmac_f64_e32 v[30:31], v[30:31], v[32:33]
	v_fma_f64 v[34:35], -v[30:31], v[30:31], v[24:25]
	v_fmac_f64_e32 v[26:27], v[26:27], v[32:33]
	v_fmac_f64_e32 v[30:31], v[34:35], v[26:27]
	v_fma_f64 v[32:33], -v[30:31], v[30:31], v[24:25]
	v_fmac_f64_e32 v[30:31], v[32:33], v[26:27]
	v_cndmask_b32_e32 v26, 0, v63, vcc
	v_ldexp_f64 v[26:27], v[30:31], v26
	v_cmp_class_f64_e32 vcc, v[24:25], v59
	s_nop 1
	v_cndmask_b32_e32 v25, v27, v25, vcc
	v_cndmask_b32_e32 v24, v26, v24, vcc
	v_mul_f64 v[24:25], v[28:29], v[24:25]
.LBB327_16:                             ;   in Loop: Header=BB327_5 Depth=1
	s_or_b64 exec, exec, s[26:27]
                                        ; implicit-def: $vgpr26_vgpr27
                                        ; implicit-def: $vgpr28_vgpr29
.LBB327_17:                             ;   in Loop: Header=BB327_5 Depth=1
	s_andn2_saveexec_b64 s[4:5], s[4:5]
	s_cbranch_execz .LBB327_19
; %bb.18:                               ;   in Loop: Header=BB327_5 Depth=1
	v_div_scale_f64 v[24:25], s[26:27], v[26:27], v[26:27], v[28:29]
	v_rcp_f64_e32 v[30:31], v[24:25]
	v_div_scale_f64 v[32:33], vcc, v[28:29], v[26:27], v[28:29]
	v_fma_f64 v[34:35], -v[24:25], v[30:31], 1.0
	v_fmac_f64_e32 v[30:31], v[30:31], v[34:35]
	v_fma_f64 v[34:35], -v[24:25], v[30:31], 1.0
	v_fmac_f64_e32 v[30:31], v[30:31], v[34:35]
	v_mul_f64 v[34:35], v[32:33], v[30:31]
	v_fma_f64 v[24:25], -v[24:25], v[34:35], v[32:33]
	v_div_fmas_f64 v[24:25], v[24:25], v[30:31], v[34:35]
	v_div_fixup_f64 v[24:25], v[24:25], v[26:27], v[28:29]
	v_fma_f64 v[24:25], v[24:25], v[24:25], 1.0
	v_cmp_gt_f64_e32 vcc, s[22:23], v[24:25]
	s_nop 1
	v_cndmask_b32_e32 v28, 0, v62, vcc
	v_ldexp_f64 v[24:25], v[24:25], v28
	v_rsq_f64_e32 v[28:29], v[24:25]
	s_nop 0
	v_mul_f64 v[30:31], v[24:25], v[28:29]
	v_mul_f64 v[28:29], v[28:29], 0.5
	v_fma_f64 v[32:33], -v[28:29], v[30:31], 0.5
	v_fmac_f64_e32 v[30:31], v[30:31], v[32:33]
	v_fma_f64 v[34:35], -v[30:31], v[30:31], v[24:25]
	v_fmac_f64_e32 v[28:29], v[28:29], v[32:33]
	v_fmac_f64_e32 v[30:31], v[34:35], v[28:29]
	v_fma_f64 v[32:33], -v[30:31], v[30:31], v[24:25]
	v_fmac_f64_e32 v[30:31], v[32:33], v[28:29]
	v_cndmask_b32_e32 v28, 0, v63, vcc
	v_ldexp_f64 v[28:29], v[30:31], v28
	v_cmp_class_f64_e32 vcc, v[24:25], v59
	s_nop 1
	v_cndmask_b32_e32 v25, v29, v25, vcc
	v_cndmask_b32_e32 v24, v28, v24, vcc
	v_mul_f64 v[24:25], v[26:27], v[24:25]
.LBB327_19:                             ;   in Loop: Header=BB327_5 Depth=1
	s_or_b64 exec, exec, s[4:5]
	v_xor_b32_e32 v26, 0x80000000, v21
	v_cmp_gt_f64_e32 vcc, 0, v[20:21]
	v_mov_b32_e32 v28, v20
	v_mov_b32_e32 v30, v22
	v_cndmask_b32_e32 v29, v21, v26, vcc
	v_xor_b32_e32 v26, 0x80000000, v23
	v_cmp_gt_f64_e32 vcc, 0, v[22:23]
	s_nop 1
	v_cndmask_b32_e32 v31, v23, v26, vcc
	v_cmp_ngt_f64_e32 vcc, v[28:29], v[30:31]
                                        ; implicit-def: $vgpr26_vgpr27
	s_and_saveexec_b64 s[4:5], vcc
	s_xor_b64 s[4:5], exec, s[4:5]
	s_cbranch_execz .LBB327_23
; %bb.20:                               ;   in Loop: Header=BB327_5 Depth=1
	v_mov_b64_e32 v[26:27], 0
	v_cmp_neq_f64_e32 vcc, 0, v[22:23]
	s_and_saveexec_b64 s[26:27], vcc
	s_cbranch_execz .LBB327_22
; %bb.21:                               ;   in Loop: Header=BB327_5 Depth=1
	v_div_scale_f64 v[26:27], s[34:35], v[30:31], v[30:31], v[28:29]
	v_rcp_f64_e32 v[32:33], v[26:27]
	v_div_scale_f64 v[34:35], vcc, v[28:29], v[30:31], v[28:29]
	v_fma_f64 v[36:37], -v[26:27], v[32:33], 1.0
	v_fmac_f64_e32 v[32:33], v[32:33], v[36:37]
	v_fma_f64 v[36:37], -v[26:27], v[32:33], 1.0
	v_fmac_f64_e32 v[32:33], v[32:33], v[36:37]
	v_mul_f64 v[36:37], v[34:35], v[32:33]
	v_fma_f64 v[26:27], -v[26:27], v[36:37], v[34:35]
	v_div_fmas_f64 v[26:27], v[26:27], v[32:33], v[36:37]
	v_div_fixup_f64 v[26:27], v[26:27], v[30:31], v[28:29]
	v_fma_f64 v[26:27], v[26:27], v[26:27], 1.0
	v_cmp_gt_f64_e32 vcc, s[22:23], v[26:27]
	s_nop 1
	v_cndmask_b32_e32 v28, 0, v62, vcc
	v_ldexp_f64 v[26:27], v[26:27], v28
	v_rsq_f64_e32 v[28:29], v[26:27]
	s_nop 0
	v_mul_f64 v[32:33], v[26:27], v[28:29]
	v_mul_f64 v[28:29], v[28:29], 0.5
	v_fma_f64 v[34:35], -v[28:29], v[32:33], 0.5
	v_fmac_f64_e32 v[32:33], v[32:33], v[34:35]
	v_fma_f64 v[36:37], -v[32:33], v[32:33], v[26:27]
	v_fmac_f64_e32 v[28:29], v[28:29], v[34:35]
	v_fmac_f64_e32 v[32:33], v[36:37], v[28:29]
	v_fma_f64 v[34:35], -v[32:33], v[32:33], v[26:27]
	v_fmac_f64_e32 v[32:33], v[34:35], v[28:29]
	v_cndmask_b32_e32 v28, 0, v63, vcc
	v_ldexp_f64 v[28:29], v[32:33], v28
	v_cmp_class_f64_e32 vcc, v[26:27], v59
	s_nop 1
	v_cndmask_b32_e32 v27, v29, v27, vcc
	v_cndmask_b32_e32 v26, v28, v26, vcc
	v_mul_f64 v[26:27], v[30:31], v[26:27]
.LBB327_22:                             ;   in Loop: Header=BB327_5 Depth=1
	s_or_b64 exec, exec, s[26:27]
                                        ; implicit-def: $vgpr28_vgpr29
                                        ; implicit-def: $vgpr30_vgpr31
.LBB327_23:                             ;   in Loop: Header=BB327_5 Depth=1
	s_andn2_saveexec_b64 s[4:5], s[4:5]
	s_cbranch_execz .LBB327_25
; %bb.24:                               ;   in Loop: Header=BB327_5 Depth=1
	v_div_scale_f64 v[26:27], s[26:27], v[28:29], v[28:29], v[30:31]
	v_rcp_f64_e32 v[32:33], v[26:27]
	v_div_scale_f64 v[34:35], vcc, v[30:31], v[28:29], v[30:31]
	v_fma_f64 v[36:37], -v[26:27], v[32:33], 1.0
	v_fmac_f64_e32 v[32:33], v[32:33], v[36:37]
	v_fma_f64 v[36:37], -v[26:27], v[32:33], 1.0
	v_fmac_f64_e32 v[32:33], v[32:33], v[36:37]
	v_mul_f64 v[36:37], v[34:35], v[32:33]
	v_fma_f64 v[26:27], -v[26:27], v[36:37], v[34:35]
	v_div_fmas_f64 v[26:27], v[26:27], v[32:33], v[36:37]
	v_div_fixup_f64 v[26:27], v[26:27], v[28:29], v[30:31]
	v_fma_f64 v[26:27], v[26:27], v[26:27], 1.0
	v_cmp_gt_f64_e32 vcc, s[22:23], v[26:27]
	s_nop 1
	v_cndmask_b32_e32 v30, 0, v62, vcc
	v_ldexp_f64 v[26:27], v[26:27], v30
	v_rsq_f64_e32 v[30:31], v[26:27]
	s_nop 0
	v_mul_f64 v[32:33], v[26:27], v[30:31]
	v_mul_f64 v[30:31], v[30:31], 0.5
	v_fma_f64 v[34:35], -v[30:31], v[32:33], 0.5
	v_fmac_f64_e32 v[32:33], v[32:33], v[34:35]
	v_fma_f64 v[36:37], -v[32:33], v[32:33], v[26:27]
	v_fmac_f64_e32 v[30:31], v[30:31], v[34:35]
	v_fmac_f64_e32 v[32:33], v[36:37], v[30:31]
	v_fma_f64 v[34:35], -v[32:33], v[32:33], v[26:27]
	v_fmac_f64_e32 v[32:33], v[34:35], v[30:31]
	v_cndmask_b32_e32 v30, 0, v63, vcc
	v_ldexp_f64 v[30:31], v[32:33], v30
	v_cmp_class_f64_e32 vcc, v[26:27], v59
	s_nop 1
	v_cndmask_b32_e32 v27, v31, v27, vcc
	v_cndmask_b32_e32 v26, v30, v26, vcc
	v_mul_f64 v[26:27], v[28:29], v[26:27]
.LBB327_25:                             ;   in Loop: Header=BB327_5 Depth=1
	s_or_b64 exec, exec, s[4:5]
	v_xor_b32_e32 v28, 0x80000000, v9
	v_cmp_gt_f64_e32 vcc, 0, v[8:9]
	v_mov_b32_e32 v30, v8
	v_mov_b32_e32 v32, v10
	v_cndmask_b32_e32 v31, v9, v28, vcc
	v_xor_b32_e32 v28, 0x80000000, v11
	v_cmp_gt_f64_e32 vcc, 0, v[10:11]
	s_nop 1
	v_cndmask_b32_e32 v33, v11, v28, vcc
	v_cmp_ngt_f64_e32 vcc, v[30:31], v[32:33]
                                        ; implicit-def: $vgpr28_vgpr29
	s_and_saveexec_b64 s[4:5], vcc
	s_xor_b64 s[4:5], exec, s[4:5]
	s_cbranch_execz .LBB327_29
; %bb.26:                               ;   in Loop: Header=BB327_5 Depth=1
	v_mov_b64_e32 v[28:29], 0
	v_cmp_neq_f64_e32 vcc, 0, v[10:11]
	s_and_saveexec_b64 s[26:27], vcc
	s_cbranch_execz .LBB327_28
; %bb.27:                               ;   in Loop: Header=BB327_5 Depth=1
	v_div_scale_f64 v[28:29], s[34:35], v[32:33], v[32:33], v[30:31]
	v_rcp_f64_e32 v[34:35], v[28:29]
	v_div_scale_f64 v[36:37], vcc, v[30:31], v[32:33], v[30:31]
	v_fma_f64 v[38:39], -v[28:29], v[34:35], 1.0
	v_fmac_f64_e32 v[34:35], v[34:35], v[38:39]
	v_fma_f64 v[38:39], -v[28:29], v[34:35], 1.0
	v_fmac_f64_e32 v[34:35], v[34:35], v[38:39]
	v_mul_f64 v[38:39], v[36:37], v[34:35]
	v_fma_f64 v[28:29], -v[28:29], v[38:39], v[36:37]
	v_div_fmas_f64 v[28:29], v[28:29], v[34:35], v[38:39]
	v_div_fixup_f64 v[28:29], v[28:29], v[32:33], v[30:31]
	v_fma_f64 v[28:29], v[28:29], v[28:29], 1.0
	v_cmp_gt_f64_e32 vcc, s[22:23], v[28:29]
	s_nop 1
	v_cndmask_b32_e32 v30, 0, v62, vcc
	v_ldexp_f64 v[28:29], v[28:29], v30
	v_rsq_f64_e32 v[30:31], v[28:29]
	s_nop 0
	v_mul_f64 v[34:35], v[28:29], v[30:31]
	v_mul_f64 v[30:31], v[30:31], 0.5
	v_fma_f64 v[36:37], -v[30:31], v[34:35], 0.5
	v_fmac_f64_e32 v[34:35], v[34:35], v[36:37]
	v_fma_f64 v[38:39], -v[34:35], v[34:35], v[28:29]
	v_fmac_f64_e32 v[30:31], v[30:31], v[36:37]
	v_fmac_f64_e32 v[34:35], v[38:39], v[30:31]
	v_fma_f64 v[36:37], -v[34:35], v[34:35], v[28:29]
	v_fmac_f64_e32 v[34:35], v[36:37], v[30:31]
	v_cndmask_b32_e32 v30, 0, v63, vcc
	v_ldexp_f64 v[30:31], v[34:35], v30
	v_cmp_class_f64_e32 vcc, v[28:29], v59
	s_nop 1
	v_cndmask_b32_e32 v29, v31, v29, vcc
	v_cndmask_b32_e32 v28, v30, v28, vcc
	v_mul_f64 v[28:29], v[32:33], v[28:29]
.LBB327_28:                             ;   in Loop: Header=BB327_5 Depth=1
	s_or_b64 exec, exec, s[26:27]
                                        ; implicit-def: $vgpr30_vgpr31
                                        ; implicit-def: $vgpr32_vgpr33
.LBB327_29:                             ;   in Loop: Header=BB327_5 Depth=1
	s_andn2_saveexec_b64 s[4:5], s[4:5]
	s_cbranch_execz .LBB327_31
; %bb.30:                               ;   in Loop: Header=BB327_5 Depth=1
	v_div_scale_f64 v[28:29], s[26:27], v[30:31], v[30:31], v[32:33]
	v_rcp_f64_e32 v[34:35], v[28:29]
	v_div_scale_f64 v[36:37], vcc, v[32:33], v[30:31], v[32:33]
	v_fma_f64 v[38:39], -v[28:29], v[34:35], 1.0
	v_fmac_f64_e32 v[34:35], v[34:35], v[38:39]
	v_fma_f64 v[38:39], -v[28:29], v[34:35], 1.0
	v_fmac_f64_e32 v[34:35], v[34:35], v[38:39]
	v_mul_f64 v[38:39], v[36:37], v[34:35]
	v_fma_f64 v[28:29], -v[28:29], v[38:39], v[36:37]
	v_div_fmas_f64 v[28:29], v[28:29], v[34:35], v[38:39]
	v_div_fixup_f64 v[28:29], v[28:29], v[30:31], v[32:33]
	v_fma_f64 v[28:29], v[28:29], v[28:29], 1.0
	v_cmp_gt_f64_e32 vcc, s[22:23], v[28:29]
	s_nop 1
	v_cndmask_b32_e32 v32, 0, v62, vcc
	v_ldexp_f64 v[28:29], v[28:29], v32
	v_rsq_f64_e32 v[32:33], v[28:29]
	s_nop 0
	v_mul_f64 v[34:35], v[28:29], v[32:33]
	v_mul_f64 v[32:33], v[32:33], 0.5
	v_fma_f64 v[36:37], -v[32:33], v[34:35], 0.5
	v_fmac_f64_e32 v[34:35], v[34:35], v[36:37]
	v_fma_f64 v[38:39], -v[34:35], v[34:35], v[28:29]
	v_fmac_f64_e32 v[32:33], v[32:33], v[36:37]
	v_fmac_f64_e32 v[34:35], v[38:39], v[32:33]
	v_fma_f64 v[36:37], -v[34:35], v[34:35], v[28:29]
	v_fmac_f64_e32 v[34:35], v[36:37], v[32:33]
	v_cndmask_b32_e32 v32, 0, v63, vcc
	v_ldexp_f64 v[32:33], v[34:35], v32
	v_cmp_class_f64_e32 vcc, v[28:29], v59
	s_nop 1
	v_cndmask_b32_e32 v29, v33, v29, vcc
	v_cndmask_b32_e32 v28, v32, v28, vcc
	v_mul_f64 v[28:29], v[30:31], v[28:29]
.LBB327_31:                             ;   in Loop: Header=BB327_5 Depth=1
	s_or_b64 exec, exec, s[4:5]
	v_xor_b32_e32 v30, 0x80000000, v17
	v_cmp_gt_f64_e32 vcc, 0, v[16:17]
	v_mov_b32_e32 v32, v16
	v_mov_b32_e32 v34, v18
	v_cndmask_b32_e32 v33, v17, v30, vcc
	v_xor_b32_e32 v30, 0x80000000, v19
	v_cmp_gt_f64_e32 vcc, 0, v[18:19]
	s_nop 1
	v_cndmask_b32_e32 v35, v19, v30, vcc
	v_cmp_ngt_f64_e32 vcc, v[32:33], v[34:35]
                                        ; implicit-def: $vgpr30_vgpr31
	s_and_saveexec_b64 s[4:5], vcc
	s_xor_b64 s[4:5], exec, s[4:5]
	s_cbranch_execz .LBB327_35
; %bb.32:                               ;   in Loop: Header=BB327_5 Depth=1
	v_mov_b64_e32 v[30:31], 0
	v_cmp_neq_f64_e32 vcc, 0, v[18:19]
	s_and_saveexec_b64 s[26:27], vcc
	s_cbranch_execz .LBB327_34
; %bb.33:                               ;   in Loop: Header=BB327_5 Depth=1
	v_div_scale_f64 v[30:31], s[34:35], v[34:35], v[34:35], v[32:33]
	v_rcp_f64_e32 v[36:37], v[30:31]
	v_div_scale_f64 v[38:39], vcc, v[32:33], v[34:35], v[32:33]
	v_fma_f64 v[48:49], -v[30:31], v[36:37], 1.0
	v_fmac_f64_e32 v[36:37], v[36:37], v[48:49]
	v_fma_f64 v[48:49], -v[30:31], v[36:37], 1.0
	v_fmac_f64_e32 v[36:37], v[36:37], v[48:49]
	v_mul_f64 v[48:49], v[38:39], v[36:37]
	v_fma_f64 v[30:31], -v[30:31], v[48:49], v[38:39]
	v_div_fmas_f64 v[30:31], v[30:31], v[36:37], v[48:49]
	v_div_fixup_f64 v[30:31], v[30:31], v[34:35], v[32:33]
	v_fma_f64 v[30:31], v[30:31], v[30:31], 1.0
	v_cmp_gt_f64_e32 vcc, s[22:23], v[30:31]
	s_nop 1
	v_cndmask_b32_e32 v32, 0, v62, vcc
	v_ldexp_f64 v[30:31], v[30:31], v32
	v_rsq_f64_e32 v[32:33], v[30:31]
	s_nop 0
	v_mul_f64 v[36:37], v[30:31], v[32:33]
	v_mul_f64 v[32:33], v[32:33], 0.5
	v_fma_f64 v[38:39], -v[32:33], v[36:37], 0.5
	v_fmac_f64_e32 v[36:37], v[36:37], v[38:39]
	v_fma_f64 v[48:49], -v[36:37], v[36:37], v[30:31]
	v_fmac_f64_e32 v[32:33], v[32:33], v[38:39]
	v_fmac_f64_e32 v[36:37], v[48:49], v[32:33]
	v_fma_f64 v[38:39], -v[36:37], v[36:37], v[30:31]
	v_fmac_f64_e32 v[36:37], v[38:39], v[32:33]
	v_cndmask_b32_e32 v32, 0, v63, vcc
	v_ldexp_f64 v[32:33], v[36:37], v32
	v_cmp_class_f64_e32 vcc, v[30:31], v59
	s_nop 1
	v_cndmask_b32_e32 v31, v33, v31, vcc
	v_cndmask_b32_e32 v30, v32, v30, vcc
	v_mul_f64 v[30:31], v[34:35], v[30:31]
.LBB327_34:                             ;   in Loop: Header=BB327_5 Depth=1
	s_or_b64 exec, exec, s[26:27]
                                        ; implicit-def: $vgpr32_vgpr33
                                        ; implicit-def: $vgpr34_vgpr35
.LBB327_35:                             ;   in Loop: Header=BB327_5 Depth=1
	s_andn2_saveexec_b64 s[4:5], s[4:5]
	s_cbranch_execz .LBB327_37
; %bb.36:                               ;   in Loop: Header=BB327_5 Depth=1
	v_div_scale_f64 v[30:31], s[26:27], v[32:33], v[32:33], v[34:35]
	v_rcp_f64_e32 v[36:37], v[30:31]
	v_div_scale_f64 v[38:39], vcc, v[34:35], v[32:33], v[34:35]
	v_fma_f64 v[48:49], -v[30:31], v[36:37], 1.0
	v_fmac_f64_e32 v[36:37], v[36:37], v[48:49]
	v_fma_f64 v[48:49], -v[30:31], v[36:37], 1.0
	v_fmac_f64_e32 v[36:37], v[36:37], v[48:49]
	v_mul_f64 v[48:49], v[38:39], v[36:37]
	v_fma_f64 v[30:31], -v[30:31], v[48:49], v[38:39]
	v_div_fmas_f64 v[30:31], v[30:31], v[36:37], v[48:49]
	v_div_fixup_f64 v[30:31], v[30:31], v[32:33], v[34:35]
	v_fma_f64 v[30:31], v[30:31], v[30:31], 1.0
	v_cmp_gt_f64_e32 vcc, s[22:23], v[30:31]
	s_nop 1
	v_cndmask_b32_e32 v34, 0, v62, vcc
	v_ldexp_f64 v[30:31], v[30:31], v34
	v_rsq_f64_e32 v[34:35], v[30:31]
	s_nop 0
	v_mul_f64 v[36:37], v[30:31], v[34:35]
	v_mul_f64 v[34:35], v[34:35], 0.5
	v_fma_f64 v[38:39], -v[34:35], v[36:37], 0.5
	v_fmac_f64_e32 v[36:37], v[36:37], v[38:39]
	v_fma_f64 v[48:49], -v[36:37], v[36:37], v[30:31]
	v_fmac_f64_e32 v[34:35], v[34:35], v[38:39]
	v_fmac_f64_e32 v[36:37], v[48:49], v[34:35]
	v_fma_f64 v[38:39], -v[36:37], v[36:37], v[30:31]
	v_fmac_f64_e32 v[36:37], v[38:39], v[34:35]
	v_cndmask_b32_e32 v34, 0, v63, vcc
	v_ldexp_f64 v[34:35], v[36:37], v34
	v_cmp_class_f64_e32 vcc, v[30:31], v59
	s_nop 1
	v_cndmask_b32_e32 v31, v35, v31, vcc
	v_cndmask_b32_e32 v30, v34, v30, vcc
	v_mul_f64 v[30:31], v[32:33], v[30:31]
.LBB327_37:                             ;   in Loop: Header=BB327_5 Depth=1
	s_or_b64 exec, exec, s[4:5]
	v_xor_b32_e32 v32, 0x80000000, v13
	v_cmp_gt_f64_e32 vcc, 0, v[12:13]
	v_mov_b32_e32 v34, v12
	v_mov_b32_e32 v36, v14
	v_cndmask_b32_e32 v35, v13, v32, vcc
	v_xor_b32_e32 v32, 0x80000000, v15
	v_cmp_gt_f64_e32 vcc, 0, v[14:15]
	s_nop 1
	v_cndmask_b32_e32 v37, v15, v32, vcc
	v_cmp_ngt_f64_e32 vcc, v[34:35], v[36:37]
                                        ; implicit-def: $vgpr32_vgpr33
	s_and_saveexec_b64 s[4:5], vcc
	s_xor_b64 s[4:5], exec, s[4:5]
	s_cbranch_execz .LBB327_41
; %bb.38:                               ;   in Loop: Header=BB327_5 Depth=1
	v_mov_b64_e32 v[32:33], 0
	v_cmp_neq_f64_e32 vcc, 0, v[14:15]
	s_and_saveexec_b64 s[26:27], vcc
	s_cbranch_execz .LBB327_40
; %bb.39:                               ;   in Loop: Header=BB327_5 Depth=1
	v_div_scale_f64 v[32:33], s[34:35], v[36:37], v[36:37], v[34:35]
	v_rcp_f64_e32 v[38:39], v[32:33]
	v_div_scale_f64 v[48:49], vcc, v[34:35], v[36:37], v[34:35]
	v_fma_f64 v[50:51], -v[32:33], v[38:39], 1.0
	v_fmac_f64_e32 v[38:39], v[38:39], v[50:51]
	v_fma_f64 v[50:51], -v[32:33], v[38:39], 1.0
	v_fmac_f64_e32 v[38:39], v[38:39], v[50:51]
	v_mul_f64 v[50:51], v[48:49], v[38:39]
	v_fma_f64 v[32:33], -v[32:33], v[50:51], v[48:49]
	v_div_fmas_f64 v[32:33], v[32:33], v[38:39], v[50:51]
	v_div_fixup_f64 v[32:33], v[32:33], v[36:37], v[34:35]
	v_fma_f64 v[32:33], v[32:33], v[32:33], 1.0
	v_cmp_gt_f64_e32 vcc, s[22:23], v[32:33]
	s_nop 1
	v_cndmask_b32_e32 v34, 0, v62, vcc
	v_ldexp_f64 v[32:33], v[32:33], v34
	v_rsq_f64_e32 v[34:35], v[32:33]
	s_nop 0
	v_mul_f64 v[38:39], v[32:33], v[34:35]
	v_mul_f64 v[34:35], v[34:35], 0.5
	v_fma_f64 v[48:49], -v[34:35], v[38:39], 0.5
	v_fmac_f64_e32 v[38:39], v[38:39], v[48:49]
	v_fma_f64 v[50:51], -v[38:39], v[38:39], v[32:33]
	v_fmac_f64_e32 v[34:35], v[34:35], v[48:49]
	v_fmac_f64_e32 v[38:39], v[50:51], v[34:35]
	v_fma_f64 v[48:49], -v[38:39], v[38:39], v[32:33]
	v_fmac_f64_e32 v[38:39], v[48:49], v[34:35]
	v_cndmask_b32_e32 v34, 0, v63, vcc
	v_ldexp_f64 v[34:35], v[38:39], v34
	v_cmp_class_f64_e32 vcc, v[32:33], v59
	s_nop 1
	v_cndmask_b32_e32 v33, v35, v33, vcc
	v_cndmask_b32_e32 v32, v34, v32, vcc
	v_mul_f64 v[32:33], v[36:37], v[32:33]
.LBB327_40:                             ;   in Loop: Header=BB327_5 Depth=1
	s_or_b64 exec, exec, s[26:27]
                                        ; implicit-def: $vgpr34_vgpr35
                                        ; implicit-def: $vgpr36_vgpr37
.LBB327_41:                             ;   in Loop: Header=BB327_5 Depth=1
	s_andn2_saveexec_b64 s[4:5], s[4:5]
	s_cbranch_execz .LBB327_43
; %bb.42:                               ;   in Loop: Header=BB327_5 Depth=1
	v_div_scale_f64 v[32:33], s[26:27], v[34:35], v[34:35], v[36:37]
	v_rcp_f64_e32 v[38:39], v[32:33]
	v_div_scale_f64 v[48:49], vcc, v[36:37], v[34:35], v[36:37]
	v_fma_f64 v[50:51], -v[32:33], v[38:39], 1.0
	v_fmac_f64_e32 v[38:39], v[38:39], v[50:51]
	v_fma_f64 v[50:51], -v[32:33], v[38:39], 1.0
	v_fmac_f64_e32 v[38:39], v[38:39], v[50:51]
	v_mul_f64 v[50:51], v[48:49], v[38:39]
	v_fma_f64 v[32:33], -v[32:33], v[50:51], v[48:49]
	v_div_fmas_f64 v[32:33], v[32:33], v[38:39], v[50:51]
	v_div_fixup_f64 v[32:33], v[32:33], v[34:35], v[36:37]
	v_fma_f64 v[32:33], v[32:33], v[32:33], 1.0
	v_cmp_gt_f64_e32 vcc, s[22:23], v[32:33]
	s_nop 1
	v_cndmask_b32_e32 v36, 0, v62, vcc
	v_ldexp_f64 v[32:33], v[32:33], v36
	v_rsq_f64_e32 v[36:37], v[32:33]
	s_nop 0
	v_mul_f64 v[38:39], v[32:33], v[36:37]
	v_mul_f64 v[36:37], v[36:37], 0.5
	v_fma_f64 v[48:49], -v[36:37], v[38:39], 0.5
	v_fmac_f64_e32 v[38:39], v[38:39], v[48:49]
	v_fma_f64 v[50:51], -v[38:39], v[38:39], v[32:33]
	v_fmac_f64_e32 v[36:37], v[36:37], v[48:49]
	v_fmac_f64_e32 v[38:39], v[50:51], v[36:37]
	v_fma_f64 v[48:49], -v[38:39], v[38:39], v[32:33]
	v_fmac_f64_e32 v[38:39], v[48:49], v[36:37]
	v_cndmask_b32_e32 v36, 0, v63, vcc
	v_ldexp_f64 v[36:37], v[38:39], v36
	v_cmp_class_f64_e32 vcc, v[32:33], v59
	s_nop 1
	v_cndmask_b32_e32 v33, v37, v33, vcc
	v_cndmask_b32_e32 v32, v36, v32, vcc
	v_mul_f64 v[32:33], v[34:35], v[32:33]
.LBB327_43:                             ;   in Loop: Header=BB327_5 Depth=1
	s_or_b64 exec, exec, s[4:5]
	v_xor_b32_e32 v34, 0x80000000, v1
	v_cmp_gt_f64_e32 vcc, 0, v[0:1]
	v_mov_b32_e32 v36, v0
	v_mov_b32_e32 v38, v2
	v_cndmask_b32_e32 v37, v1, v34, vcc
	v_xor_b32_e32 v34, 0x80000000, v3
	v_cmp_gt_f64_e32 vcc, 0, v[2:3]
	s_nop 1
	v_cndmask_b32_e32 v39, v3, v34, vcc
	v_cmp_ngt_f64_e32 vcc, v[36:37], v[38:39]
                                        ; implicit-def: $vgpr34_vgpr35
	s_and_saveexec_b64 s[4:5], vcc
	s_xor_b64 s[4:5], exec, s[4:5]
	s_cbranch_execz .LBB327_47
; %bb.44:                               ;   in Loop: Header=BB327_5 Depth=1
	v_mov_b64_e32 v[34:35], 0
	v_cmp_neq_f64_e32 vcc, 0, v[2:3]
	s_and_saveexec_b64 s[26:27], vcc
	s_cbranch_execz .LBB327_46
; %bb.45:                               ;   in Loop: Header=BB327_5 Depth=1
	v_div_scale_f64 v[34:35], s[34:35], v[38:39], v[38:39], v[36:37]
	v_rcp_f64_e32 v[48:49], v[34:35]
	v_div_scale_f64 v[50:51], vcc, v[36:37], v[38:39], v[36:37]
	v_fma_f64 v[52:53], -v[34:35], v[48:49], 1.0
	v_fmac_f64_e32 v[48:49], v[48:49], v[52:53]
	v_fma_f64 v[52:53], -v[34:35], v[48:49], 1.0
	v_fmac_f64_e32 v[48:49], v[48:49], v[52:53]
	v_mul_f64 v[52:53], v[50:51], v[48:49]
	v_fma_f64 v[34:35], -v[34:35], v[52:53], v[50:51]
	v_div_fmas_f64 v[34:35], v[34:35], v[48:49], v[52:53]
	v_div_fixup_f64 v[34:35], v[34:35], v[38:39], v[36:37]
	v_fma_f64 v[34:35], v[34:35], v[34:35], 1.0
	v_cmp_gt_f64_e32 vcc, s[22:23], v[34:35]
	s_nop 1
	v_cndmask_b32_e32 v36, 0, v62, vcc
	v_ldexp_f64 v[34:35], v[34:35], v36
	v_rsq_f64_e32 v[36:37], v[34:35]
	s_nop 0
	v_mul_f64 v[48:49], v[34:35], v[36:37]
	v_mul_f64 v[36:37], v[36:37], 0.5
	v_fma_f64 v[50:51], -v[36:37], v[48:49], 0.5
	v_fmac_f64_e32 v[48:49], v[48:49], v[50:51]
	v_fma_f64 v[52:53], -v[48:49], v[48:49], v[34:35]
	v_fmac_f64_e32 v[36:37], v[36:37], v[50:51]
	v_fmac_f64_e32 v[48:49], v[52:53], v[36:37]
	v_fma_f64 v[50:51], -v[48:49], v[48:49], v[34:35]
	v_fmac_f64_e32 v[48:49], v[50:51], v[36:37]
	v_cndmask_b32_e32 v36, 0, v63, vcc
	v_ldexp_f64 v[36:37], v[48:49], v36
	v_cmp_class_f64_e32 vcc, v[34:35], v59
	s_nop 1
	v_cndmask_b32_e32 v35, v37, v35, vcc
	v_cndmask_b32_e32 v34, v36, v34, vcc
	v_mul_f64 v[34:35], v[38:39], v[34:35]
.LBB327_46:                             ;   in Loop: Header=BB327_5 Depth=1
	s_or_b64 exec, exec, s[26:27]
                                        ; implicit-def: $vgpr36_vgpr37
                                        ; implicit-def: $vgpr38_vgpr39
.LBB327_47:                             ;   in Loop: Header=BB327_5 Depth=1
	s_andn2_saveexec_b64 s[4:5], s[4:5]
	s_cbranch_execz .LBB327_49
; %bb.48:                               ;   in Loop: Header=BB327_5 Depth=1
	v_div_scale_f64 v[34:35], s[26:27], v[36:37], v[36:37], v[38:39]
	v_rcp_f64_e32 v[48:49], v[34:35]
	v_div_scale_f64 v[50:51], vcc, v[38:39], v[36:37], v[38:39]
	v_fma_f64 v[52:53], -v[34:35], v[48:49], 1.0
	v_fmac_f64_e32 v[48:49], v[48:49], v[52:53]
	v_fma_f64 v[52:53], -v[34:35], v[48:49], 1.0
	v_fmac_f64_e32 v[48:49], v[48:49], v[52:53]
	v_mul_f64 v[52:53], v[50:51], v[48:49]
	v_fma_f64 v[34:35], -v[34:35], v[52:53], v[50:51]
	v_div_fmas_f64 v[34:35], v[34:35], v[48:49], v[52:53]
	v_div_fixup_f64 v[34:35], v[34:35], v[36:37], v[38:39]
	v_fma_f64 v[34:35], v[34:35], v[34:35], 1.0
	v_cmp_gt_f64_e32 vcc, s[22:23], v[34:35]
	s_nop 1
	v_cndmask_b32_e32 v38, 0, v62, vcc
	v_ldexp_f64 v[34:35], v[34:35], v38
	v_rsq_f64_e32 v[38:39], v[34:35]
	s_nop 0
	v_mul_f64 v[48:49], v[34:35], v[38:39]
	v_mul_f64 v[38:39], v[38:39], 0.5
	v_fma_f64 v[50:51], -v[38:39], v[48:49], 0.5
	v_fmac_f64_e32 v[48:49], v[48:49], v[50:51]
	v_fma_f64 v[52:53], -v[48:49], v[48:49], v[34:35]
	v_fmac_f64_e32 v[38:39], v[38:39], v[50:51]
	v_fmac_f64_e32 v[48:49], v[52:53], v[38:39]
	v_fma_f64 v[50:51], -v[48:49], v[48:49], v[34:35]
	v_fmac_f64_e32 v[48:49], v[50:51], v[38:39]
	v_cndmask_b32_e32 v38, 0, v63, vcc
	v_ldexp_f64 v[38:39], v[48:49], v38
	v_cmp_class_f64_e32 vcc, v[34:35], v59
	s_nop 1
	v_cndmask_b32_e32 v35, v39, v35, vcc
	v_cndmask_b32_e32 v34, v38, v34, vcc
	v_mul_f64 v[34:35], v[36:37], v[34:35]
.LBB327_49:                             ;   in Loop: Header=BB327_5 Depth=1
	s_or_b64 exec, exec, s[4:5]
	v_mul_f64 v[48:49], v[18:19], -v[6:7]
	v_fmac_f64_e32 v[48:49], v[4:5], v[16:17]
	v_mul_f64 v[50:51], v[18:19], v[4:5]
	v_fmac_f64_e32 v[50:51], v[6:7], v[16:17]
	v_xor_b32_e32 v36, 0x80000000, v49
	v_cmp_gt_f64_e32 vcc, 0, v[48:49]
	v_xor_b32_e32 v38, 0x80000000, v51
                                        ; implicit-def: $vgpr52_vgpr53
	s_nop 0
	v_cndmask_b32_e32 v37, v49, v36, vcc
	v_cmp_gt_f64_e32 vcc, 0, v[50:51]
	v_mov_b32_e32 v36, v48
	s_nop 0
	v_cndmask_b32_e32 v39, v51, v38, vcc
	v_mov_b32_e32 v38, v50
	v_cmp_ngt_f64_e32 vcc, v[36:37], v[38:39]
	s_and_saveexec_b64 s[4:5], vcc
	s_xor_b64 s[4:5], exec, s[4:5]
	s_cbranch_execz .LBB327_53
; %bb.50:                               ;   in Loop: Header=BB327_5 Depth=1
	v_mov_b64_e32 v[52:53], 0
	v_cmp_neq_f64_e32 vcc, 0, v[50:51]
	s_and_saveexec_b64 s[26:27], vcc
	s_cbranch_execz .LBB327_52
; %bb.51:                               ;   in Loop: Header=BB327_5 Depth=1
	v_div_scale_f64 v[52:53], s[34:35], v[38:39], v[38:39], v[36:37]
	v_rcp_f64_e32 v[54:55], v[52:53]
	v_div_scale_f64 v[56:57], vcc, v[36:37], v[38:39], v[36:37]
	v_fma_f64 v[64:65], -v[52:53], v[54:55], 1.0
	v_fmac_f64_e32 v[54:55], v[54:55], v[64:65]
	v_fma_f64 v[64:65], -v[52:53], v[54:55], 1.0
	v_fmac_f64_e32 v[54:55], v[54:55], v[64:65]
	v_mul_f64 v[64:65], v[56:57], v[54:55]
	v_fma_f64 v[52:53], -v[52:53], v[64:65], v[56:57]
	v_div_fmas_f64 v[52:53], v[52:53], v[54:55], v[64:65]
	v_div_fixup_f64 v[36:37], v[52:53], v[38:39], v[36:37]
	v_fma_f64 v[36:37], v[36:37], v[36:37], 1.0
	v_cmp_gt_f64_e32 vcc, s[22:23], v[36:37]
	s_nop 1
	v_cndmask_b32_e32 v45, 0, v62, vcc
	v_ldexp_f64 v[36:37], v[36:37], v45
	v_rsq_f64_e32 v[52:53], v[36:37]
	v_cndmask_b32_e32 v45, 0, v63, vcc
	v_cmp_class_f64_e32 vcc, v[36:37], v59
	v_mul_f64 v[54:55], v[36:37], v[52:53]
	v_mul_f64 v[52:53], v[52:53], 0.5
	v_fma_f64 v[56:57], -v[52:53], v[54:55], 0.5
	v_fmac_f64_e32 v[54:55], v[54:55], v[56:57]
	v_fma_f64 v[64:65], -v[54:55], v[54:55], v[36:37]
	v_fmac_f64_e32 v[52:53], v[52:53], v[56:57]
	v_fmac_f64_e32 v[54:55], v[64:65], v[52:53]
	v_fma_f64 v[56:57], -v[54:55], v[54:55], v[36:37]
	v_fmac_f64_e32 v[54:55], v[56:57], v[52:53]
	v_ldexp_f64 v[52:53], v[54:55], v45
	v_cndmask_b32_e32 v37, v53, v37, vcc
	v_cndmask_b32_e32 v36, v52, v36, vcc
	v_mul_f64 v[52:53], v[38:39], v[36:37]
.LBB327_52:                             ;   in Loop: Header=BB327_5 Depth=1
	s_or_b64 exec, exec, s[26:27]
                                        ; implicit-def: $vgpr36_vgpr37
                                        ; implicit-def: $vgpr38_vgpr39
.LBB327_53:                             ;   in Loop: Header=BB327_5 Depth=1
	s_andn2_saveexec_b64 s[4:5], s[4:5]
	s_cbranch_execz .LBB327_55
; %bb.54:                               ;   in Loop: Header=BB327_5 Depth=1
	v_div_scale_f64 v[52:53], s[26:27], v[36:37], v[36:37], v[38:39]
	v_rcp_f64_e32 v[54:55], v[52:53]
	v_div_scale_f64 v[56:57], vcc, v[38:39], v[36:37], v[38:39]
	v_fma_f64 v[64:65], -v[52:53], v[54:55], 1.0
	v_fmac_f64_e32 v[54:55], v[54:55], v[64:65]
	v_fma_f64 v[64:65], -v[52:53], v[54:55], 1.0
	v_fmac_f64_e32 v[54:55], v[54:55], v[64:65]
	v_mul_f64 v[64:65], v[56:57], v[54:55]
	v_fma_f64 v[52:53], -v[52:53], v[64:65], v[56:57]
	v_div_fmas_f64 v[52:53], v[52:53], v[54:55], v[64:65]
	v_div_fixup_f64 v[38:39], v[52:53], v[36:37], v[38:39]
	v_fma_f64 v[38:39], v[38:39], v[38:39], 1.0
	v_cmp_gt_f64_e32 vcc, s[22:23], v[38:39]
	s_nop 1
	v_cndmask_b32_e32 v45, 0, v62, vcc
	v_ldexp_f64 v[38:39], v[38:39], v45
	v_rsq_f64_e32 v[52:53], v[38:39]
	v_cndmask_b32_e32 v45, 0, v63, vcc
	v_cmp_class_f64_e32 vcc, v[38:39], v59
	v_mul_f64 v[54:55], v[38:39], v[52:53]
	v_mul_f64 v[52:53], v[52:53], 0.5
	v_fma_f64 v[56:57], -v[52:53], v[54:55], 0.5
	v_fmac_f64_e32 v[54:55], v[54:55], v[56:57]
	v_fma_f64 v[64:65], -v[54:55], v[54:55], v[38:39]
	v_fmac_f64_e32 v[52:53], v[52:53], v[56:57]
	v_fmac_f64_e32 v[54:55], v[64:65], v[52:53]
	v_fma_f64 v[56:57], -v[54:55], v[54:55], v[38:39]
	v_fmac_f64_e32 v[54:55], v[56:57], v[52:53]
	v_ldexp_f64 v[52:53], v[54:55], v45
	v_cndmask_b32_e32 v39, v53, v39, vcc
	v_cndmask_b32_e32 v38, v52, v38, vcc
	v_mul_f64 v[52:53], v[36:37], v[38:39]
.LBB327_55:                             ;   in Loop: Header=BB327_5 Depth=1
	s_or_b64 exec, exec, s[4:5]
	v_cmp_lt_f64_e32 vcc, v[24:25], v[26:27]
	v_cmp_ne_u32_e64 s[4:5], s30, v44
	s_nop 0
	v_cndmask_b32_e32 v25, v25, v27, vcc
	v_cndmask_b32_e32 v24, v24, v26, vcc
	v_cmp_lt_f64_e32 vcc, v[28:29], v[24:25]
	v_mul_f64 v[26:27], v[52:53], s[24:25]
	s_nop 0
	v_cndmask_b32_e32 v25, v29, v25, vcc
	v_cndmask_b32_e32 v24, v28, v24, vcc
	v_cmp_lt_f64_e32 vcc, v[30:31], v[24:25]
	s_nop 1
	v_cndmask_b32_e32 v25, v31, v25, vcc
	v_cndmask_b32_e32 v24, v30, v24, vcc
	v_cmp_lt_f64_e32 vcc, v[32:33], v[24:25]
	s_nop 1
	v_cndmask_b32_e32 v25, v33, v25, vcc
	v_cndmask_b32_e32 v24, v32, v24, vcc
	v_mul_f64 v[24:25], v[24:25], v[34:35]
	v_cmp_nge_f64_e32 vcc, v[24:25], v[26:27]
	s_and_b64 s[4:5], s[4:5], vcc
	s_and_saveexec_b64 s[26:27], s[4:5]
	s_xor_b64 s[4:5], exec, s[26:27]
	s_cbranch_execz .LBB327_61
; %bb.56:                               ;   in Loop: Header=BB327_5 Depth=1
	v_add_u32_e32 v52, v58, v44
	v_ashrrev_i32_e32 v45, 31, v44
	v_lshlrev_b64 v[64:65], 4, v[46:47]
	v_ashrrev_i32_e32 v53, 31, v52
	v_lshl_add_u64 v[68:69], v[44:45], 4, v[42:43]
	v_lshl_add_u64 v[70:71], s[12:13], 0, v[64:65]
	v_lshlrev_b64 v[36:37], 4, v[52:53]
	global_load_dwordx4 v[24:27], v[68:69], off
	global_load_dwordx4 v[32:35], v[70:71], off
	v_lshl_add_u64 v[56:57], s[10:11], 0, v[36:37]
	global_load_dwordx4 v[28:31], v[56:57], off
	v_lshl_add_u64 v[54:55], s[12:13], 0, v[36:37]
	global_load_dwordx4 v[36:39], v[54:55], off
	v_mul_f64 v[66:67], v[10:11], -v[2:3]
	v_mul_f64 v[72:73], v[0:1], v[10:11]
	v_fmac_f64_e32 v[66:67], v[0:1], v[8:9]
	v_fmac_f64_e32 v[72:73], v[2:3], v[8:9]
	v_lshl_add_u64 v[78:79], v[46:47], 2, s[6:7]
	v_add_f64 v[46:47], v[66:67], -v[48:49]
	v_add_f64 v[48:49], v[72:73], -v[50:51]
	v_mul_f64 v[50:51], v[48:49], v[48:49]
	v_fmac_f64_e32 v[50:51], v[46:47], v[46:47]
	v_div_scale_f64 v[66:67], s[26:27], v[50:51], v[50:51], 1.0
	v_rcp_f64_e32 v[72:73], v[66:67]
	v_lshl_add_u64 v[80:81], s[14:15], 0, v[64:65]
	v_fma_f64 v[64:65], 0, v[48:49], v[46:47]
	v_fma_f64 v[48:49], v[46:47], 0, -v[48:49]
	v_fma_f64 v[82:83], -v[66:67], v[72:73], 1.0
	v_fmac_f64_e32 v[72:73], v[72:73], v[82:83]
	v_fma_f64 v[82:83], -v[66:67], v[72:73], 1.0
	v_div_scale_f64 v[46:47], vcc, 1.0, v[50:51], 1.0
	v_fmac_f64_e32 v[72:73], v[72:73], v[82:83]
	v_mul_f64 v[82:83], v[46:47], v[72:73]
	v_fma_f64 v[46:47], -v[66:67], v[82:83], v[46:47]
	s_nop 0
	v_div_fmas_f64 v[46:47], v[46:47], v[72:73], v[82:83]
	v_mul_f64 v[74:75], v[18:19], v[14:15]
	v_mul_f64 v[76:77], v[14:15], -v[16:17]
	v_div_fixup_f64 v[50:51], v[46:47], v[50:51], 1.0
	v_fma_f64 v[74:75], -v[16:17], v[12:13], v[74:75]
	v_fma_f64 v[76:77], -v[18:19], v[12:13], v[76:77]
	v_mul_f64 v[48:49], v[48:49], v[50:51]
	v_mul_f64 v[46:47], v[64:65], v[50:51]
	v_mul_f64 v[64:65], v[48:49], -v[76:77]
	v_mul_f64 v[66:67], v[48:49], v[74:75]
	v_fmac_f64_e32 v[64:65], v[74:75], v[46:47]
	v_fmac_f64_e32 v[66:67], v[76:77], v[46:47]
	global_store_dwordx4 v[80:81], v[64:67], off
	s_waitcnt vmcnt(4)
	v_mul_f64 v[50:51], v[26:27], -v[10:11]
	v_mul_f64 v[64:65], v[8:9], v[26:27]
	s_waitcnt vmcnt(3)
	v_mul_f64 v[66:67], v[34:35], -v[10:11]
	v_mul_f64 v[72:73], v[8:9], v[34:35]
	v_fmac_f64_e32 v[50:51], v[8:9], v[24:25]
	v_fmac_f64_e32 v[64:65], v[10:11], v[24:25]
	;; [unrolled: 1-line block ×4, first 2 shown]
	s_waitcnt vmcnt(2)
	v_mul_f64 v[8:9], v[30:31], -v[18:19]
	v_mul_f64 v[10:11], v[16:17], v[30:31]
	s_waitcnt vmcnt(1)
	v_mul_f64 v[74:75], v[38:39], -v[18:19]
	v_mul_f64 v[76:77], v[16:17], v[38:39]
	v_fmac_f64_e32 v[8:9], v[16:17], v[28:29]
	v_fmac_f64_e32 v[10:11], v[18:19], v[28:29]
	;; [unrolled: 1-line block ×4, first 2 shown]
	v_add_f64 v[50:51], v[50:51], -v[8:9]
	v_add_f64 v[64:65], v[64:65], -v[10:11]
	;; [unrolled: 1-line block ×4, first 2 shown]
	v_mul_f64 v[8:9], v[48:49], -v[64:65]
	v_mul_f64 v[10:11], v[48:49], v[50:51]
	v_mul_f64 v[16:17], v[48:49], -v[72:73]
	v_mul_f64 v[18:19], v[48:49], v[66:67]
	v_fmac_f64_e32 v[8:9], v[50:51], v[46:47]
	v_fmac_f64_e32 v[10:11], v[64:65], v[46:47]
	;; [unrolled: 1-line block ×4, first 2 shown]
	global_store_dwordx4 v[68:69], v[8:11], off
	global_store_dwordx4 v[70:71], v[16:19], off
	global_store_dword v[78:79], v60, off
	s_and_saveexec_b64 s[26:27], s[0:1]
	s_cbranch_execz .LBB327_58
; %bb.57:                               ;   in Loop: Header=BB327_5 Depth=1
	v_mul_f64 v[8:9], v[6:7], v[26:27]
	v_mul_f64 v[10:11], v[26:27], -v[4:5]
	v_mul_f64 v[16:17], v[30:31], -v[2:3]
	v_mul_f64 v[18:19], v[0:1], v[30:31]
	v_fma_f64 v[8:9], -v[4:5], v[24:25], v[8:9]
	v_fma_f64 v[10:11], -v[6:7], v[24:25], v[10:11]
	v_fmac_f64_e32 v[16:17], v[0:1], v[28:29]
	v_fmac_f64_e32 v[18:19], v[2:3], v[28:29]
	v_add_f64 v[16:17], v[8:9], v[16:17]
	v_add_f64 v[18:19], v[10:11], v[18:19]
	v_mul_f64 v[8:9], v[48:49], -v[18:19]
	v_mul_f64 v[10:11], v[48:49], v[16:17]
	v_fmac_f64_e32 v[8:9], v[16:17], v[46:47]
	v_fmac_f64_e32 v[10:11], v[18:19], v[46:47]
	global_store_dwordx4 v[56:57], v[8:11], off
	v_mul_f64 v[16:17], v[38:39], -v[2:3]
	v_mul_f64 v[18:19], v[0:1], v[38:39]
	v_mul_f64 v[8:9], v[6:7], v[34:35]
	v_mul_f64 v[10:11], v[34:35], -v[4:5]
	v_fma_f64 v[8:9], -v[4:5], v[32:33], v[8:9]
	v_fma_f64 v[10:11], -v[6:7], v[32:33], v[10:11]
	v_fmac_f64_e32 v[16:17], v[0:1], v[36:37]
	v_fmac_f64_e32 v[18:19], v[2:3], v[36:37]
	v_add_f64 v[16:17], v[8:9], v[16:17]
	v_add_f64 v[18:19], v[10:11], v[18:19]
	v_mul_f64 v[8:9], v[48:49], -v[18:19]
	v_mul_f64 v[10:11], v[48:49], v[16:17]
	v_fmac_f64_e32 v[8:9], v[16:17], v[46:47]
	v_fmac_f64_e32 v[10:11], v[18:19], v[46:47]
	v_mul_f64 v[16:17], v[0:1], v[14:15]
	global_store_dwordx4 v[54:55], v[8:11], off
	v_fmac_f64_e32 v[16:17], v[2:3], v[12:13]
	s_nop 0
	v_mul_f64 v[10:11], v[14:15], -v[2:3]
	v_fmac_f64_e32 v[10:11], v[0:1], v[12:13]
	v_mul_f64 v[8:9], v[48:49], -v[16:17]
	v_fmac_f64_e32 v[8:9], v[10:11], v[46:47]
	v_mul_f64 v[10:11], v[48:49], v[10:11]
	v_fmac_f64_e32 v[10:11], v[16:17], v[46:47]
	v_lshl_add_u64 v[16:17], v[52:53], 4, s[14:15]
	global_store_dwordx4 v[16:17], v[8:11], off
	s_nop 1
	v_lshl_add_u64 v[8:9], v[52:53], 2, s[6:7]
	global_store_dword v[8:9], v60, off
.LBB327_58:                             ;   in Loop: Header=BB327_5 Depth=1
	s_or_b64 exec, exec, s[26:27]
	v_mov_b64_e32 v[10:11], 0
	v_mov_b64_e32 v[8:9], 0
	s_and_saveexec_b64 s[26:27], s[2:3]
	s_cbranch_execz .LBB327_60
; %bb.59:                               ;   in Loop: Header=BB327_5 Depth=1
	v_add_u32_e32 v8, v41, v44
	v_ashrrev_i32_e32 v9, 31, v8
	v_lshlrev_b64 v[16:17], 4, v[8:9]
	v_lshl_add_u64 v[32:33], s[10:11], 0, v[16:17]
	v_lshl_add_u64 v[16:17], s[18:19], 0, v[16:17]
	global_load_dwordx4 v[8:11], v[32:33], off
	v_mul_f64 v[34:35], v[6:7], v[22:23]
	global_load_dwordx4 v[16:19], v[16:17], off
	v_mul_f64 v[36:37], v[22:23], -v[4:5]
	v_mul_f64 v[38:39], v[22:23], -v[2:3]
	v_mul_f64 v[50:51], v[0:1], v[22:23]
	v_mul_f64 v[52:53], v[2:3], -v[22:23]
	v_mul_f64 v[54:55], v[2:3], v[20:21]
	v_fma_f64 v[4:5], -v[4:5], v[20:21], v[34:35]
	v_fma_f64 v[6:7], -v[6:7], v[20:21], v[36:37]
	v_fmac_f64_e32 v[38:39], v[0:1], v[20:21]
	v_fmac_f64_e32 v[50:51], v[2:3], v[20:21]
	;; [unrolled: 1-line block ×4, first 2 shown]
	v_mul_f64 v[0:1], v[48:49], -v[6:7]
	v_mul_f64 v[2:3], v[48:49], v[4:5]
	v_mul_f64 v[20:21], v[48:49], -v[50:51]
	v_mul_f64 v[22:23], v[48:49], v[38:39]
	;; [unrolled: 2-line block ×3, first 2 shown]
	v_fmac_f64_e32 v[0:1], v[4:5], v[46:47]
	v_fmac_f64_e32 v[2:3], v[6:7], v[46:47]
	;; [unrolled: 1-line block ×6, first 2 shown]
	v_mul_f64 v[4:5], v[2:3], v[26:27]
	v_mul_f64 v[6:7], v[26:27], -v[0:1]
	v_mul_f64 v[12:13], v[30:31], -v[22:23]
	v_mul_f64 v[26:27], v[20:21], v[30:31]
	v_mul_f64 v[30:31], v[48:49], -v[14:15]
	v_mul_f64 v[36:37], v[48:49], v[34:35]
	v_fma_f64 v[0:1], -v[0:1], v[24:25], v[4:5]
	v_fma_f64 v[2:3], -v[2:3], v[24:25], v[6:7]
	v_fmac_f64_e32 v[12:13], v[20:21], v[28:29]
	v_fmac_f64_e32 v[26:27], v[22:23], v[28:29]
	;; [unrolled: 1-line block ×4, first 2 shown]
	v_add_f64 v[0:1], v[0:1], -v[12:13]
	v_add_f64 v[2:3], v[2:3], -v[26:27]
	s_waitcnt vmcnt(1)
	v_add_f64 v[0:1], v[0:1], v[8:9]
	v_add_f64 v[2:3], v[2:3], v[10:11]
	s_waitcnt vmcnt(0)
	v_add_f64 v[8:9], v[16:17], -v[30:31]
	v_add_f64 v[10:11], v[18:19], -v[36:37]
	global_store_dwordx4 v[32:33], v[0:3], off
.LBB327_60:                             ;   in Loop: Header=BB327_5 Depth=1
	s_or_b64 exec, exec, s[26:27]
	s_nop 0
	v_mov_b64_e32 v[2:3], v[10:11]
	v_mov_b64_e32 v[0:1], v[8:9]
                                        ; implicit-def: $vgpr4_vgpr5
                                        ; implicit-def: $vgpr8_vgpr9
                                        ; implicit-def: $vgpr48_vgpr49
                                        ; implicit-def: $vgpr50_vgpr51
                                        ; implicit-def: $vgpr46_vgpr47
                                        ; implicit-def: $vgpr18_vgpr19
.LBB327_61:                             ;   in Loop: Header=BB327_5 Depth=1
	s_or_saveexec_b64 s[2:3], s[4:5]
	v_mov_b32_e32 v12, s33
	s_xor_b64 exec, exec, s[2:3]
	s_cbranch_execz .LBB327_4
; %bb.62:                               ;   in Loop: Header=BB327_5 Depth=1
	v_ashrrev_i32_e32 v45, 31, v44
	v_lshl_add_u64 v[28:29], v[44:45], 4, v[42:43]
	v_lshlrev_b64 v[24:25], 4, v[46:47]
	global_load_dwordx4 v[12:15], v[28:29], off
	v_lshl_add_u64 v[30:31], s[12:13], 0, v[24:25]
	global_load_dwordx4 v[20:23], v[30:31], off
	v_mul_f64 v[26:27], v[2:3], v[2:3]
	v_fmac_f64_e32 v[26:27], v[0:1], v[0:1]
	v_fma_f64 v[32:33], 0, v[2:3], v[0:1]
	v_fma_f64 v[2:3], v[0:1], 0, -v[2:3]
	v_div_scale_f64 v[0:1], s[4:5], v[26:27], v[26:27], 1.0
	v_rcp_f64_e32 v[36:37], v[0:1]
	v_lshl_add_u64 v[34:35], v[46:47], 2, s[6:7]
	v_lshl_add_u64 v[38:39], s[14:15], 0, v[24:25]
	v_div_scale_f64 v[24:25], vcc, 1.0, v[26:27], 1.0
	v_fma_f64 v[46:47], -v[0:1], v[36:37], 1.0
	v_fmac_f64_e32 v[36:37], v[36:37], v[46:47]
	v_fma_f64 v[46:47], -v[0:1], v[36:37], 1.0
	v_fmac_f64_e32 v[36:37], v[36:37], v[46:47]
	v_mul_f64 v[46:47], v[24:25], v[36:37]
	v_fma_f64 v[0:1], -v[0:1], v[46:47], v[24:25]
	v_div_fmas_f64 v[0:1], v[0:1], v[36:37], v[46:47]
	v_div_fixup_f64 v[24:25], v[0:1], v[26:27], 1.0
	v_mul_f64 v[2:3], v[2:3], v[24:25]
	v_mul_f64 v[0:1], v[32:33], v[24:25]
	v_mul_f64 v[24:25], v[2:3], -v[18:19]
	v_mul_f64 v[26:27], v[2:3], v[16:17]
	v_fmac_f64_e32 v[24:25], v[16:17], v[0:1]
	v_fmac_f64_e32 v[26:27], v[18:19], v[0:1]
	global_store_dwordx4 v[38:39], v[24:27], off
	s_waitcnt vmcnt(2)
	v_mul_f64 v[16:17], v[2:3], -v[14:15]
	v_mul_f64 v[18:19], v[2:3], v[12:13]
	s_waitcnt vmcnt(1)
	v_mul_f64 v[24:25], v[2:3], -v[22:23]
	v_mul_f64 v[26:27], v[2:3], v[20:21]
	v_fmac_f64_e32 v[16:17], v[12:13], v[0:1]
	v_fmac_f64_e32 v[18:19], v[14:15], v[0:1]
	;; [unrolled: 1-line block ×4, first 2 shown]
	global_store_dwordx4 v[28:29], v[16:19], off
	global_store_dwordx4 v[30:31], v[24:27], off
	global_store_dword v[34:35], v61, off
	s_and_saveexec_b64 s[4:5], s[0:1]
	s_cbranch_execz .LBB327_3
; %bb.63:                               ;   in Loop: Header=BB327_5 Depth=1
	v_add_u32_e32 v16, v58, v44
	v_ashrrev_i32_e32 v17, 31, v16
	v_lshl_add_u64 v[20:21], v[16:17], 4, s[10:11]
	global_load_dwordx4 v[16:19], v[20:21], off
	v_mul_f64 v[22:23], v[2:3], v[4:5]
	v_mul_f64 v[24:25], v[2:3], -v[6:7]
	v_fmac_f64_e32 v[22:23], v[6:7], v[0:1]
	v_fmac_f64_e32 v[24:25], v[4:5], v[0:1]
	v_mul_f64 v[4:5], v[22:23], v[14:15]
	v_mul_f64 v[6:7], v[14:15], -v[24:25]
	v_fma_f64 v[4:5], -v[24:25], v[12:13], v[4:5]
	v_fma_f64 v[6:7], -v[22:23], v[12:13], v[6:7]
	s_waitcnt vmcnt(0)
	v_add_f64 v[4:5], v[4:5], v[16:17]
	v_add_f64 v[6:7], v[6:7], v[18:19]
	global_store_dwordx4 v[20:21], v[4:7], off
	s_branch .LBB327_3
.LBB327_64:
	s_or_b64 exec, exec, s[20:21]
.LBB327_65:
	v_subrev_u32_e32 v2, s28, v44
	v_add_u32_e32 v0, v2, v40
	v_ashrrev_i32_e32 v1, 31, v0
	s_waitcnt lgkmcnt(0)
	v_lshl_add_u64 v[0:1], v[0:1], 2, s[6:7]
	buffer_wbl2 sc1
	s_waitcnt vmcnt(0)
	buffer_inv sc1
	global_load_dword v0, v[0:1], off
	s_waitcnt vmcnt(0)
	v_mul_lo_u32 v0, v0, s28
	v_sub_u32_e32 v4, v2, v0
	v_cmp_lt_i32_e32 vcc, -1, v4
	s_and_b64 exec, exec, vcc
	s_cbranch_execz .LBB327_72
; %bb.66:
	v_subrev_u32_e32 v12, s28, v40
	s_lshl_b32 s4, s28, 1
	s_mov_b64 s[0:1], 0
	s_branch .LBB327_68
.LBB327_67:                             ;   in Loop: Header=BB327_68 Depth=1
	s_or_b64 exec, exec, s[2:3]
	v_lshl_add_u64 v[6:7], v[6:7], 4, s[12:13]
	global_load_dwordx4 v[0:3], v[6:7], off
	v_sub_u32_e32 v4, v4, v5
	v_cmp_gt_i32_e32 vcc, 0, v4
	s_or_b64 s[0:1], vcc, s[0:1]
	s_waitcnt vmcnt(0)
	v_add_f64 v[0:1], v[0:1], v[8:9]
	v_add_f64 v[2:3], v[10:11], v[2:3]
	global_store_dwordx4 v[6:7], v[0:3], off
	s_andn2_b64 exec, exec, s[0:1]
	s_cbranch_execz .LBB327_72
.LBB327_68:                             ; =>This Inner Loop Header: Depth=1
	v_add_u32_e32 v6, v4, v40
	v_ashrrev_i32_e32 v7, 31, v6
	v_lshl_add_u64 v[0:1], v[6:7], 2, s[6:7]
	global_load_dword v5, v[0:1], off
	v_lshl_add_u64 v[0:1], v[6:7], 4, s[14:15]
	global_load_dwordx4 v[0:3], v[0:1], off
                                        ; implicit-def: $vgpr10_vgpr11
                                        ; implicit-def: $vgpr8_vgpr9
	s_waitcnt vmcnt(1)
	v_cmp_ne_u32_e32 vcc, 1, v5
	s_and_saveexec_b64 s[2:3], vcc
	s_xor_b64 s[2:3], exec, s[2:3]
	s_cbranch_execz .LBB327_70
; %bb.69:                               ;   in Loop: Header=BB327_68 Depth=1
	v_add_u32_e32 v8, v58, v4
	v_ashrrev_i32_e32 v9, 31, v8
	v_lshlrev_b64 v[14:15], 4, v[8:9]
	v_lshl_add_u64 v[30:31], s[10:11], 0, v[14:15]
	global_load_dwordx4 v[8:11], v[30:31], off
	v_lshl_add_u64 v[32:33], s[12:13], 0, v[14:15]
	v_ashrrev_i32_e32 v5, 31, v4
	global_load_dwordx4 v[14:17], v[32:33], off
	v_lshl_add_u64 v[34:35], v[4:5], 4, v[42:43]
	global_load_dwordx4 v[18:21], v[34:35], off
	v_lshl_add_u64 v[36:37], v[6:7], 4, s[12:13]
	global_load_dwordx4 v[22:25], v[36:37], off
	v_add_u32_e32 v38, v12, v4
	v_ashrrev_i32_e32 v39, 31, v38
	v_lshlrev_b64 v[44:45], 4, v[38:39]
	v_lshl_add_u64 v[6:7], s[14:15], 0, v[44:45]
	global_load_dwordx4 v[26:29], v[6:7], off
	s_waitcnt vmcnt(4)
	v_mul_f64 v[6:7], v[2:3], v[10:11]
	v_mul_f64 v[10:11], v[10:11], -v[0:1]
	v_fma_f64 v[6:7], -v[0:1], v[8:9], v[6:7]
	s_waitcnt vmcnt(3)
	v_mul_f64 v[46:47], v[2:3], v[16:17]
	v_mul_f64 v[16:17], v[16:17], -v[0:1]
	v_fma_f64 v[8:9], -v[2:3], v[8:9], v[10:11]
	v_fma_f64 v[10:11], -v[0:1], v[14:15], v[46:47]
	;; [unrolled: 1-line block ×3, first 2 shown]
	s_waitcnt vmcnt(2)
	v_add_f64 v[0:1], v[18:19], v[6:7]
	v_add_f64 v[2:3], v[8:9], v[20:21]
	global_store_dwordx4 v[34:35], v[0:3], off
	s_waitcnt vmcnt(2)
	v_add_f64 v[6:7], v[22:23], v[10:11]
	v_add_f64 v[8:9], v[14:15], v[24:25]
	global_load_dwordx4 v[0:3], v[30:31], off
	v_lshl_add_u64 v[18:19], s[10:11], 0, v[44:45]
	global_store_dwordx4 v[36:37], v[6:9], off
	global_load_dwordx4 v[6:9], v[32:33], off
	s_waitcnt vmcnt(0)
	v_mul_f64 v[20:21], v[28:29], v[8:9]
	global_load_dwordx4 v[14:17], v[18:19], off
	v_mul_f64 v[10:11], v[28:29], v[2:3]
	v_mul_f64 v[2:3], v[2:3], -v[26:27]
	v_fma_f64 v[24:25], -v[26:27], v[0:1], v[10:11]
	v_fma_f64 v[2:3], -v[28:29], v[0:1], v[2:3]
	v_mul_f64 v[22:23], v[8:9], -v[26:27]
	v_fma_f64 v[8:9], -v[26:27], v[6:7], v[20:21]
	v_fma_f64 v[10:11], -v[28:29], v[6:7], v[22:23]
	v_mov_b64_e32 v[6:7], v[38:39]
	s_waitcnt vmcnt(0)
	v_add_f64 v[0:1], v[14:15], v[24:25]
	v_add_f64 v[2:3], v[2:3], v[16:17]
	global_store_dwordx4 v[18:19], v[0:3], off
                                        ; implicit-def: $vgpr2_vgpr3
.LBB327_70:                             ;   in Loop: Header=BB327_68 Depth=1
	s_or_saveexec_b64 s[2:3], s[2:3]
	v_mov_b32_e32 v5, s4
	s_xor_b64 exec, exec, s[2:3]
	s_cbranch_execz .LBB327_67
; %bb.71:                               ;   in Loop: Header=BB327_68 Depth=1
	v_add_u32_e32 v8, v58, v4
	v_ashrrev_i32_e32 v9, 31, v8
	v_lshlrev_b64 v[14:15], 4, v[8:9]
	v_lshl_add_u64 v[8:9], s[10:11], 0, v[14:15]
	global_load_dwordx4 v[8:11], v[8:9], off
	v_lshl_add_u64 v[14:15], s[12:13], 0, v[14:15]
	v_ashrrev_i32_e32 v5, 31, v4
	global_load_dwordx4 v[14:17], v[14:15], off
	v_lshl_add_u64 v[22:23], v[4:5], 4, v[42:43]
	global_load_dwordx4 v[18:21], v[22:23], off
	v_mov_b32_e32 v5, s28
	s_waitcnt vmcnt(2)
	v_mul_f64 v[24:25], v[2:3], v[10:11]
	v_mul_f64 v[10:11], v[10:11], -v[0:1]
	v_fma_f64 v[24:25], -v[0:1], v[8:9], v[24:25]
	s_waitcnt vmcnt(1)
	v_mul_f64 v[26:27], v[2:3], v[16:17]
	v_mul_f64 v[16:17], v[16:17], -v[0:1]
	v_fma_f64 v[28:29], -v[2:3], v[8:9], v[10:11]
	v_fma_f64 v[8:9], -v[0:1], v[14:15], v[26:27]
	;; [unrolled: 1-line block ×3, first 2 shown]
	s_waitcnt vmcnt(0)
	v_add_f64 v[0:1], v[18:19], v[24:25]
	v_add_f64 v[2:3], v[28:29], v[20:21]
	global_store_dwordx4 v[22:23], v[0:3], off
	s_branch .LBB327_67
.LBB327_72:
	s_endpgm
	.section	.rodata,"a",@progbits
	.p2align	6, 0x0
	.amdhsa_kernel _ZN9rocsparseL18gtsv_LBM_wv_kernelILj256ELj64E21rocsparse_complex_numIdEEEviiiPKT1_S5_S5_PS3_S6_S6_Pi
		.amdhsa_group_segment_fixed_size 0
		.amdhsa_private_segment_fixed_size 0
		.amdhsa_kernarg_size 72
		.amdhsa_user_sgpr_count 2
		.amdhsa_user_sgpr_dispatch_ptr 0
		.amdhsa_user_sgpr_queue_ptr 0
		.amdhsa_user_sgpr_kernarg_segment_ptr 1
		.amdhsa_user_sgpr_dispatch_id 0
		.amdhsa_user_sgpr_kernarg_preload_length 0
		.amdhsa_user_sgpr_kernarg_preload_offset 0
		.amdhsa_user_sgpr_private_segment_size 0
		.amdhsa_uses_dynamic_stack 0
		.amdhsa_enable_private_segment 0
		.amdhsa_system_sgpr_workgroup_id_x 1
		.amdhsa_system_sgpr_workgroup_id_y 0
		.amdhsa_system_sgpr_workgroup_id_z 0
		.amdhsa_system_sgpr_workgroup_info 0
		.amdhsa_system_vgpr_workitem_id 0
		.amdhsa_next_free_vgpr 84
		.amdhsa_next_free_sgpr 36
		.amdhsa_accum_offset 84
		.amdhsa_reserve_vcc 1
		.amdhsa_float_round_mode_32 0
		.amdhsa_float_round_mode_16_64 0
		.amdhsa_float_denorm_mode_32 3
		.amdhsa_float_denorm_mode_16_64 3
		.amdhsa_dx10_clamp 1
		.amdhsa_ieee_mode 1
		.amdhsa_fp16_overflow 0
		.amdhsa_tg_split 0
		.amdhsa_exception_fp_ieee_invalid_op 0
		.amdhsa_exception_fp_denorm_src 0
		.amdhsa_exception_fp_ieee_div_zero 0
		.amdhsa_exception_fp_ieee_overflow 0
		.amdhsa_exception_fp_ieee_underflow 0
		.amdhsa_exception_fp_ieee_inexact 0
		.amdhsa_exception_int_div_zero 0
	.end_amdhsa_kernel
	.section	.text._ZN9rocsparseL18gtsv_LBM_wv_kernelILj256ELj64E21rocsparse_complex_numIdEEEviiiPKT1_S5_S5_PS3_S6_S6_Pi,"axG",@progbits,_ZN9rocsparseL18gtsv_LBM_wv_kernelILj256ELj64E21rocsparse_complex_numIdEEEviiiPKT1_S5_S5_PS3_S6_S6_Pi,comdat
.Lfunc_end327:
	.size	_ZN9rocsparseL18gtsv_LBM_wv_kernelILj256ELj64E21rocsparse_complex_numIdEEEviiiPKT1_S5_S5_PS3_S6_S6_Pi, .Lfunc_end327-_ZN9rocsparseL18gtsv_LBM_wv_kernelILj256ELj64E21rocsparse_complex_numIdEEEviiiPKT1_S5_S5_PS3_S6_S6_Pi
                                        ; -- End function
	.set _ZN9rocsparseL18gtsv_LBM_wv_kernelILj256ELj64E21rocsparse_complex_numIdEEEviiiPKT1_S5_S5_PS3_S6_S6_Pi.num_vgpr, 84
	.set _ZN9rocsparseL18gtsv_LBM_wv_kernelILj256ELj64E21rocsparse_complex_numIdEEEviiiPKT1_S5_S5_PS3_S6_S6_Pi.num_agpr, 0
	.set _ZN9rocsparseL18gtsv_LBM_wv_kernelILj256ELj64E21rocsparse_complex_numIdEEEviiiPKT1_S5_S5_PS3_S6_S6_Pi.numbered_sgpr, 36
	.set _ZN9rocsparseL18gtsv_LBM_wv_kernelILj256ELj64E21rocsparse_complex_numIdEEEviiiPKT1_S5_S5_PS3_S6_S6_Pi.num_named_barrier, 0
	.set _ZN9rocsparseL18gtsv_LBM_wv_kernelILj256ELj64E21rocsparse_complex_numIdEEEviiiPKT1_S5_S5_PS3_S6_S6_Pi.private_seg_size, 0
	.set _ZN9rocsparseL18gtsv_LBM_wv_kernelILj256ELj64E21rocsparse_complex_numIdEEEviiiPKT1_S5_S5_PS3_S6_S6_Pi.uses_vcc, 1
	.set _ZN9rocsparseL18gtsv_LBM_wv_kernelILj256ELj64E21rocsparse_complex_numIdEEEviiiPKT1_S5_S5_PS3_S6_S6_Pi.uses_flat_scratch, 0
	.set _ZN9rocsparseL18gtsv_LBM_wv_kernelILj256ELj64E21rocsparse_complex_numIdEEEviiiPKT1_S5_S5_PS3_S6_S6_Pi.has_dyn_sized_stack, 0
	.set _ZN9rocsparseL18gtsv_LBM_wv_kernelILj256ELj64E21rocsparse_complex_numIdEEEviiiPKT1_S5_S5_PS3_S6_S6_Pi.has_recursion, 0
	.set _ZN9rocsparseL18gtsv_LBM_wv_kernelILj256ELj64E21rocsparse_complex_numIdEEEviiiPKT1_S5_S5_PS3_S6_S6_Pi.has_indirect_call, 0
	.section	.AMDGPU.csdata,"",@progbits
; Kernel info:
; codeLenInByte = 6668
; TotalNumSgprs: 42
; NumVgprs: 84
; NumAgprs: 0
; TotalNumVgprs: 84
; ScratchSize: 0
; MemoryBound: 1
; FloatMode: 240
; IeeeMode: 1
; LDSByteSize: 0 bytes/workgroup (compile time only)
; SGPRBlocks: 5
; VGPRBlocks: 10
; NumSGPRsForWavesPerEU: 42
; NumVGPRsForWavesPerEU: 84
; AccumOffset: 84
; Occupancy: 5
; WaveLimiterHint : 0
; COMPUTE_PGM_RSRC2:SCRATCH_EN: 0
; COMPUTE_PGM_RSRC2:USER_SGPR: 2
; COMPUTE_PGM_RSRC2:TRAP_HANDLER: 0
; COMPUTE_PGM_RSRC2:TGID_X_EN: 1
; COMPUTE_PGM_RSRC2:TGID_Y_EN: 0
; COMPUTE_PGM_RSRC2:TGID_Z_EN: 0
; COMPUTE_PGM_RSRC2:TIDIG_COMP_CNT: 0
; COMPUTE_PGM_RSRC3_GFX90A:ACCUM_OFFSET: 20
; COMPUTE_PGM_RSRC3_GFX90A:TG_SPLIT: 0
	.section	.text._ZN9rocsparseL19gtsv_LBM_rhs_kernelILj256ELj64ELj8E21rocsparse_complex_numIdEEEviiiPKT2_S5_S5_PS3_S5_PKi,"axG",@progbits,_ZN9rocsparseL19gtsv_LBM_rhs_kernelILj256ELj64ELj8E21rocsparse_complex_numIdEEEviiiPKT2_S5_S5_PS3_S5_PKi,comdat
	.globl	_ZN9rocsparseL19gtsv_LBM_rhs_kernelILj256ELj64ELj8E21rocsparse_complex_numIdEEEviiiPKT2_S5_S5_PS3_S5_PKi ; -- Begin function _ZN9rocsparseL19gtsv_LBM_rhs_kernelILj256ELj64ELj8E21rocsparse_complex_numIdEEEviiiPKT2_S5_S5_PS3_S5_PKi
	.p2align	8
	.type	_ZN9rocsparseL19gtsv_LBM_rhs_kernelILj256ELj64ELj8E21rocsparse_complex_numIdEEEviiiPKT2_S5_S5_PS3_S5_PKi,@function
_ZN9rocsparseL19gtsv_LBM_rhs_kernelILj256ELj64ELj8E21rocsparse_complex_numIdEEEviiiPKT2_S5_S5_PS3_S5_PKi: ; @_ZN9rocsparseL19gtsv_LBM_rhs_kernelILj256ELj64ELj8E21rocsparse_complex_numIdEEEviiiPKT2_S5_S5_PS3_S5_PKi
; %bb.0:
	s_load_dword s23, s[0:1], 0x0
	v_lshl_or_b32 v44, s2, 8, v0
	s_waitcnt lgkmcnt(0)
	s_lshr_b32 s22, s23, 6
	v_cmp_gt_i32_e32 vcc, s22, v44
	s_and_saveexec_b64 s[4:5], vcc
	s_cbranch_execz .LBB328_29
; %bb.1:
	s_load_dwordx4 s[8:11], s[0:1], 0x28
	s_load_dwordx2 s[6:7], s[0:1], 0x38
	s_cmp_lt_i32 s23, 1
	v_add_u32_e32 v114, s22, v44
	s_mul_i32 s24, s3, s23
	s_cbranch_scc1 .LBB328_21
; %bb.2:
	s_load_dwordx4 s[12:15], s[0:1], 0x10
	s_load_dwordx2 s[16:17], s[0:1], 0x20
	v_ashrrev_i32_e32 v45, 31, v44
	s_lshl_b32 s28, s24, 3
	s_add_i32 s29, s28, s23
	s_waitcnt lgkmcnt(0)
	v_lshl_add_u64 v[0:1], v[44:45], 4, s[14:15]
	global_load_dwordx4 v[0:3], v[0:1], off
	s_add_i32 s30, s29, s23
	s_add_i32 s31, s30, s23
	;; [unrolled: 1-line block ×5, first 2 shown]
	s_mul_i32 s25, s22, 63
	s_mul_i32 s26, s22, 62
	s_lshl_b32 s27, s22, 1
	v_add_u32_e32 v45, s22, v114
	s_add_i32 s36, s35, s23
	v_mov_b32_e32 v47, 0
	s_mov_b64 s[18:19], 0
	v_mov_b32_e32 v115, 0
	s_branch .LBB328_5
.LBB328_3:                              ;   in Loop: Header=BB328_5 Depth=1
	s_or_b64 exec, exec, s[4:5]
	v_fmac_f64_e32 v[50:51], v[4:5], v[8:9]
	v_fmac_f64_e32 v[48:49], v[6:7], v[8:9]
	v_mul_f64 v[0:1], v[52:53], -v[48:49]
	v_mul_f64 v[2:3], v[52:53], v[50:51]
	v_fmac_f64_e32 v[0:1], v[50:51], v[10:11]
	v_fmac_f64_e32 v[2:3], v[48:49], v[10:11]
	v_add_f64 v[0:1], v[12:13], -v[0:1]
	v_add_f64 v[2:3], v[14:15], -v[2:3]
	v_mov_b32_e32 v10, s22
.LBB328_4:                              ;   in Loop: Header=BB328_5 Depth=1
	s_or_b64 exec, exec, s[2:3]
	v_add_u32_e32 v115, v10, v115
	v_cmp_le_i32_e32 vcc, s23, v115
	s_or_b64 s[18:19], vcc, s[18:19]
	s_andn2_b64 exec, exec, s[18:19]
	s_cbranch_execz .LBB328_20
.LBB328_5:                              ; =>This Inner Loop Header: Depth=1
	v_add_u32_e32 v24, v115, v44
	v_ashrrev_i32_e32 v25, 31, v24
	v_lshl_add_u64 v[4:5], v[24:25], 4, s[16:17]
	global_load_dwordx4 v[8:11], v[4:5], off
	v_cmp_gt_u32_e64 s[0:1], s25, v115
	v_mov_b64_e32 v[12:13], 0
	v_mov_b64_e32 v[4:5], 0
	v_mov_b64_e32 v[6:7], 0
	s_and_saveexec_b64 s[2:3], s[0:1]
	s_cbranch_execz .LBB328_7
; %bb.6:                                ;   in Loop: Header=BB328_5 Depth=1
	v_add_u32_e32 v4, v114, v115
	v_ashrrev_i32_e32 v5, 31, v4
	v_lshl_add_u64 v[4:5], v[4:5], 4, s[12:13]
	global_load_dwordx4 v[4:7], v[4:5], off
.LBB328_7:                              ;   in Loop: Header=BB328_5 Depth=1
	s_or_b64 exec, exec, s[2:3]
	v_mov_b64_e32 v[14:15], 0
	s_and_saveexec_b64 s[2:3], s[0:1]
	s_cbranch_execz .LBB328_9
; %bb.8:                                ;   in Loop: Header=BB328_5 Depth=1
	v_add_u32_e32 v12, v114, v115
	v_ashrrev_i32_e32 v13, 31, v12
	v_lshl_add_u64 v[12:13], v[12:13], 4, s[14:15]
	global_load_dwordx4 v[12:15], v[12:13], off
.LBB328_9:                              ;   in Loop: Header=BB328_5 Depth=1
	s_or_b64 exec, exec, s[2:3]
	v_mov_b64_e32 v[20:21], 0
	v_mov_b64_e32 v[16:17], 0
	;; [unrolled: 1-line block ×3, first 2 shown]
	s_and_saveexec_b64 s[2:3], s[0:1]
	s_cbranch_execz .LBB328_11
; %bb.10:                               ;   in Loop: Header=BB328_5 Depth=1
	v_add_u32_e32 v16, v114, v115
	v_ashrrev_i32_e32 v17, 31, v16
	v_lshl_add_u64 v[16:17], v[16:17], 4, s[16:17]
	global_load_dwordx4 v[16:19], v[16:17], off
.LBB328_11:                             ;   in Loop: Header=BB328_5 Depth=1
	s_or_b64 exec, exec, s[2:3]
	v_cmp_gt_u32_e64 s[2:3], s26, v115
	v_mov_b64_e32 v[22:23], 0
	s_and_saveexec_b64 s[4:5], s[2:3]
	s_cbranch_execz .LBB328_13
; %bb.12:                               ;   in Loop: Header=BB328_5 Depth=1
	v_add_u32_e32 v20, v45, v115
	v_ashrrev_i32_e32 v21, 31, v20
	v_lshl_add_u64 v[20:21], v[20:21], 4, s[12:13]
	global_load_dwordx4 v[20:23], v[20:21], off
.LBB328_13:                             ;   in Loop: Header=BB328_5 Depth=1
	s_or_b64 exec, exec, s[4:5]
	v_lshl_add_u64 v[26:27], v[24:25], 2, s[6:7]
	global_load_dword v25, v[26:27], off
	v_cmp_ne_u32_e32 vcc, s25, v115
	s_waitcnt vmcnt(1)
	v_mul_f64 v[50:51], v[10:11], -v[6:7]
	v_mul_f64 v[48:49], v[10:11], v[4:5]
	v_add_u32_e32 v46, s28, v24
	v_add_u32_e32 v42, s29, v24
	;; [unrolled: 1-line block ×8, first 2 shown]
	s_waitcnt vmcnt(0)
	v_cmp_ne_u32_e64 s[4:5], 1, v25
	s_and_b64 s[4:5], vcc, s[4:5]
	s_and_saveexec_b64 s[20:21], s[4:5]
	s_xor_b64 s[4:5], exec, s[20:21]
	s_cbranch_execz .LBB328_17
; %bb.14:                               ;   in Loop: Header=BB328_5 Depth=1
	v_add_u32_e32 v82, v114, v115
	v_lshl_add_u64 v[34:35], v[46:47], 4, s[8:9]
	v_add_u32_e32 v46, s28, v82
	v_lshl_add_u64 v[54:55], v[46:47], 4, s[8:9]
	global_load_dwordx4 v[24:27], v[34:35], off
	global_load_dwordx4 v[56:59], v[54:55], off
	v_mov_b32_e32 v43, v47
	v_add_u32_e32 v46, s29, v82
	v_lshl_add_u64 v[42:43], v[42:43], 4, s[8:9]
	v_lshl_add_u64 v[72:73], v[46:47], 4, s[8:9]
	global_load_dwordx4 v[60:63], v[42:43], off
	global_load_dwordx4 v[64:67], v[72:73], off
	v_mul_f64 v[68:69], v[14:15], -v[2:3]
	v_mul_f64 v[70:71], v[0:1], v[14:15]
	v_mov_b32_e32 v41, v47
	v_add_u32_e32 v46, s30, v82
	v_fmac_f64_e32 v[50:51], v[4:5], v[8:9]
	v_fmac_f64_e32 v[48:49], v[6:7], v[8:9]
	v_mov_b32_e32 v39, v47
	v_mov_b32_e32 v37, v47
	v_mov_b32_e32 v31, v47
	v_mov_b32_e32 v29, v47
	v_fmac_f64_e32 v[68:69], v[0:1], v[12:13]
	v_fmac_f64_e32 v[70:71], v[2:3], v[12:13]
	v_lshl_add_u64 v[52:53], v[40:41], 4, s[8:9]
	v_lshl_add_u64 v[112:113], v[46:47], 4, s[8:9]
	;; [unrolled: 1-line block ×6, first 2 shown]
	v_add_f64 v[28:29], v[68:69], -v[50:51]
	v_add_f64 v[30:31], v[70:71], -v[48:49]
	global_load_dwordx4 v[48:51], v[52:53], off
	global_load_dwordx4 v[76:79], v[40:41], off
	;; [unrolled: 1-line block ×4, first 2 shown]
	v_add_u32_e32 v46, s31, v82
	v_lshl_add_u64 v[110:111], v[46:47], 4, s[8:9]
	global_load_dwordx4 v[124:127], v[110:111], off
	v_add_u32_e32 v46, s33, v82
	v_lshl_add_u64 v[108:109], v[46:47], 4, s[8:9]
	global_load_dwordx4 v[128:131], v[108:109], off
	v_add_u32_e32 v46, s34, v82
	v_mov_b32_e32 v33, v47
	v_lshl_add_u64 v[106:107], v[46:47], 4, s[8:9]
	v_add_u32_e32 v46, s35, v82
	v_lshl_add_u64 v[32:33], v[32:33], 4, s[8:9]
	v_lshl_add_u64 v[104:105], v[46:47], 4, s[8:9]
	v_add_u32_e32 v46, s36, v82
	v_lshl_add_u64 v[102:103], v[46:47], 4, s[8:9]
	global_load_dwordx4 v[132:135], v[32:33], off
	global_load_dwordx4 v[136:139], v[36:37], off
	;; [unrolled: 1-line block ×6, first 2 shown]
	v_mul_f64 v[68:69], v[30:31], v[30:31]
	v_fmac_f64_e32 v[68:69], v[28:29], v[28:29]
	v_fma_f64 v[70:71], 0, v[30:31], v[28:29]
	v_fma_f64 v[30:31], v[28:29], 0, -v[30:31]
	v_div_scale_f64 v[28:29], s[20:21], v[68:69], v[68:69], 1.0
	v_rcp_f64_e32 v[80:81], v[28:29]
	v_div_scale_f64 v[74:75], vcc, 1.0, v[68:69], 1.0
	v_fma_f64 v[82:83], -v[28:29], v[80:81], 1.0
	v_fmac_f64_e32 v[80:81], v[80:81], v[82:83]
	v_fma_f64 v[82:83], -v[28:29], v[80:81], 1.0
	v_fmac_f64_e32 v[80:81], v[80:81], v[82:83]
	v_mul_f64 v[82:83], v[74:75], v[80:81]
	v_fma_f64 v[28:29], -v[28:29], v[82:83], v[74:75]
	v_div_fmas_f64 v[28:29], v[28:29], v[80:81], v[82:83]
	v_div_fixup_f64 v[68:69], v[28:29], v[68:69], 1.0
	v_mul_f64 v[30:31], v[30:31], v[68:69]
	v_mul_f64 v[28:29], v[70:71], v[68:69]
	s_waitcnt vmcnt(15)
	v_mul_f64 v[96:97], v[30:31], v[24:25]
	s_waitcnt vmcnt(14)
	v_mul_f64 v[98:99], v[30:31], v[56:57]
	v_mul_f64 v[84:85], v[30:31], -v[26:27]
	v_fmac_f64_e32 v[96:97], v[26:27], v[28:29]
	v_mul_f64 v[88:89], v[30:31], -v[58:59]
	v_fmac_f64_e32 v[98:99], v[58:59], v[28:29]
	v_fmac_f64_e32 v[84:85], v[24:25], v[28:29]
	v_mul_f64 v[24:25], v[96:97], -v[14:15]
	v_mul_f64 v[26:27], v[12:13], v[96:97]
	v_fmac_f64_e32 v[88:89], v[56:57], v[28:29]
	v_mul_f64 v[56:57], v[98:99], -v[10:11]
	v_mul_f64 v[58:59], v[8:9], v[98:99]
	v_fmac_f64_e32 v[24:25], v[12:13], v[84:85]
	v_fmac_f64_e32 v[26:27], v[14:15], v[84:85]
	;; [unrolled: 1-line block ×4, first 2 shown]
	s_waitcnt vmcnt(13)
	v_mul_f64 v[80:81], v[30:31], v[60:61]
	s_waitcnt vmcnt(12)
	v_mul_f64 v[82:83], v[30:31], v[64:65]
	v_add_f64 v[24:25], v[24:25], -v[56:57]
	v_add_f64 v[26:27], v[26:27], -v[58:59]
	v_mul_f64 v[70:71], v[30:31], -v[62:63]
	v_fmac_f64_e32 v[80:81], v[62:63], v[28:29]
	v_mul_f64 v[74:75], v[30:31], -v[66:67]
	v_fmac_f64_e32 v[82:83], v[66:67], v[28:29]
	global_store_dwordx4 v[34:35], v[24:27], off
	v_fmac_f64_e32 v[70:71], v[60:61], v[28:29]
	v_fmac_f64_e32 v[74:75], v[64:65], v[28:29]
	v_mul_f64 v[24:25], v[80:81], -v[14:15]
	v_mul_f64 v[26:27], v[12:13], v[80:81]
	v_mul_f64 v[34:35], v[82:83], -v[10:11]
	v_mul_f64 v[56:57], v[8:9], v[82:83]
	v_fmac_f64_e32 v[24:25], v[12:13], v[70:71]
	v_fmac_f64_e32 v[26:27], v[14:15], v[70:71]
	;; [unrolled: 1-line block ×4, first 2 shown]
	s_waitcnt vmcnt(12)
	v_mul_f64 v[92:93], v[30:31], v[48:49]
	s_waitcnt vmcnt(9)
	v_mul_f64 v[94:95], v[30:31], v[120:121]
	v_add_f64 v[24:25], v[24:25], -v[34:35]
	v_add_f64 v[26:27], v[26:27], -v[56:57]
	v_mul_f64 v[86:87], v[30:31], -v[50:51]
	v_fmac_f64_e32 v[92:93], v[50:51], v[28:29]
	v_mul_f64 v[90:91], v[30:31], -v[122:123]
	v_fmac_f64_e32 v[94:95], v[122:123], v[28:29]
	global_store_dwordx4 v[42:43], v[24:27], off
	v_fmac_f64_e32 v[86:87], v[48:49], v[28:29]
	v_fmac_f64_e32 v[90:91], v[120:121], v[28:29]
	v_mul_f64 v[24:25], v[92:93], -v[14:15]
	v_mul_f64 v[26:27], v[12:13], v[92:93]
	v_mul_f64 v[34:35], v[94:95], -v[10:11]
	v_mul_f64 v[42:43], v[8:9], v[94:95]
	v_fmac_f64_e32 v[24:25], v[12:13], v[86:87]
	v_fmac_f64_e32 v[26:27], v[14:15], v[86:87]
	v_fmac_f64_e32 v[34:35], v[8:9], v[90:91]
	v_fmac_f64_e32 v[42:43], v[10:11], v[90:91]
	v_mul_f64 v[58:59], v[30:31], v[76:77]
	s_waitcnt vmcnt(9)
	v_mul_f64 v[62:63], v[30:31], v[124:125]
	v_add_f64 v[24:25], v[24:25], -v[34:35]
	v_add_f64 v[26:27], v[26:27], -v[42:43]
	v_mul_f64 v[48:49], v[30:31], -v[78:79]
	v_fmac_f64_e32 v[58:59], v[78:79], v[28:29]
	v_mul_f64 v[50:51], v[30:31], -v[126:127]
	v_fmac_f64_e32 v[62:63], v[126:127], v[28:29]
	global_store_dwordx4 v[52:53], v[24:27], off
	v_fmac_f64_e32 v[48:49], v[76:77], v[28:29]
	v_fmac_f64_e32 v[50:51], v[124:125], v[28:29]
	v_mul_f64 v[24:25], v[58:59], -v[14:15]
	v_mul_f64 v[26:27], v[12:13], v[58:59]
	v_mul_f64 v[34:35], v[62:63], -v[10:11]
	v_mul_f64 v[42:43], v[8:9], v[62:63]
	v_fmac_f64_e32 v[24:25], v[12:13], v[48:49]
	v_fmac_f64_e32 v[26:27], v[14:15], v[48:49]
	v_fmac_f64_e32 v[34:35], v[8:9], v[50:51]
	v_fmac_f64_e32 v[42:43], v[10:11], v[50:51]
	;; [unrolled: 20-line block ×3, first 2 shown]
	s_waitcnt vmcnt(9)
	v_mul_f64 v[60:61], v[30:31], v[132:133]
	s_waitcnt vmcnt(6)
	v_mul_f64 v[64:65], v[30:31], v[144:145]
	v_add_f64 v[24:25], v[24:25], -v[34:35]
	v_add_f64 v[26:27], v[26:27], -v[40:41]
	v_mul_f64 v[52:53], v[30:31], -v[134:135]
	v_fmac_f64_e32 v[60:61], v[134:135], v[28:29]
	v_mul_f64 v[56:57], v[30:31], -v[146:147]
	v_fmac_f64_e32 v[64:65], v[146:147], v[28:29]
	global_store_dwordx4 v[38:39], v[24:27], off
	v_fmac_f64_e32 v[52:53], v[132:133], v[28:29]
	v_fmac_f64_e32 v[56:57], v[144:145], v[28:29]
	v_mul_f64 v[24:25], v[60:61], -v[14:15]
	v_mul_f64 v[26:27], v[12:13], v[60:61]
	v_mul_f64 v[34:35], v[64:65], -v[10:11]
	v_mul_f64 v[38:39], v[8:9], v[64:65]
	v_fmac_f64_e32 v[24:25], v[12:13], v[52:53]
	v_fmac_f64_e32 v[26:27], v[14:15], v[52:53]
	;; [unrolled: 1-line block ×4, first 2 shown]
	v_add_f64 v[24:25], v[24:25], -v[34:35]
	v_add_f64 v[26:27], v[26:27], -v[38:39]
	v_mul_f64 v[40:41], v[30:31], v[136:137]
	s_waitcnt vmcnt(6)
	v_mul_f64 v[42:43], v[30:31], v[148:149]
	global_store_dwordx4 v[32:33], v[24:27], off
	v_mul_f64 v[32:33], v[30:31], -v[138:139]
	v_fmac_f64_e32 v[40:41], v[138:139], v[28:29]
	v_mul_f64 v[34:35], v[30:31], -v[150:151]
	v_fmac_f64_e32 v[42:43], v[150:151], v[28:29]
	v_fmac_f64_e32 v[32:33], v[136:137], v[28:29]
	v_fmac_f64_e32 v[34:35], v[148:149], v[28:29]
	v_mul_f64 v[24:25], v[40:41], -v[14:15]
	v_mul_f64 v[26:27], v[12:13], v[40:41]
	v_mul_f64 v[38:39], v[42:43], -v[10:11]
	v_mul_f64 v[116:117], v[8:9], v[42:43]
	v_fmac_f64_e32 v[24:25], v[12:13], v[32:33]
	v_fmac_f64_e32 v[26:27], v[14:15], v[32:33]
	;; [unrolled: 1-line block ×4, first 2 shown]
	v_add_f64 v[24:25], v[24:25], -v[38:39]
	v_add_f64 v[26:27], v[26:27], -v[116:117]
	global_store_dwordx4 v[36:37], v[24:27], off
	v_mul_f64 v[36:37], v[30:31], v[140:141]
	v_fmac_f64_e32 v[36:37], v[142:143], v[28:29]
	v_mul_f64 v[24:25], v[30:31], -v[142:143]
	v_fmac_f64_e32 v[24:25], v[140:141], v[28:29]
	s_waitcnt vmcnt(7)
	v_mul_f64 v[38:39], v[30:31], v[152:153]
	v_mul_f64 v[116:117], v[36:37], -v[14:15]
	v_mul_f64 v[26:27], v[30:31], -v[154:155]
	v_fmac_f64_e32 v[38:39], v[154:155], v[28:29]
	v_fmac_f64_e32 v[116:117], v[12:13], v[24:25]
	v_mul_f64 v[12:13], v[12:13], v[36:37]
	v_fmac_f64_e32 v[26:27], v[152:153], v[28:29]
	v_fmac_f64_e32 v[12:13], v[14:15], v[24:25]
	v_mul_f64 v[14:15], v[38:39], -v[10:11]
	v_mul_f64 v[118:119], v[8:9], v[38:39]
	v_fmac_f64_e32 v[14:15], v[8:9], v[26:27]
	v_fmac_f64_e32 v[118:119], v[10:11], v[26:27]
	v_add_f64 v[8:9], v[116:117], -v[14:15]
	v_add_f64 v[10:11], v[12:13], -v[118:119]
	global_store_dwordx4 v[100:101], v[8:11], off
	v_mul_f64 v[12:13], v[98:99], -v[2:3]
	v_mul_f64 v[14:15], v[0:1], v[98:99]
	v_mul_f64 v[8:9], v[6:7], v[96:97]
	v_mul_f64 v[10:11], v[96:97], -v[4:5]
	v_fma_f64 v[8:9], -v[4:5], v[84:85], v[8:9]
	v_fma_f64 v[10:11], -v[6:7], v[84:85], v[10:11]
	v_fmac_f64_e32 v[12:13], v[0:1], v[88:89]
	v_fmac_f64_e32 v[14:15], v[2:3], v[88:89]
	v_add_f64 v[8:9], v[8:9], v[12:13]
	v_add_f64 v[10:11], v[10:11], v[14:15]
	global_store_dwordx4 v[54:55], v[8:11], off
	v_mul_f64 v[12:13], v[82:83], -v[2:3]
	v_mul_f64 v[14:15], v[0:1], v[82:83]
	v_mul_f64 v[8:9], v[6:7], v[80:81]
	v_mul_f64 v[10:11], v[80:81], -v[4:5]
	v_fma_f64 v[8:9], -v[4:5], v[70:71], v[8:9]
	v_fma_f64 v[10:11], -v[6:7], v[70:71], v[10:11]
	v_fmac_f64_e32 v[12:13], v[0:1], v[74:75]
	v_fmac_f64_e32 v[14:15], v[2:3], v[74:75]
	v_add_f64 v[8:9], v[8:9], v[12:13]
	v_add_f64 v[10:11], v[10:11], v[14:15]
	;; [unrolled: 11-line block ×8, first 2 shown]
	global_store_dwordx4 v[102:103], v[8:11], off
	s_nop 1
	v_mov_b64_e32 v[10:11], 0
	v_mov_b64_e32 v[8:9], 0
	s_and_saveexec_b64 s[20:21], s[2:3]
	s_cbranch_execz .LBB328_16
; %bb.15:                               ;   in Loop: Header=BB328_5 Depth=1
	v_add_u32_e32 v12, v45, v115
	v_add_u32_e32 v46, s28, v12
	v_lshl_add_u64 v[14:15], v[46:47], 4, s[8:9]
	global_load_dwordx4 v[100:103], v[14:15], off
	v_mul_f64 v[54:55], v[6:7], v[22:23]
	v_mul_f64 v[72:73], v[22:23], -v[4:5]
	v_mul_f64 v[8:9], v[22:23], -v[2:3]
	v_mul_f64 v[10:11], v[0:1], v[22:23]
	v_fma_f64 v[4:5], -v[4:5], v[20:21], v[54:55]
	v_fma_f64 v[6:7], -v[6:7], v[20:21], v[72:73]
	v_fmac_f64_e32 v[8:9], v[0:1], v[20:21]
	v_fmac_f64_e32 v[10:11], v[2:3], v[20:21]
	v_mul_f64 v[54:55], v[6:7], v[96:97]
	v_mul_f64 v[72:73], v[96:97], -v[4:5]
	v_mul_f64 v[96:97], v[98:99], -v[10:11]
	v_mul_f64 v[98:99], v[8:9], v[98:99]
	v_add_u32_e32 v46, s29, v12
	v_fma_f64 v[54:55], -v[4:5], v[84:85], v[54:55]
	v_fma_f64 v[72:73], -v[6:7], v[84:85], v[72:73]
	v_fmac_f64_e32 v[96:97], v[8:9], v[88:89]
	v_fmac_f64_e32 v[98:99], v[10:11], v[88:89]
	v_lshl_add_u64 v[84:85], v[46:47], 4, s[8:9]
	v_add_f64 v[54:55], v[54:55], -v[96:97]
	v_add_f64 v[72:73], v[72:73], -v[98:99]
	v_add_u32_e32 v46, s30, v12
	global_load_dwordx4 v[96:99], v[84:85], off
	v_lshl_add_u64 v[88:89], v[46:47], 4, s[8:9]
	v_mul_f64 v[104:105], v[94:95], -v[10:11]
	v_mul_f64 v[94:95], v[8:9], v[94:95]
	v_fmac_f64_e32 v[104:105], v[8:9], v[90:91]
	v_fmac_f64_e32 v[94:95], v[10:11], v[90:91]
	v_add_u32_e32 v46, s31, v12
	v_ashrrev_i32_e32 v13, 31, v12
	s_waitcnt vmcnt(1)
	v_add_f64 v[100:101], v[54:55], v[100:101]
	v_add_f64 v[102:103], v[72:73], v[102:103]
	global_store_dwordx4 v[14:15], v[100:103], off
	global_load_dwordx4 v[100:103], v[88:89], off
	v_mul_f64 v[14:15], v[6:7], v[80:81]
	v_mul_f64 v[54:55], v[80:81], -v[4:5]
	v_mul_f64 v[72:73], v[82:83], -v[10:11]
	v_mul_f64 v[80:81], v[8:9], v[82:83]
	v_mul_f64 v[82:83], v[6:7], v[92:93]
	v_fma_f64 v[14:15], -v[4:5], v[70:71], v[14:15]
	v_fma_f64 v[54:55], -v[6:7], v[70:71], v[54:55]
	v_fmac_f64_e32 v[72:73], v[8:9], v[74:75]
	v_fmac_f64_e32 v[80:81], v[10:11], v[74:75]
	v_mul_f64 v[92:93], v[92:93], -v[4:5]
	v_fma_f64 v[70:71], -v[4:5], v[86:87], v[82:83]
	v_add_f64 v[14:15], v[14:15], -v[72:73]
	v_add_f64 v[54:55], v[54:55], -v[80:81]
	v_fma_f64 v[74:75], -v[6:7], v[86:87], v[92:93]
	v_add_f64 v[80:81], v[70:71], -v[104:105]
	v_add_f64 v[74:75], v[74:75], -v[94:95]
	v_lshl_add_u64 v[86:87], v[46:47], 4, s[8:9]
	v_add_u32_e32 v46, s33, v12
	s_waitcnt vmcnt(2)
	v_add_f64 v[70:71], v[14:15], v[96:97]
	v_add_f64 v[72:73], v[54:55], v[98:99]
	global_store_dwordx4 v[84:85], v[70:73], off
	global_load_dwordx4 v[70:73], v[86:87], off
	v_lshl_add_u64 v[90:91], v[46:47], 4, s[8:9]
	v_mul_f64 v[14:15], v[6:7], v[58:59]
	v_mul_f64 v[54:55], v[58:59], -v[4:5]
	v_mul_f64 v[58:59], v[62:63], -v[10:11]
	v_mul_f64 v[62:63], v[8:9], v[62:63]
	v_mul_f64 v[84:85], v[78:79], -v[10:11]
	v_mul_f64 v[78:79], v[8:9], v[78:79]
	v_fma_f64 v[14:15], -v[4:5], v[48:49], v[14:15]
	v_fma_f64 v[48:49], -v[6:7], v[48:49], v[54:55]
	v_fmac_f64_e32 v[58:59], v[8:9], v[50:51]
	v_fmac_f64_e32 v[62:63], v[10:11], v[50:51]
	;; [unrolled: 1-line block ×4, first 2 shown]
	v_add_f64 v[14:15], v[14:15], -v[58:59]
	v_add_f64 v[58:59], v[48:49], -v[62:63]
	v_add_u32_e32 v46, s34, v12
	s_waitcnt vmcnt(2)
	v_add_f64 v[80:81], v[80:81], v[100:101]
	v_add_f64 v[82:83], v[74:75], v[102:103]
	global_store_dwordx4 v[88:89], v[80:83], off
	global_load_dwordx4 v[80:83], v[90:91], off
	v_mul_f64 v[74:75], v[6:7], v[76:77]
	v_mul_f64 v[76:77], v[76:77], -v[4:5]
	v_fma_f64 v[50:51], -v[4:5], v[66:67], v[74:75]
	v_fma_f64 v[54:55], -v[6:7], v[66:67], v[76:77]
	v_add_f64 v[62:63], v[50:51], -v[84:85]
	v_add_f64 v[54:55], v[54:55], -v[78:79]
	v_lshl_add_u64 v[66:67], v[46:47], 4, s[8:9]
	v_add_u32_e32 v46, s35, v12
	s_waitcnt vmcnt(2)
	v_add_f64 v[48:49], v[14:15], v[70:71]
	v_add_f64 v[50:51], v[58:59], v[72:73]
	global_store_dwordx4 v[86:87], v[48:51], off
	v_mul_f64 v[14:15], v[6:7], v[60:61]
	v_mul_f64 v[58:59], v[64:65], -v[10:11]
	v_fma_f64 v[14:15], -v[4:5], v[52:53], v[14:15]
	v_fmac_f64_e32 v[58:59], v[8:9], v[56:57]
	v_add_f64 v[14:15], v[14:15], -v[58:59]
	s_waitcnt vmcnt(1)
	v_add_f64 v[48:49], v[62:63], v[80:81]
	v_add_f64 v[50:51], v[54:55], v[82:83]
	global_store_dwordx4 v[90:91], v[48:51], off
	global_load_dwordx4 v[48:51], v[66:67], off
	v_mul_f64 v[54:55], v[60:61], -v[4:5]
	v_mul_f64 v[60:61], v[8:9], v[64:65]
	v_fma_f64 v[52:53], -v[6:7], v[52:53], v[54:55]
	v_fmac_f64_e32 v[60:61], v[10:11], v[56:57]
	v_add_f64 v[52:53], v[52:53], -v[60:61]
	v_lshl_add_u64 v[54:55], v[46:47], 4, s[8:9]
	v_lshl_add_u64 v[56:57], v[12:13], 4, s[14:15]
	v_add_u32_e32 v46, s36, v12
	s_waitcnt vmcnt(0)
	v_add_f64 v[48:49], v[14:15], v[48:49]
	v_add_f64 v[50:51], v[52:53], v[50:51]
	global_store_dwordx4 v[66:67], v[48:51], off
	global_load_dwordx4 v[48:51], v[54:55], off
	v_mul_f64 v[14:15], v[6:7], v[40:41]
	v_mul_f64 v[40:41], v[40:41], -v[4:5]
	v_mul_f64 v[52:53], v[42:43], -v[10:11]
	v_mul_f64 v[42:43], v[8:9], v[42:43]
	v_fma_f64 v[14:15], -v[4:5], v[32:33], v[14:15]
	v_fma_f64 v[40:41], -v[6:7], v[32:33], v[40:41]
	v_fmac_f64_e32 v[52:53], v[8:9], v[34:35]
	v_fmac_f64_e32 v[42:43], v[10:11], v[34:35]
	v_add_f64 v[14:15], v[14:15], -v[52:53]
	v_add_f64 v[40:41], v[40:41], -v[42:43]
	v_lshl_add_u64 v[42:43], v[46:47], 4, s[8:9]
	global_load_dwordx4 v[32:35], v[56:57], off
	s_waitcnt vmcnt(1)
	v_add_f64 v[12:13], v[14:15], v[48:49]
	v_add_f64 v[14:15], v[40:41], v[50:51]
	global_store_dwordx4 v[54:55], v[12:15], off
	global_load_dwordx4 v[12:15], v[42:43], off
	v_mul_f64 v[40:41], v[2:3], -v[22:23]
	v_mul_f64 v[2:3], v[2:3], v[20:21]
	v_fmac_f64_e32 v[40:41], v[20:21], v[0:1]
	v_fmac_f64_e32 v[2:3], v[22:23], v[0:1]
	v_mul_f64 v[0:1], v[6:7], v[36:37]
	v_mul_f64 v[20:21], v[36:37], -v[4:5]
	v_mul_f64 v[22:23], v[38:39], -v[10:11]
	v_mul_f64 v[36:37], v[8:9], v[38:39]
	v_mul_f64 v[38:39], v[18:19], -v[2:3]
	v_mul_f64 v[18:19], v[18:19], v[40:41]
	v_fma_f64 v[0:1], -v[4:5], v[24:25], v[0:1]
	v_fma_f64 v[4:5], -v[6:7], v[24:25], v[20:21]
	v_fmac_f64_e32 v[36:37], v[10:11], v[26:27]
	v_fmac_f64_e32 v[38:39], v[40:41], v[16:17]
	;; [unrolled: 1-line block ×4, first 2 shown]
	v_add_f64 v[2:3], v[4:5], -v[36:37]
	v_mul_f64 v[4:5], v[30:31], -v[18:19]
	v_mul_f64 v[6:7], v[30:31], v[38:39]
	v_add_f64 v[0:1], v[0:1], -v[22:23]
	v_fmac_f64_e32 v[4:5], v[38:39], v[28:29]
	v_fmac_f64_e32 v[6:7], v[18:19], v[28:29]
	s_waitcnt vmcnt(2)
	v_add_f64 v[8:9], v[32:33], -v[4:5]
	v_add_f64 v[10:11], v[34:35], -v[6:7]
	s_waitcnt vmcnt(0)
	v_add_f64 v[0:1], v[0:1], v[12:13]
	v_add_f64 v[2:3], v[2:3], v[14:15]
	global_store_dwordx4 v[42:43], v[0:3], off
.LBB328_16:                             ;   in Loop: Header=BB328_5 Depth=1
	s_or_b64 exec, exec, s[20:21]
	s_nop 0
	v_mov_b64_e32 v[2:3], v[10:11]
	v_mov_b64_e32 v[0:1], v[8:9]
                                        ; implicit-def: $vgpr4_vgpr5
                                        ; implicit-def: $vgpr12_vgpr13
                                        ; implicit-def: $vgpr8_vgpr9
                                        ; implicit-def: $vgpr50_vgpr51
                                        ; implicit-def: $vgpr48_vgpr49
                                        ; implicit-def: $vgpr42
                                        ; implicit-def: $vgpr40
                                        ; implicit-def: $vgpr38
                                        ; implicit-def: $vgpr36
                                        ; implicit-def: $vgpr32
                                        ; implicit-def: $vgpr30
                                        ; implicit-def: $vgpr28
.LBB328_17:                             ;   in Loop: Header=BB328_5 Depth=1
	s_or_saveexec_b64 s[2:3], s[4:5]
	v_mov_b32_e32 v10, s27
	s_xor_b64 exec, exec, s[2:3]
	s_cbranch_execz .LBB328_4
; %bb.18:                               ;   in Loop: Header=BB328_5 Depth=1
	v_mov_b32_e32 v41, v47
	v_mov_b32_e32 v37, v47
	;; [unrolled: 1-line block ×4, first 2 shown]
	v_lshl_add_u64 v[82:83], v[46:47], 4, s[8:9]
	v_mov_b32_e32 v43, v47
	v_lshl_add_u64 v[86:87], v[40:41], 4, s[8:9]
	v_mov_b32_e32 v39, v47
	;; [unrolled: 2-line block ×3, first 2 shown]
	v_lshl_add_u64 v[94:95], v[30:31], 4, s[8:9]
	v_lshl_add_u64 v[96:97], v[28:29], 4, s[8:9]
	;; [unrolled: 1-line block ×3, first 2 shown]
	global_load_dwordx4 v[16:19], v[82:83], off
	global_load_dwordx4 v[54:57], v[84:85], off
	v_lshl_add_u64 v[88:89], v[38:39], 4, s[8:9]
	global_load_dwordx4 v[58:61], v[86:87], off
	global_load_dwordx4 v[62:65], v[88:89], off
	v_lshl_add_u64 v[92:93], v[32:33], 4, s[8:9]
	global_load_dwordx4 v[66:69], v[90:91], off
	global_load_dwordx4 v[70:73], v[92:93], off
	;; [unrolled: 1-line block ×4, first 2 shown]
	v_mul_f64 v[10:11], v[2:3], v[2:3]
	v_fmac_f64_e32 v[10:11], v[0:1], v[0:1]
	v_div_scale_f64 v[22:23], s[4:5], v[10:11], v[10:11], 1.0
	v_rcp_f64_e32 v[24:25], v[22:23]
	v_fma_f64 v[20:21], 0, v[2:3], v[0:1]
	v_fma_f64 v[0:1], v[0:1], 0, -v[2:3]
	v_div_scale_f64 v[2:3], vcc, 1.0, v[10:11], 1.0
	v_fma_f64 v[26:27], -v[22:23], v[24:25], 1.0
	v_fmac_f64_e32 v[24:25], v[24:25], v[26:27]
	v_fma_f64 v[26:27], -v[22:23], v[24:25], 1.0
	v_fmac_f64_e32 v[24:25], v[24:25], v[26:27]
	v_mul_f64 v[26:27], v[2:3], v[24:25]
	v_fma_f64 v[2:3], -v[22:23], v[26:27], v[2:3]
	v_div_fmas_f64 v[2:3], v[2:3], v[24:25], v[26:27]
	v_div_fixup_f64 v[2:3], v[2:3], v[10:11], 1.0
	v_mul_f64 v[52:53], v[0:1], v[2:3]
	v_mul_f64 v[10:11], v[20:21], v[2:3]
	s_waitcnt vmcnt(7)
	v_mul_f64 v[40:41], v[52:53], -v[18:19]
	v_mul_f64 v[42:43], v[52:53], v[16:17]
	v_fmac_f64_e32 v[40:41], v[16:17], v[10:11]
	v_fmac_f64_e32 v[42:43], v[18:19], v[10:11]
	s_waitcnt vmcnt(6)
	v_mul_f64 v[36:37], v[52:53], -v[56:57]
	v_mul_f64 v[38:39], v[52:53], v[54:55]
	s_waitcnt vmcnt(5)
	v_mul_f64 v[32:33], v[52:53], -v[60:61]
	v_mul_f64 v[34:35], v[52:53], v[58:59]
	;; [unrolled: 3-line block ×7, first 2 shown]
	v_fmac_f64_e32 v[36:37], v[54:55], v[10:11]
	v_fmac_f64_e32 v[38:39], v[56:57], v[10:11]
	v_fmac_f64_e32 v[32:33], v[58:59], v[10:11]
	v_fmac_f64_e32 v[34:35], v[60:61], v[10:11]
	v_fmac_f64_e32 v[28:29], v[62:63], v[10:11]
	v_fmac_f64_e32 v[30:31], v[64:65], v[10:11]
	v_fmac_f64_e32 v[24:25], v[66:67], v[10:11]
	v_fmac_f64_e32 v[26:27], v[68:69], v[10:11]
	v_fmac_f64_e32 v[20:21], v[70:71], v[10:11]
	v_fmac_f64_e32 v[22:23], v[72:73], v[10:11]
	v_fmac_f64_e32 v[16:17], v[74:75], v[10:11]
	v_fmac_f64_e32 v[18:19], v[76:77], v[10:11]
	v_fmac_f64_e32 v[0:1], v[78:79], v[10:11]
	v_fmac_f64_e32 v[2:3], v[80:81], v[10:11]
	global_store_dwordx4 v[82:83], v[40:43], off
	global_store_dwordx4 v[84:85], v[36:39], off
	;; [unrolled: 1-line block ×8, first 2 shown]
	s_and_saveexec_b64 s[4:5], s[0:1]
	s_cbranch_execz .LBB328_3
; %bb.19:                               ;   in Loop: Header=BB328_5 Depth=1
	v_add_u32_e32 v70, v114, v115
	v_add_u32_e32 v46, s28, v70
	v_lshl_add_u64 v[62:63], v[46:47], 4, s[8:9]
	global_load_dwordx4 v[54:57], v[62:63], off
	v_add_u32_e32 v46, s29, v70
	v_lshl_add_u64 v[64:65], v[46:47], 4, s[8:9]
	global_load_dwordx4 v[58:61], v[64:65], off
	v_add_u32_e32 v46, s30, v70
	v_lshl_add_u64 v[66:67], v[46:47], 4, s[8:9]
	v_add_u32_e32 v46, s31, v70
	s_waitcnt vmcnt(1)
	v_fma_f64 v[54:55], -v[4:5], v[40:41], v[54:55]
	v_fma_f64 v[40:41], -v[6:7], v[40:41], v[56:57]
	v_fmac_f64_e32 v[54:55], v[6:7], v[42:43]
	v_fma_f64 v[56:57], -v[4:5], v[42:43], v[40:41]
	global_store_dwordx4 v[62:63], v[54:57], off
	global_load_dwordx4 v[40:43], v[66:67], off
	v_lshl_add_u64 v[62:63], v[46:47], 4, s[8:9]
	s_waitcnt vmcnt(2)
	v_fma_f64 v[54:55], -v[4:5], v[36:37], v[58:59]
	v_fma_f64 v[36:37], -v[6:7], v[36:37], v[60:61]
	v_fmac_f64_e32 v[54:55], v[6:7], v[38:39]
	v_fma_f64 v[56:57], -v[4:5], v[38:39], v[36:37]
	global_store_dwordx4 v[64:65], v[54:57], off
	global_load_dwordx4 v[36:39], v[62:63], off
	v_add_u32_e32 v46, s33, v70
	v_lshl_add_u64 v[68:69], v[46:47], 4, s[8:9]
	v_add_u32_e32 v46, s34, v70
	s_waitcnt vmcnt(2)
	v_fma_f64 v[40:41], -v[4:5], v[32:33], v[40:41]
	v_fma_f64 v[32:33], -v[6:7], v[32:33], v[42:43]
	v_fmac_f64_e32 v[40:41], v[6:7], v[34:35]
	v_fma_f64 v[42:43], -v[4:5], v[34:35], v[32:33]
	global_store_dwordx4 v[66:67], v[40:43], off
	global_load_dwordx4 v[32:35], v[68:69], off
	s_waitcnt vmcnt(2)
	v_fma_f64 v[36:37], -v[4:5], v[28:29], v[36:37]
	v_fma_f64 v[28:29], -v[6:7], v[28:29], v[38:39]
	;; [unrolled: 1-line block ×3, first 2 shown]
	v_fmac_f64_e32 v[36:37], v[6:7], v[30:31]
	v_lshl_add_u64 v[40:41], v[46:47], 4, s[8:9]
	global_store_dwordx4 v[62:63], v[36:39], off
	v_add_u32_e32 v46, s35, v70
	s_waitcnt vmcnt(1)
	v_fma_f64 v[28:29], -v[4:5], v[24:25], v[32:33]
	v_fma_f64 v[24:25], -v[6:7], v[24:25], v[34:35]
	v_fmac_f64_e32 v[28:29], v[6:7], v[26:27]
	v_fma_f64 v[30:31], -v[4:5], v[26:27], v[24:25]
	global_store_dwordx4 v[68:69], v[28:31], off
	global_load_dwordx4 v[24:27], v[40:41], off
	s_waitcnt vmcnt(0)
	v_fma_f64 v[24:25], -v[4:5], v[20:21], v[24:25]
	v_fma_f64 v[20:21], -v[6:7], v[20:21], v[26:27]
	v_fmac_f64_e32 v[24:25], v[6:7], v[22:23]
	v_fma_f64 v[26:27], -v[4:5], v[22:23], v[20:21]
	v_lshl_add_u64 v[28:29], v[46:47], 4, s[8:9]
	global_store_dwordx4 v[40:41], v[24:27], off
	global_load_dwordx4 v[20:23], v[28:29], off
	v_add_u32_e32 v46, s36, v70
	v_lshl_add_u64 v[24:25], v[46:47], 4, s[8:9]
	s_waitcnt vmcnt(0)
	v_fma_f64 v[20:21], -v[4:5], v[16:17], v[20:21]
	v_fma_f64 v[16:17], -v[6:7], v[16:17], v[22:23]
	v_fmac_f64_e32 v[20:21], v[6:7], v[18:19]
	v_fma_f64 v[22:23], -v[4:5], v[18:19], v[16:17]
	global_store_dwordx4 v[28:29], v[20:23], off
	global_load_dwordx4 v[16:19], v[24:25], off
	s_waitcnt vmcnt(0)
	v_fma_f64 v[16:17], -v[4:5], v[0:1], v[16:17]
	v_fma_f64 v[0:1], -v[6:7], v[0:1], v[18:19]
	v_fmac_f64_e32 v[16:17], v[6:7], v[2:3]
	v_fma_f64 v[18:19], -v[4:5], v[2:3], v[0:1]
	global_store_dwordx4 v[24:25], v[16:19], off
	s_branch .LBB328_3
.LBB328_20:
	s_or_b64 exec, exec, s[18:19]
	s_branch .LBB328_22
.LBB328_21:
	v_mov_b32_e32 v115, 0
.LBB328_22:
	v_subrev_u32_e32 v2, s22, v115
	v_add_u32_e32 v0, v2, v44
	v_ashrrev_i32_e32 v1, 31, v0
	s_waitcnt lgkmcnt(0)
	v_lshl_add_u64 v[0:1], v[0:1], 2, s[6:7]
	buffer_wbl2 sc1
	s_waitcnt vmcnt(0)
	buffer_inv sc1
	global_load_dword v0, v[0:1], off
	s_waitcnt vmcnt(0)
	v_mul_lo_u32 v0, v0, s22
	v_sub_u32_e32 v36, v2, v0
	v_cmp_lt_i32_e32 vcc, -1, v36
	s_and_b64 exec, exec, vcc
	s_cbranch_execz .LBB328_29
; %bb.23:
	s_lshl_b32 s4, s24, 3
	s_add_i32 s5, s4, s23
	s_add_i32 s12, s5, s23
	;; [unrolled: 1-line block ×7, first 2 shown]
	s_lshl_b32 s18, s22, 1
	s_mov_b64 s[0:1], 0
	v_mov_b32_e32 v33, 0
	s_branch .LBB328_25
.LBB328_24:                             ;   in Loop: Header=BB328_25 Depth=1
	s_or_b64 exec, exec, s[2:3]
	v_sub_u32_e32 v36, v36, v4
	v_cmp_gt_i32_e32 vcc, 0, v36
	s_or_b64 s[0:1], vcc, s[0:1]
	s_andn2_b64 exec, exec, s[0:1]
	s_cbranch_execz .LBB328_29
.LBB328_25:                             ; =>This Inner Loop Header: Depth=1
	v_add_u32_e32 v34, v36, v44
	v_ashrrev_i32_e32 v35, 31, v34
	s_waitcnt vmcnt(0)
	v_lshl_add_u64 v[0:1], v[34:35], 2, s[6:7]
	global_load_dword v4, v[0:1], off
	v_lshl_add_u64 v[0:1], v[34:35], 4, s[10:11]
	global_load_dwordx4 v[0:3], v[0:1], off
	s_waitcnt vmcnt(1)
	v_cmp_ne_u32_e32 vcc, 1, v4
	s_and_saveexec_b64 s[2:3], vcc
	s_xor_b64 s[2:3], exec, s[2:3]
	s_cbranch_execz .LBB328_27
; %bb.26:                               ;   in Loop: Header=BB328_25 Depth=1
	v_add_u32_e32 v4, v114, v36
	v_add_u32_e32 v32, s4, v4
	v_lshl_add_u64 v[42:43], v[32:33], 4, s[8:9]
	v_add_u32_e32 v32, s5, v4
	v_lshl_add_u64 v[50:51], v[32:33], 4, s[8:9]
	;; [unrolled: 2-line block ×9, first 2 shown]
	global_load_dwordx4 v[38:41], v[64:65], off
	global_load_dwordx4 v[46:49], v[42:43], off
	global_load_dwordx4 v[28:31], v[50:51], off
	global_load_dwordx4 v[24:27], v[52:53], off
	global_load_dwordx4 v[20:23], v[54:55], off
	global_load_dwordx4 v[16:19], v[56:57], off
	global_load_dwordx4 v[12:15], v[58:59], off
	global_load_dwordx4 v[8:11], v[60:61], off
	global_load_dwordx4 v[4:7], v[62:63], off
	v_add_u32_e32 v32, s5, v34
	v_lshl_add_u64 v[42:43], v[32:33], 4, s[8:9]
	v_add_u32_e32 v32, s12, v34
	v_lshl_add_u64 v[50:51], v[32:33], 4, s[8:9]
	v_add_u32_e32 v32, s13, v34
	s_waitcnt vmcnt(7)
	v_fma_f64 v[38:39], -v[0:1], v[46:47], v[38:39]
	v_fma_f64 v[40:41], -v[2:3], v[46:47], v[40:41]
	v_fmac_f64_e32 v[38:39], v[2:3], v[48:49]
	v_fma_f64 v[40:41], -v[0:1], v[48:49], v[40:41]
	global_store_dwordx4 v[64:65], v[38:41], off
	global_load_dwordx4 v[38:41], v[42:43], off
	s_waitcnt vmcnt(0)
	v_fma_f64 v[38:39], -v[0:1], v[28:29], v[38:39]
	v_fma_f64 v[40:41], -v[2:3], v[28:29], v[40:41]
	v_fmac_f64_e32 v[38:39], v[2:3], v[30:31]
	v_fma_f64 v[40:41], -v[0:1], v[30:31], v[40:41]
	global_store_dwordx4 v[42:43], v[38:41], off
	global_load_dwordx4 v[38:41], v[50:51], off
	v_lshl_add_u64 v[42:43], v[32:33], 4, s[8:9]
	v_add_u32_e32 v32, s14, v34
	s_waitcnt vmcnt(0)
	v_fma_f64 v[38:39], -v[0:1], v[24:25], v[38:39]
	v_fma_f64 v[40:41], -v[2:3], v[24:25], v[40:41]
	v_fmac_f64_e32 v[38:39], v[2:3], v[26:27]
	v_fma_f64 v[40:41], -v[0:1], v[26:27], v[40:41]
	global_store_dwordx4 v[50:51], v[38:41], off
	global_load_dwordx4 v[38:41], v[42:43], off
	v_lshl_add_u64 v[50:51], v[32:33], 4, s[8:9]
	v_add_u32_e32 v32, s15, v34
	;; [unrolled: 9-line block ×4, first 2 shown]
	v_lshl_add_u64 v[34:35], v[32:33], 4, s[8:9]
	v_subrev_u32_e32 v32, s22, v36
	s_waitcnt vmcnt(0)
	v_fma_f64 v[38:39], -v[0:1], v[12:13], v[38:39]
	v_fma_f64 v[40:41], -v[2:3], v[12:13], v[40:41]
	v_fmac_f64_e32 v[38:39], v[2:3], v[14:15]
	v_fma_f64 v[40:41], -v[0:1], v[14:15], v[40:41]
	global_store_dwordx4 v[42:43], v[38:41], off
	global_load_dwordx4 v[38:41], v[50:51], off
	v_add_u32_e32 v42, v32, v44
	v_ashrrev_i32_e32 v43, 31, v42
	v_add_u32_e32 v32, s4, v42
	v_lshl_add_u64 v[54:55], v[32:33], 4, s[8:9]
	v_add_u32_e32 v32, s5, v42
	s_waitcnt vmcnt(0)
	v_fma_f64 v[38:39], -v[0:1], v[8:9], v[38:39]
	v_fma_f64 v[40:41], -v[2:3], v[8:9], v[40:41]
	v_fmac_f64_e32 v[38:39], v[2:3], v[10:11]
	v_fma_f64 v[40:41], -v[0:1], v[10:11], v[40:41]
	global_store_dwordx4 v[50:51], v[38:41], off
	global_load_dwordx4 v[38:41], v[34:35], off
	v_lshl_add_u64 v[50:51], v[42:43], 4, s[10:11]
	global_load_dwordx4 v[50:53], v[50:51], off
	s_waitcnt vmcnt(1)
	v_fma_f64 v[38:39], -v[0:1], v[4:5], v[38:39]
	v_fma_f64 v[40:41], -v[2:3], v[4:5], v[40:41]
	v_fmac_f64_e32 v[38:39], v[2:3], v[6:7]
	v_fma_f64 v[40:41], -v[0:1], v[6:7], v[40:41]
	global_store_dwordx4 v[34:35], v[38:41], off
	global_load_dwordx4 v[0:3], v[54:55], off
	v_lshl_add_u64 v[34:35], v[32:33], 4, s[8:9]
	v_add_u32_e32 v32, s12, v42
	v_lshl_add_u64 v[38:39], v[32:33], 4, s[8:9]
	v_add_u32_e32 v32, s13, v42
	s_waitcnt vmcnt(0)
	v_fma_f64 v[0:1], -v[50:51], v[46:47], v[0:1]
	v_fma_f64 v[2:3], -v[52:53], v[46:47], v[2:3]
	v_fmac_f64_e32 v[0:1], v[52:53], v[48:49]
	v_fma_f64 v[2:3], -v[50:51], v[48:49], v[2:3]
	global_store_dwordx4 v[54:55], v[0:3], off
	global_load_dwordx4 v[0:3], v[34:35], off
	s_waitcnt vmcnt(0)
	v_fma_f64 v[0:1], -v[50:51], v[28:29], v[0:1]
	v_fma_f64 v[2:3], -v[52:53], v[28:29], v[2:3]
	v_fmac_f64_e32 v[0:1], v[52:53], v[30:31]
	v_fma_f64 v[2:3], -v[50:51], v[30:31], v[2:3]
	global_store_dwordx4 v[34:35], v[0:3], off
	global_load_dwordx4 v[0:3], v[38:39], off
	v_lshl_add_u64 v[28:29], v[32:33], 4, s[8:9]
	v_add_u32_e32 v32, s14, v42
                                        ; implicit-def: $vgpr34
	s_waitcnt vmcnt(0)
	v_fma_f64 v[0:1], -v[50:51], v[24:25], v[0:1]
	v_fma_f64 v[2:3], -v[52:53], v[24:25], v[2:3]
	v_fmac_f64_e32 v[0:1], v[52:53], v[26:27]
	v_fma_f64 v[2:3], -v[50:51], v[26:27], v[2:3]
	global_store_dwordx4 v[38:39], v[0:3], off
	global_load_dwordx4 v[0:3], v[28:29], off
	v_lshl_add_u64 v[24:25], v[32:33], 4, s[8:9]
	v_add_u32_e32 v32, s15, v42
	s_waitcnt vmcnt(0)
	v_fma_f64 v[0:1], -v[50:51], v[20:21], v[0:1]
	v_fma_f64 v[2:3], -v[52:53], v[20:21], v[2:3]
	v_fmac_f64_e32 v[0:1], v[52:53], v[22:23]
	v_fma_f64 v[2:3], -v[50:51], v[22:23], v[2:3]
	global_store_dwordx4 v[28:29], v[0:3], off
	global_load_dwordx4 v[0:3], v[24:25], off
	v_lshl_add_u64 v[20:21], v[32:33], 4, s[8:9]
	v_add_u32_e32 v32, s16, v42
	;; [unrolled: 9-line block ×3, first 2 shown]
	s_waitcnt vmcnt(0)
	v_fma_f64 v[0:1], -v[50:51], v[12:13], v[0:1]
	v_fma_f64 v[2:3], -v[52:53], v[12:13], v[2:3]
	v_fmac_f64_e32 v[0:1], v[52:53], v[14:15]
	v_fma_f64 v[2:3], -v[50:51], v[14:15], v[2:3]
	global_store_dwordx4 v[20:21], v[0:3], off
	global_load_dwordx4 v[0:3], v[16:17], off
	v_lshl_add_u64 v[12:13], v[32:33], 4, s[8:9]
	s_waitcnt vmcnt(0)
	v_fma_f64 v[0:1], -v[50:51], v[8:9], v[0:1]
	v_fma_f64 v[2:3], -v[52:53], v[8:9], v[2:3]
	v_fmac_f64_e32 v[0:1], v[52:53], v[10:11]
	v_fma_f64 v[2:3], -v[50:51], v[10:11], v[2:3]
	global_store_dwordx4 v[16:17], v[0:3], off
	global_load_dwordx4 v[0:3], v[12:13], off
	s_waitcnt vmcnt(0)
	v_fma_f64 v[0:1], -v[50:51], v[4:5], v[0:1]
	v_fma_f64 v[2:3], -v[52:53], v[4:5], v[2:3]
	v_fmac_f64_e32 v[0:1], v[52:53], v[6:7]
	v_fma_f64 v[2:3], -v[50:51], v[6:7], v[2:3]
	global_store_dwordx4 v[12:13], v[0:3], off
                                        ; implicit-def: $vgpr0_vgpr1
.LBB328_27:                             ;   in Loop: Header=BB328_25 Depth=1
	s_or_saveexec_b64 s[2:3], s[2:3]
	v_mov_b32_e32 v4, s18
	s_xor_b64 exec, exec, s[2:3]
	s_cbranch_execz .LBB328_24
; %bb.28:                               ;   in Loop: Header=BB328_25 Depth=1
	v_add_u32_e32 v18, v114, v36
	v_add_u32_e32 v32, s4, v18
	v_lshl_add_u64 v[12:13], v[32:33], 4, s[8:9]
	v_add_u32_e32 v32, s4, v34
	v_lshl_add_u64 v[14:15], v[32:33], 4, s[8:9]
	global_load_dwordx4 v[4:7], v[12:13], off
	global_load_dwordx4 v[8:11], v[14:15], off
	v_add_u32_e32 v32, s5, v18
	v_lshl_add_u64 v[12:13], v[32:33], 4, s[8:9]
	v_add_u32_e32 v32, s5, v34
	v_lshl_add_u64 v[16:17], v[32:33], 4, s[8:9]
	v_add_u32_e32 v32, s12, v18
	s_waitcnt vmcnt(0)
	v_fma_f64 v[8:9], -v[0:1], v[4:5], v[8:9]
	v_fma_f64 v[4:5], -v[2:3], v[4:5], v[10:11]
	v_fmac_f64_e32 v[8:9], v[2:3], v[6:7]
	v_fma_f64 v[10:11], -v[0:1], v[6:7], v[4:5]
	global_store_dwordx4 v[14:15], v[8:11], off
	global_load_dwordx4 v[4:7], v[12:13], off
	s_nop 0
	global_load_dwordx4 v[8:11], v[16:17], off
	v_lshl_add_u64 v[12:13], v[32:33], 4, s[8:9]
	v_add_u32_e32 v32, s12, v34
	v_lshl_add_u64 v[14:15], v[32:33], 4, s[8:9]
	v_add_u32_e32 v32, s13, v18
	s_waitcnt vmcnt(0)
	v_fma_f64 v[8:9], -v[0:1], v[4:5], v[8:9]
	v_fma_f64 v[4:5], -v[2:3], v[4:5], v[10:11]
	v_fmac_f64_e32 v[8:9], v[2:3], v[6:7]
	v_fma_f64 v[10:11], -v[0:1], v[6:7], v[4:5]
	global_store_dwordx4 v[16:17], v[8:11], off
	global_load_dwordx4 v[4:7], v[12:13], off
	s_nop 0
	global_load_dwordx4 v[8:11], v[14:15], off
	;; [unrolled: 13-line block ×6, first 2 shown]
	v_lshl_add_u64 v[12:13], v[32:33], 4, s[8:9]
	v_add_u32_e32 v32, s17, v34
	v_lshl_add_u64 v[16:17], v[32:33], 4, s[8:9]
	s_waitcnt vmcnt(0)
	v_fma_f64 v[8:9], -v[0:1], v[4:5], v[8:9]
	v_fma_f64 v[4:5], -v[2:3], v[4:5], v[10:11]
	v_fmac_f64_e32 v[8:9], v[2:3], v[6:7]
	v_fma_f64 v[10:11], -v[0:1], v[6:7], v[4:5]
	global_store_dwordx4 v[14:15], v[8:11], off
	global_load_dwordx4 v[4:7], v[12:13], off
	s_nop 0
	global_load_dwordx4 v[8:11], v[16:17], off
	s_waitcnt vmcnt(0)
	v_fma_f64 v[8:9], -v[0:1], v[4:5], v[8:9]
	v_fma_f64 v[4:5], -v[2:3], v[4:5], v[10:11]
	v_fmac_f64_e32 v[8:9], v[2:3], v[6:7]
	v_fma_f64 v[10:11], -v[0:1], v[6:7], v[4:5]
	v_mov_b32_e32 v4, s22
	global_store_dwordx4 v[16:17], v[8:11], off
	s_branch .LBB328_24
.LBB328_29:
	s_endpgm
	.section	.rodata,"a",@progbits
	.p2align	6, 0x0
	.amdhsa_kernel _ZN9rocsparseL19gtsv_LBM_rhs_kernelILj256ELj64ELj8E21rocsparse_complex_numIdEEEviiiPKT2_S5_S5_PS3_S5_PKi
		.amdhsa_group_segment_fixed_size 0
		.amdhsa_private_segment_fixed_size 0
		.amdhsa_kernarg_size 64
		.amdhsa_user_sgpr_count 2
		.amdhsa_user_sgpr_dispatch_ptr 0
		.amdhsa_user_sgpr_queue_ptr 0
		.amdhsa_user_sgpr_kernarg_segment_ptr 1
		.amdhsa_user_sgpr_dispatch_id 0
		.amdhsa_user_sgpr_kernarg_preload_length 0
		.amdhsa_user_sgpr_kernarg_preload_offset 0
		.amdhsa_user_sgpr_private_segment_size 0
		.amdhsa_uses_dynamic_stack 0
		.amdhsa_enable_private_segment 0
		.amdhsa_system_sgpr_workgroup_id_x 1
		.amdhsa_system_sgpr_workgroup_id_y 1
		.amdhsa_system_sgpr_workgroup_id_z 0
		.amdhsa_system_sgpr_workgroup_info 0
		.amdhsa_system_vgpr_workitem_id 0
		.amdhsa_next_free_vgpr 156
		.amdhsa_next_free_sgpr 37
		.amdhsa_accum_offset 156
		.amdhsa_reserve_vcc 1
		.amdhsa_float_round_mode_32 0
		.amdhsa_float_round_mode_16_64 0
		.amdhsa_float_denorm_mode_32 3
		.amdhsa_float_denorm_mode_16_64 3
		.amdhsa_dx10_clamp 1
		.amdhsa_ieee_mode 1
		.amdhsa_fp16_overflow 0
		.amdhsa_tg_split 0
		.amdhsa_exception_fp_ieee_invalid_op 0
		.amdhsa_exception_fp_denorm_src 0
		.amdhsa_exception_fp_ieee_div_zero 0
		.amdhsa_exception_fp_ieee_overflow 0
		.amdhsa_exception_fp_ieee_underflow 0
		.amdhsa_exception_fp_ieee_inexact 0
		.amdhsa_exception_int_div_zero 0
	.end_amdhsa_kernel
	.section	.text._ZN9rocsparseL19gtsv_LBM_rhs_kernelILj256ELj64ELj8E21rocsparse_complex_numIdEEEviiiPKT2_S5_S5_PS3_S5_PKi,"axG",@progbits,_ZN9rocsparseL19gtsv_LBM_rhs_kernelILj256ELj64ELj8E21rocsparse_complex_numIdEEEviiiPKT2_S5_S5_PS3_S5_PKi,comdat
.Lfunc_end328:
	.size	_ZN9rocsparseL19gtsv_LBM_rhs_kernelILj256ELj64ELj8E21rocsparse_complex_numIdEEEviiiPKT2_S5_S5_PS3_S5_PKi, .Lfunc_end328-_ZN9rocsparseL19gtsv_LBM_rhs_kernelILj256ELj64ELj8E21rocsparse_complex_numIdEEEviiiPKT2_S5_S5_PS3_S5_PKi
                                        ; -- End function
	.set _ZN9rocsparseL19gtsv_LBM_rhs_kernelILj256ELj64ELj8E21rocsparse_complex_numIdEEEviiiPKT2_S5_S5_PS3_S5_PKi.num_vgpr, 156
	.set _ZN9rocsparseL19gtsv_LBM_rhs_kernelILj256ELj64ELj8E21rocsparse_complex_numIdEEEviiiPKT2_S5_S5_PS3_S5_PKi.num_agpr, 0
	.set _ZN9rocsparseL19gtsv_LBM_rhs_kernelILj256ELj64ELj8E21rocsparse_complex_numIdEEEviiiPKT2_S5_S5_PS3_S5_PKi.numbered_sgpr, 37
	.set _ZN9rocsparseL19gtsv_LBM_rhs_kernelILj256ELj64ELj8E21rocsparse_complex_numIdEEEviiiPKT2_S5_S5_PS3_S5_PKi.num_named_barrier, 0
	.set _ZN9rocsparseL19gtsv_LBM_rhs_kernelILj256ELj64ELj8E21rocsparse_complex_numIdEEEviiiPKT2_S5_S5_PS3_S5_PKi.private_seg_size, 0
	.set _ZN9rocsparseL19gtsv_LBM_rhs_kernelILj256ELj64ELj8E21rocsparse_complex_numIdEEEviiiPKT2_S5_S5_PS3_S5_PKi.uses_vcc, 1
	.set _ZN9rocsparseL19gtsv_LBM_rhs_kernelILj256ELj64ELj8E21rocsparse_complex_numIdEEEviiiPKT2_S5_S5_PS3_S5_PKi.uses_flat_scratch, 0
	.set _ZN9rocsparseL19gtsv_LBM_rhs_kernelILj256ELj64ELj8E21rocsparse_complex_numIdEEEviiiPKT2_S5_S5_PS3_S5_PKi.has_dyn_sized_stack, 0
	.set _ZN9rocsparseL19gtsv_LBM_rhs_kernelILj256ELj64ELj8E21rocsparse_complex_numIdEEEviiiPKT2_S5_S5_PS3_S5_PKi.has_recursion, 0
	.set _ZN9rocsparseL19gtsv_LBM_rhs_kernelILj256ELj64ELj8E21rocsparse_complex_numIdEEEviiiPKT2_S5_S5_PS3_S5_PKi.has_indirect_call, 0
	.section	.AMDGPU.csdata,"",@progbits
; Kernel info:
; codeLenInByte = 7028
; TotalNumSgprs: 43
; NumVgprs: 156
; NumAgprs: 0
; TotalNumVgprs: 156
; ScratchSize: 0
; MemoryBound: 1
; FloatMode: 240
; IeeeMode: 1
; LDSByteSize: 0 bytes/workgroup (compile time only)
; SGPRBlocks: 5
; VGPRBlocks: 19
; NumSGPRsForWavesPerEU: 43
; NumVGPRsForWavesPerEU: 156
; AccumOffset: 156
; Occupancy: 3
; WaveLimiterHint : 0
; COMPUTE_PGM_RSRC2:SCRATCH_EN: 0
; COMPUTE_PGM_RSRC2:USER_SGPR: 2
; COMPUTE_PGM_RSRC2:TRAP_HANDLER: 0
; COMPUTE_PGM_RSRC2:TGID_X_EN: 1
; COMPUTE_PGM_RSRC2:TGID_Y_EN: 1
; COMPUTE_PGM_RSRC2:TGID_Z_EN: 0
; COMPUTE_PGM_RSRC2:TIDIG_COMP_CNT: 0
; COMPUTE_PGM_RSRC3_GFX90A:ACCUM_OFFSET: 38
; COMPUTE_PGM_RSRC3_GFX90A:TG_SPLIT: 0
	.section	.text._ZN9rocsparseL19gtsv_LBM_rhs_kernelILj256ELj64ELj4E21rocsparse_complex_numIdEEEviiiPKT2_S5_S5_PS3_S5_PKi,"axG",@progbits,_ZN9rocsparseL19gtsv_LBM_rhs_kernelILj256ELj64ELj4E21rocsparse_complex_numIdEEEviiiPKT2_S5_S5_PS3_S5_PKi,comdat
	.globl	_ZN9rocsparseL19gtsv_LBM_rhs_kernelILj256ELj64ELj4E21rocsparse_complex_numIdEEEviiiPKT2_S5_S5_PS3_S5_PKi ; -- Begin function _ZN9rocsparseL19gtsv_LBM_rhs_kernelILj256ELj64ELj4E21rocsparse_complex_numIdEEEviiiPKT2_S5_S5_PS3_S5_PKi
	.p2align	8
	.type	_ZN9rocsparseL19gtsv_LBM_rhs_kernelILj256ELj64ELj4E21rocsparse_complex_numIdEEEviiiPKT2_S5_S5_PS3_S5_PKi,@function
_ZN9rocsparseL19gtsv_LBM_rhs_kernelILj256ELj64ELj4E21rocsparse_complex_numIdEEEviiiPKT2_S5_S5_PS3_S5_PKi: ; @_ZN9rocsparseL19gtsv_LBM_rhs_kernelILj256ELj64ELj4E21rocsparse_complex_numIdEEEviiiPKT2_S5_S5_PS3_S5_PKi
; %bb.0:
	s_load_dword s23, s[0:1], 0x0
	v_lshl_or_b32 v28, s2, 8, v0
	s_waitcnt lgkmcnt(0)
	s_lshr_b32 s22, s23, 6
	v_cmp_gt_i32_e32 vcc, s22, v28
	s_and_saveexec_b64 s[4:5], vcc
	s_cbranch_execz .LBB329_29
; %bb.1:
	s_load_dwordx4 s[8:11], s[0:1], 0x28
	s_load_dwordx2 s[6:7], s[0:1], 0x38
	s_cmp_lt_i32 s23, 1
	v_add_u32_e32 v64, s22, v28
	s_mul_i32 s24, s3, s23
	s_cbranch_scc1 .LBB329_21
; %bb.2:
	s_load_dwordx4 s[12:15], s[0:1], 0x10
	s_load_dwordx2 s[16:17], s[0:1], 0x20
	v_ashrrev_i32_e32 v29, 31, v28
	s_lshl_b32 s28, s24, 2
	s_add_i32 s29, s28, s23
	s_waitcnt lgkmcnt(0)
	v_lshl_add_u64 v[0:1], v[28:29], 4, s[14:15]
	global_load_dwordx4 v[0:3], v[0:1], off
	s_add_i32 s30, s29, s23
	s_mul_i32 s25, s22, 63
	s_mul_i32 s26, s22, 62
	s_lshl_b32 s27, s22, 1
	v_add_u32_e32 v65, s22, v64
	s_add_i32 s31, s30, s23
	v_mov_b32_e32 v31, 0
	s_mov_b64 s[18:19], 0
	v_mov_b32_e32 v29, 0
	s_branch .LBB329_5
.LBB329_3:                              ;   in Loop: Header=BB329_5 Depth=1
	s_or_b64 exec, exec, s[4:5]
	v_fmac_f64_e32 v[34:35], v[4:5], v[8:9]
	v_fmac_f64_e32 v[32:33], v[6:7], v[8:9]
	v_mul_f64 v[0:1], v[36:37], -v[32:33]
	v_mul_f64 v[2:3], v[36:37], v[34:35]
	v_fmac_f64_e32 v[0:1], v[34:35], v[10:11]
	v_fmac_f64_e32 v[2:3], v[32:33], v[10:11]
	v_add_f64 v[0:1], v[12:13], -v[0:1]
	v_add_f64 v[2:3], v[14:15], -v[2:3]
	v_mov_b32_e32 v10, s22
.LBB329_4:                              ;   in Loop: Header=BB329_5 Depth=1
	s_or_b64 exec, exec, s[2:3]
	v_add_u32_e32 v29, v10, v29
	v_cmp_le_i32_e32 vcc, s23, v29
	s_or_b64 s[18:19], vcc, s[18:19]
	s_andn2_b64 exec, exec, s[18:19]
	s_cbranch_execz .LBB329_20
.LBB329_5:                              ; =>This Inner Loop Header: Depth=1
	v_add_u32_e32 v24, v29, v28
	v_ashrrev_i32_e32 v25, 31, v24
	v_lshl_add_u64 v[4:5], v[24:25], 4, s[16:17]
	global_load_dwordx4 v[8:11], v[4:5], off
	v_cmp_gt_u32_e64 s[0:1], s25, v29
	v_mov_b64_e32 v[12:13], 0
	v_mov_b64_e32 v[4:5], 0
	;; [unrolled: 1-line block ×3, first 2 shown]
	s_and_saveexec_b64 s[2:3], s[0:1]
	s_cbranch_execz .LBB329_7
; %bb.6:                                ;   in Loop: Header=BB329_5 Depth=1
	v_add_u32_e32 v4, v64, v29
	v_ashrrev_i32_e32 v5, 31, v4
	v_lshl_add_u64 v[4:5], v[4:5], 4, s[12:13]
	global_load_dwordx4 v[4:7], v[4:5], off
.LBB329_7:                              ;   in Loop: Header=BB329_5 Depth=1
	s_or_b64 exec, exec, s[2:3]
	v_mov_b64_e32 v[14:15], 0
	s_and_saveexec_b64 s[2:3], s[0:1]
	s_cbranch_execz .LBB329_9
; %bb.8:                                ;   in Loop: Header=BB329_5 Depth=1
	v_add_u32_e32 v12, v64, v29
	v_ashrrev_i32_e32 v13, 31, v12
	v_lshl_add_u64 v[12:13], v[12:13], 4, s[14:15]
	global_load_dwordx4 v[12:15], v[12:13], off
.LBB329_9:                              ;   in Loop: Header=BB329_5 Depth=1
	s_or_b64 exec, exec, s[2:3]
	v_mov_b64_e32 v[20:21], 0
	v_mov_b64_e32 v[16:17], 0
	;; [unrolled: 1-line block ×3, first 2 shown]
	s_and_saveexec_b64 s[2:3], s[0:1]
	s_cbranch_execz .LBB329_11
; %bb.10:                               ;   in Loop: Header=BB329_5 Depth=1
	v_add_u32_e32 v16, v64, v29
	v_ashrrev_i32_e32 v17, 31, v16
	v_lshl_add_u64 v[16:17], v[16:17], 4, s[16:17]
	global_load_dwordx4 v[16:19], v[16:17], off
.LBB329_11:                             ;   in Loop: Header=BB329_5 Depth=1
	s_or_b64 exec, exec, s[2:3]
	v_cmp_gt_u32_e64 s[2:3], s26, v29
	v_mov_b64_e32 v[22:23], 0
	s_and_saveexec_b64 s[4:5], s[2:3]
	s_cbranch_execz .LBB329_13
; %bb.12:                               ;   in Loop: Header=BB329_5 Depth=1
	v_add_u32_e32 v20, v65, v29
	v_ashrrev_i32_e32 v21, 31, v20
	v_lshl_add_u64 v[20:21], v[20:21], 4, s[12:13]
	global_load_dwordx4 v[20:23], v[20:21], off
.LBB329_13:                             ;   in Loop: Header=BB329_5 Depth=1
	s_or_b64 exec, exec, s[4:5]
	v_lshl_add_u64 v[26:27], v[24:25], 2, s[6:7]
	global_load_dword v25, v[26:27], off
	v_cmp_ne_u32_e32 vcc, s25, v29
	s_waitcnt vmcnt(1)
	v_mul_f64 v[34:35], v[10:11], -v[6:7]
	v_mul_f64 v[32:33], v[10:11], v[4:5]
	v_add_u32_e32 v30, s28, v24
	v_add_u32_e32 v42, s29, v24
	;; [unrolled: 1-line block ×4, first 2 shown]
	s_waitcnt vmcnt(0)
	v_cmp_ne_u32_e64 s[4:5], 1, v25
	s_and_b64 s[4:5], vcc, s[4:5]
	s_and_saveexec_b64 s[20:21], s[4:5]
	s_xor_b64 s[4:5], exec, s[20:21]
	s_cbranch_execz .LBB329_17
; %bb.14:                               ;   in Loop: Header=BB329_5 Depth=1
	v_add_u32_e32 v44, v64, v29
	v_lshl_add_u64 v[40:41], v[30:31], 4, s[8:9]
	v_add_u32_e32 v30, s28, v44
	v_mov_b32_e32 v43, v31
	v_lshl_add_u64 v[48:49], v[42:43], 4, s[8:9]
	v_lshl_add_u64 v[82:83], v[30:31], 4, s[8:9]
	v_add_u32_e32 v30, s29, v44
	global_load_dwordx4 v[24:27], v[40:41], off
	global_load_dwordx4 v[52:55], v[48:49], off
	;; [unrolled: 1-line block ×3, first 2 shown]
	v_lshl_add_u64 v[84:85], v[30:31], 4, s[8:9]
	global_load_dwordx4 v[60:63], v[84:85], off
	v_mov_b32_e32 v39, v31
	v_add_u32_e32 v30, s30, v44
	v_lshl_add_u64 v[86:87], v[38:39], 4, s[8:9]
	v_lshl_add_u64 v[88:89], v[30:31], 4, s[8:9]
	global_load_dwordx4 v[66:69], v[86:87], off
	global_load_dwordx4 v[70:73], v[88:89], off
	v_mov_b32_e32 v37, v31
	v_lshl_add_u64 v[90:91], v[36:37], 4, s[8:9]
	global_load_dwordx4 v[74:77], v[90:91], off
	v_add_u32_e32 v30, s31, v44
	v_lshl_add_u64 v[92:93], v[30:31], 4, s[8:9]
	global_load_dwordx4 v[78:81], v[92:93], off
	v_mul_f64 v[42:43], v[0:1], v[14:15]
	v_mul_f64 v[38:39], v[14:15], -v[2:3]
	v_fmac_f64_e32 v[32:33], v[6:7], v[8:9]
	v_fmac_f64_e32 v[42:43], v[2:3], v[12:13]
	;; [unrolled: 1-line block ×4, first 2 shown]
	v_add_f64 v[32:33], v[42:43], -v[32:33]
	v_add_f64 v[34:35], v[38:39], -v[34:35]
	v_mul_f64 v[36:37], v[32:33], v[32:33]
	v_fmac_f64_e32 v[36:37], v[34:35], v[34:35]
	v_div_scale_f64 v[42:43], s[20:21], v[36:37], v[36:37], 1.0
	v_rcp_f64_e32 v[44:45], v[42:43]
	v_fma_f64 v[38:39], 0, v[32:33], v[34:35]
	v_fma_f64 v[34:35], v[34:35], 0, -v[32:33]
	v_div_scale_f64 v[32:33], vcc, 1.0, v[36:37], 1.0
	v_fma_f64 v[46:47], -v[42:43], v[44:45], 1.0
	v_fmac_f64_e32 v[44:45], v[44:45], v[46:47]
	v_fma_f64 v[46:47], -v[42:43], v[44:45], 1.0
	v_fmac_f64_e32 v[44:45], v[44:45], v[46:47]
	v_mul_f64 v[46:47], v[32:33], v[44:45]
	v_fma_f64 v[32:33], -v[42:43], v[46:47], v[32:33]
	v_div_fmas_f64 v[32:33], v[32:33], v[44:45], v[46:47]
	v_div_fixup_f64 v[36:37], v[32:33], v[36:37], 1.0
	v_mul_f64 v[34:35], v[34:35], v[36:37]
	v_mul_f64 v[32:33], v[38:39], v[36:37]
	s_waitcnt vmcnt(7)
	v_mul_f64 v[36:37], v[34:35], -v[26:27]
	v_mul_f64 v[42:43], v[34:35], v[24:25]
	s_waitcnt vmcnt(6)
	v_mul_f64 v[46:47], v[34:35], v[52:53]
	s_waitcnt vmcnt(5)
	v_mul_f64 v[50:51], v[34:35], v[56:57]
	v_fmac_f64_e32 v[36:37], v[24:25], v[32:33]
	v_fmac_f64_e32 v[42:43], v[26:27], v[32:33]
	v_mul_f64 v[24:25], v[34:35], -v[54:55]
	v_mul_f64 v[38:39], v[34:35], -v[58:59]
	v_fmac_f64_e32 v[46:47], v[54:55], v[32:33]
	v_fmac_f64_e32 v[50:51], v[58:59], v[32:33]
	s_waitcnt vmcnt(4)
	v_mul_f64 v[54:55], v[34:35], v[60:61]
	v_mul_f64 v[26:27], v[42:43], -v[14:15]
	v_mul_f64 v[94:95], v[12:13], v[42:43]
	v_fmac_f64_e32 v[38:39], v[56:57], v[32:33]
	v_mul_f64 v[44:45], v[34:35], -v[62:63]
	v_mul_f64 v[56:57], v[50:51], -v[10:11]
	v_mul_f64 v[58:59], v[8:9], v[50:51]
	v_fmac_f64_e32 v[54:55], v[62:63], v[32:33]
	v_fmac_f64_e32 v[24:25], v[52:53], v[32:33]
	v_fmac_f64_e32 v[26:27], v[12:13], v[36:37]
	v_fmac_f64_e32 v[94:95], v[14:15], v[36:37]
	v_mul_f64 v[52:53], v[46:47], -v[14:15]
	v_mul_f64 v[96:97], v[12:13], v[46:47]
	v_fmac_f64_e32 v[44:45], v[60:61], v[32:33]
	v_fmac_f64_e32 v[56:57], v[8:9], v[38:39]
	;; [unrolled: 1-line block ×3, first 2 shown]
	v_mul_f64 v[60:61], v[54:55], -v[10:11]
	v_mul_f64 v[62:63], v[8:9], v[54:55]
	v_fmac_f64_e32 v[52:53], v[12:13], v[24:25]
	v_fmac_f64_e32 v[96:97], v[14:15], v[24:25]
	v_add_f64 v[56:57], v[26:27], -v[56:57]
	v_add_f64 v[58:59], v[94:95], -v[58:59]
	v_fmac_f64_e32 v[60:61], v[8:9], v[44:45]
	v_fmac_f64_e32 v[62:63], v[10:11], v[44:45]
	global_store_dwordx4 v[40:41], v[56:59], off
	s_waitcnt vmcnt(4)
	v_mul_f64 v[26:27], v[34:35], -v[68:69]
	s_waitcnt vmcnt(3)
	v_mul_f64 v[40:41], v[34:35], -v[72:73]
	v_add_f64 v[56:57], v[52:53], -v[60:61]
	v_add_f64 v[58:59], v[96:97], -v[62:63]
	global_store_dwordx4 v[48:49], v[56:59], off
	v_mul_f64 v[48:49], v[34:35], v[66:67]
	v_mul_f64 v[52:53], v[34:35], v[70:71]
	v_fmac_f64_e32 v[48:49], v[68:69], v[32:33]
	v_fmac_f64_e32 v[52:53], v[72:73], v[32:33]
	;; [unrolled: 1-line block ×4, first 2 shown]
	v_mul_f64 v[56:57], v[48:49], -v[14:15]
	v_mul_f64 v[58:59], v[12:13], v[48:49]
	v_mul_f64 v[60:61], v[52:53], -v[10:11]
	v_mul_f64 v[62:63], v[8:9], v[52:53]
	v_fmac_f64_e32 v[56:57], v[12:13], v[26:27]
	v_fmac_f64_e32 v[58:59], v[14:15], v[26:27]
	;; [unrolled: 1-line block ×4, first 2 shown]
	v_add_f64 v[56:57], v[56:57], -v[60:61]
	v_add_f64 v[58:59], v[58:59], -v[62:63]
	s_waitcnt vmcnt(3)
	v_mul_f64 v[60:61], v[34:35], v[74:75]
	global_store_dwordx4 v[86:87], v[56:59], off
	v_fmac_f64_e32 v[60:61], v[76:77], v[32:33]
	s_waitcnt vmcnt(3)
	v_mul_f64 v[62:63], v[34:35], v[78:79]
	v_mul_f64 v[56:57], v[34:35], -v[76:77]
	v_fmac_f64_e32 v[56:57], v[74:75], v[32:33]
	v_mul_f64 v[66:67], v[60:61], -v[14:15]
	v_mul_f64 v[58:59], v[34:35], -v[80:81]
	v_fmac_f64_e32 v[62:63], v[80:81], v[32:33]
	v_fmac_f64_e32 v[66:67], v[12:13], v[56:57]
	v_mul_f64 v[12:13], v[12:13], v[60:61]
	v_fmac_f64_e32 v[58:59], v[78:79], v[32:33]
	v_fmac_f64_e32 v[12:13], v[14:15], v[56:57]
	v_mul_f64 v[14:15], v[62:63], -v[10:11]
	v_mul_f64 v[68:69], v[8:9], v[62:63]
	v_fmac_f64_e32 v[14:15], v[8:9], v[58:59]
	v_fmac_f64_e32 v[68:69], v[10:11], v[58:59]
	v_add_f64 v[8:9], v[66:67], -v[14:15]
	v_add_f64 v[10:11], v[12:13], -v[68:69]
	global_store_dwordx4 v[90:91], v[8:11], off
	v_mul_f64 v[12:13], v[50:51], -v[2:3]
	v_mul_f64 v[14:15], v[0:1], v[50:51]
	v_mul_f64 v[8:9], v[6:7], v[42:43]
	v_mul_f64 v[10:11], v[42:43], -v[4:5]
	v_fma_f64 v[8:9], -v[4:5], v[36:37], v[8:9]
	v_fma_f64 v[10:11], -v[6:7], v[36:37], v[10:11]
	v_fmac_f64_e32 v[12:13], v[0:1], v[38:39]
	v_fmac_f64_e32 v[14:15], v[2:3], v[38:39]
	v_add_f64 v[8:9], v[8:9], v[12:13]
	v_add_f64 v[10:11], v[10:11], v[14:15]
	global_store_dwordx4 v[82:83], v[8:11], off
	v_mul_f64 v[12:13], v[54:55], -v[2:3]
	v_mul_f64 v[14:15], v[0:1], v[54:55]
	v_mul_f64 v[8:9], v[6:7], v[46:47]
	v_mul_f64 v[10:11], v[46:47], -v[4:5]
	v_fma_f64 v[8:9], -v[4:5], v[24:25], v[8:9]
	v_fma_f64 v[10:11], -v[6:7], v[24:25], v[10:11]
	v_fmac_f64_e32 v[12:13], v[0:1], v[44:45]
	v_fmac_f64_e32 v[14:15], v[2:3], v[44:45]
	v_add_f64 v[8:9], v[8:9], v[12:13]
	v_add_f64 v[10:11], v[10:11], v[14:15]
	global_store_dwordx4 v[84:85], v[8:11], off
	v_mul_f64 v[14:15], v[0:1], v[52:53]
	v_fmac_f64_e32 v[14:15], v[2:3], v[40:41]
	v_mul_f64 v[10:11], v[48:49], -v[4:5]
	v_mul_f64 v[8:9], v[6:7], v[48:49]
	v_fma_f64 v[12:13], -v[6:7], v[26:27], v[10:11]
	v_mul_f64 v[10:11], v[52:53], -v[2:3]
	v_fma_f64 v[8:9], -v[4:5], v[26:27], v[8:9]
	v_fmac_f64_e32 v[10:11], v[0:1], v[40:41]
	v_add_f64 v[10:11], v[8:9], v[10:11]
	v_add_f64 v[12:13], v[12:13], v[14:15]
	global_store_dwordx4 v[88:89], v[10:13], off
	v_mul_f64 v[14:15], v[62:63], -v[2:3]
	v_mul_f64 v[66:67], v[0:1], v[62:63]
	v_mul_f64 v[10:11], v[6:7], v[60:61]
	v_mul_f64 v[12:13], v[60:61], -v[4:5]
	v_fma_f64 v[10:11], -v[4:5], v[56:57], v[10:11]
	v_fma_f64 v[12:13], -v[6:7], v[56:57], v[12:13]
	v_fmac_f64_e32 v[14:15], v[0:1], v[58:59]
	v_fmac_f64_e32 v[66:67], v[2:3], v[58:59]
	v_add_f64 v[10:11], v[10:11], v[14:15]
	v_add_f64 v[12:13], v[12:13], v[66:67]
	v_mov_b64_e32 v[8:9], 0
	global_store_dwordx4 v[92:93], v[10:13], off
	s_nop 1
	v_mov_b64_e32 v[10:11], 0
	s_and_saveexec_b64 s[20:21], s[2:3]
	s_cbranch_execz .LBB329_16
; %bb.15:                               ;   in Loop: Header=BB329_5 Depth=1
	v_add_u32_e32 v66, v65, v29
	v_add_u32_e32 v30, s28, v66
	v_lshl_add_u64 v[68:69], v[30:31], 4, s[8:9]
	v_add_u32_e32 v30, s29, v66
	global_load_dwordx4 v[8:11], v[68:69], off
	v_lshl_add_u64 v[70:71], v[30:31], 4, s[8:9]
	global_load_dwordx4 v[12:15], v[70:71], off
	v_mul_f64 v[72:73], v[6:7], v[22:23]
	v_mul_f64 v[74:75], v[22:23], -v[4:5]
	v_mul_f64 v[76:77], v[22:23], -v[2:3]
	v_mul_f64 v[78:79], v[0:1], v[22:23]
	v_fma_f64 v[72:73], -v[4:5], v[20:21], v[72:73]
	v_fma_f64 v[74:75], -v[6:7], v[20:21], v[74:75]
	v_fmac_f64_e32 v[76:77], v[0:1], v[20:21]
	v_fmac_f64_e32 v[78:79], v[2:3], v[20:21]
	v_mul_f64 v[4:5], v[74:75], v[42:43]
	v_mul_f64 v[6:7], v[42:43], -v[72:73]
	v_mul_f64 v[42:43], v[50:51], -v[78:79]
	v_mul_f64 v[50:51], v[76:77], v[50:51]
	v_mul_f64 v[80:81], v[74:75], v[46:47]
	v_mul_f64 v[46:47], v[46:47], -v[72:73]
	v_mul_f64 v[82:83], v[54:55], -v[78:79]
	v_mul_f64 v[54:55], v[76:77], v[54:55]
	v_fma_f64 v[86:87], -v[72:73], v[36:37], v[4:5]
	v_fma_f64 v[36:37], -v[74:75], v[36:37], v[6:7]
	v_fmac_f64_e32 v[42:43], v[76:77], v[38:39]
	v_fmac_f64_e32 v[50:51], v[78:79], v[38:39]
	v_fma_f64 v[38:39], -v[72:73], v[24:25], v[80:81]
	v_fma_f64 v[24:25], -v[74:75], v[24:25], v[46:47]
	v_fmac_f64_e32 v[82:83], v[76:77], v[44:45]
	v_fmac_f64_e32 v[54:55], v[78:79], v[44:45]
	v_add_f64 v[42:43], v[86:87], -v[42:43]
	v_add_f64 v[36:37], v[36:37], -v[50:51]
	v_add_u32_e32 v30, s30, v66
	v_add_f64 v[38:39], v[38:39], -v[82:83]
	v_add_f64 v[24:25], v[24:25], -v[54:55]
	v_ashrrev_i32_e32 v67, 31, v66
	v_lshl_add_u64 v[44:45], v[30:31], 4, s[8:9]
	v_add_u32_e32 v30, s31, v66
	v_lshl_add_u64 v[84:85], v[66:67], 4, s[14:15]
	v_lshl_add_u64 v[46:47], v[30:31], 4, s[8:9]
	global_load_dwordx4 v[4:7], v[84:85], off
	v_mul_f64 v[50:51], v[76:77], v[62:63]
	v_fmac_f64_e32 v[50:51], v[78:79], v[58:59]
	s_waitcnt vmcnt(2)
	v_add_f64 v[8:9], v[42:43], v[8:9]
	v_add_f64 v[10:11], v[36:37], v[10:11]
	global_store_dwordx4 v[68:69], v[8:11], off
	v_mul_f64 v[42:43], v[60:61], -v[72:73]
	s_waitcnt vmcnt(2)
	v_add_f64 v[8:9], v[38:39], v[12:13]
	v_add_f64 v[10:11], v[24:25], v[14:15]
	global_load_dwordx4 v[36:39], v[44:45], off
	v_mul_f64 v[24:25], v[74:75], v[60:61]
	global_store_dwordx4 v[70:71], v[8:11], off
	global_load_dwordx4 v[12:15], v[46:47], off
	v_fma_f64 v[24:25], -v[72:73], v[56:57], v[24:25]
	v_mul_f64 v[8:9], v[2:3], -v[22:23]
	v_mul_f64 v[2:3], v[2:3], v[20:21]
	v_fmac_f64_e32 v[8:9], v[20:21], v[0:1]
	v_fmac_f64_e32 v[2:3], v[22:23], v[0:1]
	v_mul_f64 v[0:1], v[74:75], v[48:49]
	v_mul_f64 v[10:11], v[48:49], -v[72:73]
	v_mul_f64 v[20:21], v[52:53], -v[78:79]
	v_mul_f64 v[22:23], v[76:77], v[52:53]
	v_mul_f64 v[52:53], v[18:19], -v[2:3]
	v_mul_f64 v[18:19], v[18:19], v[8:9]
	v_mul_f64 v[48:49], v[62:63], -v[78:79]
	v_fma_f64 v[0:1], -v[72:73], v[26:27], v[0:1]
	v_fma_f64 v[10:11], -v[74:75], v[26:27], v[10:11]
	v_fmac_f64_e32 v[20:21], v[76:77], v[40:41]
	v_fmac_f64_e32 v[22:23], v[78:79], v[40:41]
	v_fmac_f64_e32 v[52:53], v[8:9], v[16:17]
	v_fmac_f64_e32 v[18:19], v[2:3], v[16:17]
	v_fma_f64 v[26:27], -v[74:75], v[56:57], v[42:43]
	v_fmac_f64_e32 v[48:49], v[76:77], v[58:59]
	v_add_f64 v[0:1], v[0:1], -v[20:21]
	v_add_f64 v[2:3], v[10:11], -v[22:23]
	v_mul_f64 v[10:11], v[34:35], -v[18:19]
	v_mul_f64 v[20:21], v[34:35], v[52:53]
	v_add_f64 v[8:9], v[24:25], -v[48:49]
	v_add_f64 v[16:17], v[26:27], -v[50:51]
	v_fmac_f64_e32 v[10:11], v[52:53], v[32:33]
	v_fmac_f64_e32 v[20:21], v[18:19], v[32:33]
	s_waitcnt vmcnt(4)
	v_add_f64 v[10:11], v[4:5], -v[10:11]
	s_waitcnt vmcnt(2)
	v_add_f64 v[0:1], v[0:1], v[36:37]
	v_add_f64 v[2:3], v[2:3], v[38:39]
	global_store_dwordx4 v[44:45], v[0:3], off
	s_waitcnt vmcnt(1)
	s_nop 0
	v_add_f64 v[0:1], v[8:9], v[12:13]
	v_add_f64 v[2:3], v[16:17], v[14:15]
	v_add_f64 v[8:9], v[6:7], -v[20:21]
	global_store_dwordx4 v[46:47], v[0:3], off
.LBB329_16:                             ;   in Loop: Header=BB329_5 Depth=1
	s_or_b64 exec, exec, s[20:21]
	s_nop 0
	v_mov_b64_e32 v[2:3], v[8:9]
	v_mov_b64_e32 v[0:1], v[10:11]
                                        ; implicit-def: $vgpr4_vgpr5
                                        ; implicit-def: $vgpr12_vgpr13
                                        ; implicit-def: $vgpr8_vgpr9
                                        ; implicit-def: $vgpr34_vgpr35
                                        ; implicit-def: $vgpr32_vgpr33
                                        ; implicit-def: $vgpr42
                                        ; implicit-def: $vgpr38
                                        ; implicit-def: $vgpr36
.LBB329_17:                             ;   in Loop: Header=BB329_5 Depth=1
	s_or_saveexec_b64 s[2:3], s[4:5]
	v_mov_b32_e32 v10, s27
	s_xor_b64 exec, exec, s[2:3]
	s_cbranch_execz .LBB329_4
; %bb.18:                               ;   in Loop: Header=BB329_5 Depth=1
	v_lshl_add_u64 v[52:53], v[30:31], 4, s[8:9]
	v_mov_b32_e32 v43, v31
	v_mov_b32_e32 v39, v31
	v_mov_b32_e32 v37, v31
	global_load_dwordx4 v[16:19], v[52:53], off
	v_lshl_add_u64 v[54:55], v[42:43], 4, s[8:9]
	v_lshl_add_u64 v[38:39], v[38:39], 4, s[8:9]
	;; [unrolled: 1-line block ×3, first 2 shown]
	global_load_dwordx4 v[40:43], v[54:55], off
	global_load_dwordx4 v[48:51], v[56:57], off
	;; [unrolled: 1-line block ×3, first 2 shown]
	v_mul_f64 v[10:11], v[2:3], v[2:3]
	v_fmac_f64_e32 v[10:11], v[0:1], v[0:1]
	v_div_scale_f64 v[22:23], s[4:5], v[10:11], v[10:11], 1.0
	v_rcp_f64_e32 v[24:25], v[22:23]
	v_fma_f64 v[20:21], 0, v[2:3], v[0:1]
	v_fma_f64 v[0:1], v[0:1], 0, -v[2:3]
	v_div_scale_f64 v[2:3], vcc, 1.0, v[10:11], 1.0
	v_fma_f64 v[26:27], -v[22:23], v[24:25], 1.0
	v_fmac_f64_e32 v[24:25], v[24:25], v[26:27]
	v_fma_f64 v[26:27], -v[22:23], v[24:25], 1.0
	v_fmac_f64_e32 v[24:25], v[24:25], v[26:27]
	v_mul_f64 v[26:27], v[2:3], v[24:25]
	v_fma_f64 v[2:3], -v[22:23], v[26:27], v[2:3]
	v_div_fmas_f64 v[2:3], v[2:3], v[24:25], v[26:27]
	v_div_fixup_f64 v[2:3], v[2:3], v[10:11], 1.0
	v_mul_f64 v[36:37], v[0:1], v[2:3]
	v_mul_f64 v[10:11], v[20:21], v[2:3]
	s_waitcnt vmcnt(3)
	v_mul_f64 v[24:25], v[36:37], -v[18:19]
	v_mul_f64 v[26:27], v[36:37], v[16:17]
	v_fmac_f64_e32 v[24:25], v[16:17], v[10:11]
	v_fmac_f64_e32 v[26:27], v[18:19], v[10:11]
	s_waitcnt vmcnt(2)
	v_mul_f64 v[20:21], v[36:37], -v[42:43]
	v_mul_f64 v[22:23], v[36:37], v[40:41]
	s_waitcnt vmcnt(0)
	v_mul_f64 v[16:17], v[36:37], -v[46:47]
	v_mul_f64 v[18:19], v[36:37], v[44:45]
	v_mul_f64 v[0:1], v[36:37], -v[50:51]
	v_mul_f64 v[2:3], v[36:37], v[48:49]
	v_fmac_f64_e32 v[20:21], v[40:41], v[10:11]
	v_fmac_f64_e32 v[22:23], v[42:43], v[10:11]
	;; [unrolled: 1-line block ×6, first 2 shown]
	global_store_dwordx4 v[52:53], v[24:27], off
	global_store_dwordx4 v[54:55], v[20:23], off
	;; [unrolled: 1-line block ×4, first 2 shown]
	s_and_saveexec_b64 s[4:5], s[0:1]
	s_cbranch_execz .LBB329_3
; %bb.19:                               ;   in Loop: Header=BB329_5 Depth=1
	v_add_u32_e32 v52, v64, v29
	v_add_u32_e32 v30, s28, v52
	v_lshl_add_u64 v[46:47], v[30:31], 4, s[8:9]
	v_add_u32_e32 v30, s29, v52
	global_load_dwordx4 v[38:41], v[46:47], off
	v_lshl_add_u64 v[48:49], v[30:31], 4, s[8:9]
	global_load_dwordx4 v[42:45], v[48:49], off
	v_add_u32_e32 v30, s30, v52
	v_lshl_add_u64 v[50:51], v[30:31], 4, s[8:9]
	v_add_u32_e32 v30, s31, v52
	v_lshl_add_u64 v[52:53], v[30:31], 4, s[8:9]
	s_waitcnt vmcnt(1)
	v_fma_f64 v[38:39], -v[4:5], v[24:25], v[38:39]
	v_fma_f64 v[24:25], -v[6:7], v[24:25], v[40:41]
	v_fmac_f64_e32 v[38:39], v[6:7], v[26:27]
	v_fma_f64 v[40:41], -v[4:5], v[26:27], v[24:25]
	s_waitcnt vmcnt(0)
	v_fma_f64 v[24:25], -v[4:5], v[20:21], v[42:43]
	v_fma_f64 v[20:21], -v[6:7], v[20:21], v[44:45]
	global_store_dwordx4 v[46:47], v[38:41], off
	v_fmac_f64_e32 v[24:25], v[6:7], v[22:23]
	v_fma_f64 v[26:27], -v[4:5], v[22:23], v[20:21]
	global_load_dwordx4 v[38:41], v[50:51], off
	s_nop 0
	global_store_dwordx4 v[48:49], v[24:27], off
	global_load_dwordx4 v[20:23], v[52:53], off
	s_waitcnt vmcnt(2)
	v_fma_f64 v[24:25], -v[4:5], v[16:17], v[38:39]
	v_fma_f64 v[16:17], -v[6:7], v[16:17], v[40:41]
	;; [unrolled: 1-line block ×3, first 2 shown]
	s_waitcnt vmcnt(0)
	v_fma_f64 v[16:17], -v[4:5], v[0:1], v[20:21]
	v_fma_f64 v[0:1], -v[6:7], v[0:1], v[22:23]
	v_fmac_f64_e32 v[24:25], v[6:7], v[18:19]
	v_fmac_f64_e32 v[16:17], v[6:7], v[2:3]
	v_fma_f64 v[18:19], -v[4:5], v[2:3], v[0:1]
	global_store_dwordx4 v[50:51], v[24:27], off
	global_store_dwordx4 v[52:53], v[16:19], off
	s_branch .LBB329_3
.LBB329_20:
	s_or_b64 exec, exec, s[18:19]
	s_branch .LBB329_22
.LBB329_21:
	v_mov_b32_e32 v29, 0
.LBB329_22:
	v_subrev_u32_e32 v2, s22, v29
	v_add_u32_e32 v0, v2, v28
	v_ashrrev_i32_e32 v1, 31, v0
	s_waitcnt lgkmcnt(0)
	v_lshl_add_u64 v[0:1], v[0:1], 2, s[6:7]
	buffer_wbl2 sc1
	s_waitcnt vmcnt(0)
	buffer_inv sc1
	global_load_dword v0, v[0:1], off
	s_waitcnt vmcnt(0)
	v_mul_lo_u32 v0, v0, s22
	v_sub_u32_e32 v8, v2, v0
	v_cmp_lt_i32_e32 vcc, -1, v8
	s_and_b64 exec, exec, vcc
	s_cbranch_execz .LBB329_29
; %bb.23:
	s_lshl_b32 s4, s24, 2
	s_add_i32 s5, s4, s23
	s_add_i32 s12, s5, s23
	;; [unrolled: 1-line block ×3, first 2 shown]
	s_lshl_b32 s14, s22, 1
	s_mov_b64 s[0:1], 0
	v_mov_b32_e32 v5, 0
	s_branch .LBB329_25
.LBB329_24:                             ;   in Loop: Header=BB329_25 Depth=1
	s_or_b64 exec, exec, s[2:3]
	v_sub_u32_e32 v8, v8, v4
	v_cmp_gt_i32_e32 vcc, 0, v8
	s_or_b64 s[0:1], vcc, s[0:1]
	s_andn2_b64 exec, exec, s[0:1]
	s_cbranch_execz .LBB329_29
.LBB329_25:                             ; =>This Inner Loop Header: Depth=1
	v_add_u32_e32 v6, v8, v28
	v_ashrrev_i32_e32 v7, 31, v6
	s_waitcnt vmcnt(0)
	v_lshl_add_u64 v[0:1], v[6:7], 2, s[6:7]
	global_load_dword v4, v[0:1], off
	v_lshl_add_u64 v[0:1], v[6:7], 4, s[10:11]
	global_load_dwordx4 v[0:3], v[0:1], off
	s_waitcnt vmcnt(1)
	v_cmp_ne_u32_e32 vcc, 1, v4
	s_and_saveexec_b64 s[2:3], vcc
	s_xor_b64 s[2:3], exec, s[2:3]
	s_cbranch_execz .LBB329_27
; %bb.26:                               ;   in Loop: Header=BB329_25 Depth=1
	v_add_u32_e32 v7, v64, v8
	v_add_u32_e32 v4, s4, v7
	v_lshl_add_u64 v[26:27], v[4:5], 4, s[8:9]
	v_add_u32_e32 v4, s5, v7
	v_lshl_add_u64 v[34:35], v[4:5], 4, s[8:9]
	;; [unrolled: 2-line block ×5, first 2 shown]
	global_load_dwordx4 v[10:13], v[40:41], off
	global_load_dwordx4 v[14:17], v[26:27], off
	;; [unrolled: 1-line block ×5, first 2 shown]
	v_add_u32_e32 v4, s5, v6
	v_lshl_add_u64 v[26:27], v[4:5], 4, s[8:9]
	v_add_u32_e32 v4, s12, v6
	v_lshl_add_u64 v[34:35], v[4:5], 4, s[8:9]
	;; [unrolled: 2-line block ×3, first 2 shown]
	v_subrev_u32_e32 v4, s22, v8
	s_waitcnt vmcnt(3)
	v_fma_f64 v[10:11], -v[0:1], v[14:15], v[10:11]
	v_fma_f64 v[12:13], -v[2:3], v[14:15], v[12:13]
	v_fmac_f64_e32 v[10:11], v[2:3], v[16:17]
	v_fma_f64 v[12:13], -v[0:1], v[16:17], v[12:13]
	global_store_dwordx4 v[40:41], v[10:13], off
	global_load_dwordx4 v[10:13], v[26:27], off
	s_waitcnt vmcnt(0)
	v_fma_f64 v[10:11], -v[0:1], v[18:19], v[10:11]
	v_fma_f64 v[12:13], -v[2:3], v[18:19], v[12:13]
	v_fmac_f64_e32 v[10:11], v[2:3], v[20:21]
	v_fma_f64 v[12:13], -v[0:1], v[20:21], v[12:13]
	global_store_dwordx4 v[26:27], v[10:13], off
	global_load_dwordx4 v[10:13], v[34:35], off
	v_add_u32_e32 v26, v4, v28
	v_ashrrev_i32_e32 v27, 31, v26
	v_add_u32_e32 v4, s4, v26
	v_lshl_add_u64 v[38:39], v[4:5], 4, s[8:9]
	v_add_u32_e32 v4, s5, v26
	s_waitcnt vmcnt(0)
	v_fma_f64 v[10:11], -v[0:1], v[22:23], v[10:11]
	v_fma_f64 v[12:13], -v[2:3], v[22:23], v[12:13]
	v_fmac_f64_e32 v[10:11], v[2:3], v[24:25]
	v_fma_f64 v[12:13], -v[0:1], v[24:25], v[12:13]
	global_store_dwordx4 v[34:35], v[10:13], off
	global_load_dwordx4 v[10:13], v[6:7], off
	v_lshl_add_u64 v[34:35], v[26:27], 4, s[10:11]
	global_load_dwordx4 v[34:37], v[34:35], off
	s_waitcnt vmcnt(1)
	v_fma_f64 v[10:11], -v[0:1], v[30:31], v[10:11]
	v_fma_f64 v[12:13], -v[2:3], v[30:31], v[12:13]
	v_fmac_f64_e32 v[10:11], v[2:3], v[32:33]
	v_fma_f64 v[12:13], -v[0:1], v[32:33], v[12:13]
	global_store_dwordx4 v[6:7], v[10:13], off
	global_load_dwordx4 v[0:3], v[38:39], off
	v_lshl_add_u64 v[6:7], v[4:5], 4, s[8:9]
	v_add_u32_e32 v4, s12, v26
	v_lshl_add_u64 v[10:11], v[4:5], 4, s[8:9]
	v_add_u32_e32 v4, s13, v26
	s_waitcnt vmcnt(0)
	v_fma_f64 v[0:1], -v[34:35], v[14:15], v[0:1]
	v_fma_f64 v[2:3], -v[36:37], v[14:15], v[2:3]
	v_fmac_f64_e32 v[0:1], v[36:37], v[16:17]
	v_fma_f64 v[2:3], -v[34:35], v[16:17], v[2:3]
	global_store_dwordx4 v[38:39], v[0:3], off
	global_load_dwordx4 v[0:3], v[6:7], off
	s_waitcnt vmcnt(0)
	v_fma_f64 v[0:1], -v[34:35], v[18:19], v[0:1]
	v_fma_f64 v[2:3], -v[36:37], v[18:19], v[2:3]
	v_fmac_f64_e32 v[0:1], v[36:37], v[20:21]
	v_fma_f64 v[2:3], -v[34:35], v[20:21], v[2:3]
	global_store_dwordx4 v[6:7], v[0:3], off
	global_load_dwordx4 v[0:3], v[10:11], off
	v_lshl_add_u64 v[6:7], v[4:5], 4, s[8:9]
	s_waitcnt vmcnt(0)
	v_fma_f64 v[0:1], -v[34:35], v[22:23], v[0:1]
	v_fma_f64 v[2:3], -v[36:37], v[22:23], v[2:3]
	v_fmac_f64_e32 v[0:1], v[36:37], v[24:25]
	v_fma_f64 v[2:3], -v[34:35], v[24:25], v[2:3]
	global_store_dwordx4 v[10:11], v[0:3], off
	global_load_dwordx4 v[0:3], v[6:7], off
	s_waitcnt vmcnt(0)
	v_fma_f64 v[0:1], -v[34:35], v[30:31], v[0:1]
	v_fma_f64 v[2:3], -v[36:37], v[30:31], v[2:3]
	v_fmac_f64_e32 v[0:1], v[36:37], v[32:33]
	v_fma_f64 v[2:3], -v[34:35], v[32:33], v[2:3]
	global_store_dwordx4 v[6:7], v[0:3], off
                                        ; implicit-def: $vgpr6
                                        ; implicit-def: $vgpr0_vgpr1
.LBB329_27:                             ;   in Loop: Header=BB329_25 Depth=1
	s_or_saveexec_b64 s[2:3], s[2:3]
	v_mov_b32_e32 v4, s14
	s_xor_b64 exec, exec, s[2:3]
	s_cbranch_execz .LBB329_24
; %bb.28:                               ;   in Loop: Header=BB329_25 Depth=1
	v_add_u32_e32 v7, v64, v8
	v_add_u32_e32 v4, s4, v7
	v_lshl_add_u64 v[18:19], v[4:5], 4, s[8:9]
	v_add_u32_e32 v4, s4, v6
	v_lshl_add_u64 v[20:21], v[4:5], 4, s[8:9]
	global_load_dwordx4 v[10:13], v[18:19], off
	global_load_dwordx4 v[14:17], v[20:21], off
	v_add_u32_e32 v4, s5, v7
	v_lshl_add_u64 v[18:19], v[4:5], 4, s[8:9]
	v_add_u32_e32 v4, s5, v6
	v_lshl_add_u64 v[22:23], v[4:5], 4, s[8:9]
	v_add_u32_e32 v4, s12, v7
	s_waitcnt vmcnt(0)
	v_fma_f64 v[14:15], -v[0:1], v[10:11], v[14:15]
	v_fma_f64 v[10:11], -v[2:3], v[10:11], v[16:17]
	v_fmac_f64_e32 v[14:15], v[2:3], v[12:13]
	v_fma_f64 v[16:17], -v[0:1], v[12:13], v[10:11]
	global_store_dwordx4 v[20:21], v[14:17], off
	global_load_dwordx4 v[10:13], v[18:19], off
	s_nop 0
	global_load_dwordx4 v[14:17], v[22:23], off
	v_lshl_add_u64 v[18:19], v[4:5], 4, s[8:9]
	v_add_u32_e32 v4, s12, v6
	v_lshl_add_u64 v[20:21], v[4:5], 4, s[8:9]
	v_add_u32_e32 v4, s13, v7
	s_waitcnt vmcnt(0)
	v_fma_f64 v[14:15], -v[0:1], v[10:11], v[14:15]
	v_fma_f64 v[10:11], -v[2:3], v[10:11], v[16:17]
	v_fmac_f64_e32 v[14:15], v[2:3], v[12:13]
	v_fma_f64 v[16:17], -v[0:1], v[12:13], v[10:11]
	global_store_dwordx4 v[22:23], v[14:17], off
	global_load_dwordx4 v[10:13], v[18:19], off
	s_nop 0
	global_load_dwordx4 v[14:17], v[20:21], off
	v_lshl_add_u64 v[18:19], v[4:5], 4, s[8:9]
	v_add_u32_e32 v4, s13, v6
	v_lshl_add_u64 v[6:7], v[4:5], 4, s[8:9]
	v_mov_b32_e32 v4, s22
	s_waitcnt vmcnt(0)
	v_fma_f64 v[14:15], -v[0:1], v[10:11], v[14:15]
	v_fma_f64 v[10:11], -v[2:3], v[10:11], v[16:17]
	v_fmac_f64_e32 v[14:15], v[2:3], v[12:13]
	v_fma_f64 v[16:17], -v[0:1], v[12:13], v[10:11]
	global_store_dwordx4 v[20:21], v[14:17], off
	global_load_dwordx4 v[10:13], v[18:19], off
	s_nop 0
	global_load_dwordx4 v[14:17], v[6:7], off
	s_waitcnt vmcnt(0)
	v_fma_f64 v[14:15], -v[0:1], v[10:11], v[14:15]
	v_fma_f64 v[10:11], -v[2:3], v[10:11], v[16:17]
	v_fmac_f64_e32 v[14:15], v[2:3], v[12:13]
	v_fma_f64 v[16:17], -v[0:1], v[12:13], v[10:11]
	global_store_dwordx4 v[6:7], v[14:17], off
	s_branch .LBB329_24
.LBB329_29:
	s_endpgm
	.section	.rodata,"a",@progbits
	.p2align	6, 0x0
	.amdhsa_kernel _ZN9rocsparseL19gtsv_LBM_rhs_kernelILj256ELj64ELj4E21rocsparse_complex_numIdEEEviiiPKT2_S5_S5_PS3_S5_PKi
		.amdhsa_group_segment_fixed_size 0
		.amdhsa_private_segment_fixed_size 0
		.amdhsa_kernarg_size 64
		.amdhsa_user_sgpr_count 2
		.amdhsa_user_sgpr_dispatch_ptr 0
		.amdhsa_user_sgpr_queue_ptr 0
		.amdhsa_user_sgpr_kernarg_segment_ptr 1
		.amdhsa_user_sgpr_dispatch_id 0
		.amdhsa_user_sgpr_kernarg_preload_length 0
		.amdhsa_user_sgpr_kernarg_preload_offset 0
		.amdhsa_user_sgpr_private_segment_size 0
		.amdhsa_uses_dynamic_stack 0
		.amdhsa_enable_private_segment 0
		.amdhsa_system_sgpr_workgroup_id_x 1
		.amdhsa_system_sgpr_workgroup_id_y 1
		.amdhsa_system_sgpr_workgroup_id_z 0
		.amdhsa_system_sgpr_workgroup_info 0
		.amdhsa_system_vgpr_workitem_id 0
		.amdhsa_next_free_vgpr 98
		.amdhsa_next_free_sgpr 32
		.amdhsa_accum_offset 100
		.amdhsa_reserve_vcc 1
		.amdhsa_float_round_mode_32 0
		.amdhsa_float_round_mode_16_64 0
		.amdhsa_float_denorm_mode_32 3
		.amdhsa_float_denorm_mode_16_64 3
		.amdhsa_dx10_clamp 1
		.amdhsa_ieee_mode 1
		.amdhsa_fp16_overflow 0
		.amdhsa_tg_split 0
		.amdhsa_exception_fp_ieee_invalid_op 0
		.amdhsa_exception_fp_denorm_src 0
		.amdhsa_exception_fp_ieee_div_zero 0
		.amdhsa_exception_fp_ieee_overflow 0
		.amdhsa_exception_fp_ieee_underflow 0
		.amdhsa_exception_fp_ieee_inexact 0
		.amdhsa_exception_int_div_zero 0
	.end_amdhsa_kernel
	.section	.text._ZN9rocsparseL19gtsv_LBM_rhs_kernelILj256ELj64ELj4E21rocsparse_complex_numIdEEEviiiPKT2_S5_S5_PS3_S5_PKi,"axG",@progbits,_ZN9rocsparseL19gtsv_LBM_rhs_kernelILj256ELj64ELj4E21rocsparse_complex_numIdEEEviiiPKT2_S5_S5_PS3_S5_PKi,comdat
.Lfunc_end329:
	.size	_ZN9rocsparseL19gtsv_LBM_rhs_kernelILj256ELj64ELj4E21rocsparse_complex_numIdEEEviiiPKT2_S5_S5_PS3_S5_PKi, .Lfunc_end329-_ZN9rocsparseL19gtsv_LBM_rhs_kernelILj256ELj64ELj4E21rocsparse_complex_numIdEEEviiiPKT2_S5_S5_PS3_S5_PKi
                                        ; -- End function
	.set _ZN9rocsparseL19gtsv_LBM_rhs_kernelILj256ELj64ELj4E21rocsparse_complex_numIdEEEviiiPKT2_S5_S5_PS3_S5_PKi.num_vgpr, 98
	.set _ZN9rocsparseL19gtsv_LBM_rhs_kernelILj256ELj64ELj4E21rocsparse_complex_numIdEEEviiiPKT2_S5_S5_PS3_S5_PKi.num_agpr, 0
	.set _ZN9rocsparseL19gtsv_LBM_rhs_kernelILj256ELj64ELj4E21rocsparse_complex_numIdEEEviiiPKT2_S5_S5_PS3_S5_PKi.numbered_sgpr, 32
	.set _ZN9rocsparseL19gtsv_LBM_rhs_kernelILj256ELj64ELj4E21rocsparse_complex_numIdEEEviiiPKT2_S5_S5_PS3_S5_PKi.num_named_barrier, 0
	.set _ZN9rocsparseL19gtsv_LBM_rhs_kernelILj256ELj64ELj4E21rocsparse_complex_numIdEEEviiiPKT2_S5_S5_PS3_S5_PKi.private_seg_size, 0
	.set _ZN9rocsparseL19gtsv_LBM_rhs_kernelILj256ELj64ELj4E21rocsparse_complex_numIdEEEviiiPKT2_S5_S5_PS3_S5_PKi.uses_vcc, 1
	.set _ZN9rocsparseL19gtsv_LBM_rhs_kernelILj256ELj64ELj4E21rocsparse_complex_numIdEEEviiiPKT2_S5_S5_PS3_S5_PKi.uses_flat_scratch, 0
	.set _ZN9rocsparseL19gtsv_LBM_rhs_kernelILj256ELj64ELj4E21rocsparse_complex_numIdEEEviiiPKT2_S5_S5_PS3_S5_PKi.has_dyn_sized_stack, 0
	.set _ZN9rocsparseL19gtsv_LBM_rhs_kernelILj256ELj64ELj4E21rocsparse_complex_numIdEEEviiiPKT2_S5_S5_PS3_S5_PKi.has_recursion, 0
	.set _ZN9rocsparseL19gtsv_LBM_rhs_kernelILj256ELj64ELj4E21rocsparse_complex_numIdEEEviiiPKT2_S5_S5_PS3_S5_PKi.has_indirect_call, 0
	.section	.AMDGPU.csdata,"",@progbits
; Kernel info:
; codeLenInByte = 4168
; TotalNumSgprs: 38
; NumVgprs: 98
; NumAgprs: 0
; TotalNumVgprs: 98
; ScratchSize: 0
; MemoryBound: 1
; FloatMode: 240
; IeeeMode: 1
; LDSByteSize: 0 bytes/workgroup (compile time only)
; SGPRBlocks: 4
; VGPRBlocks: 12
; NumSGPRsForWavesPerEU: 38
; NumVGPRsForWavesPerEU: 98
; AccumOffset: 100
; Occupancy: 4
; WaveLimiterHint : 0
; COMPUTE_PGM_RSRC2:SCRATCH_EN: 0
; COMPUTE_PGM_RSRC2:USER_SGPR: 2
; COMPUTE_PGM_RSRC2:TRAP_HANDLER: 0
; COMPUTE_PGM_RSRC2:TGID_X_EN: 1
; COMPUTE_PGM_RSRC2:TGID_Y_EN: 1
; COMPUTE_PGM_RSRC2:TGID_Z_EN: 0
; COMPUTE_PGM_RSRC2:TIDIG_COMP_CNT: 0
; COMPUTE_PGM_RSRC3_GFX90A:ACCUM_OFFSET: 24
; COMPUTE_PGM_RSRC3_GFX90A:TG_SPLIT: 0
	.section	.text._ZN9rocsparseL19gtsv_LBM_rhs_kernelILj256ELj64ELj2E21rocsparse_complex_numIdEEEviiiPKT2_S5_S5_PS3_S5_PKi,"axG",@progbits,_ZN9rocsparseL19gtsv_LBM_rhs_kernelILj256ELj64ELj2E21rocsparse_complex_numIdEEEviiiPKT2_S5_S5_PS3_S5_PKi,comdat
	.globl	_ZN9rocsparseL19gtsv_LBM_rhs_kernelILj256ELj64ELj2E21rocsparse_complex_numIdEEEviiiPKT2_S5_S5_PS3_S5_PKi ; -- Begin function _ZN9rocsparseL19gtsv_LBM_rhs_kernelILj256ELj64ELj2E21rocsparse_complex_numIdEEEviiiPKT2_S5_S5_PS3_S5_PKi
	.p2align	8
	.type	_ZN9rocsparseL19gtsv_LBM_rhs_kernelILj256ELj64ELj2E21rocsparse_complex_numIdEEEviiiPKT2_S5_S5_PS3_S5_PKi,@function
_ZN9rocsparseL19gtsv_LBM_rhs_kernelILj256ELj64ELj2E21rocsparse_complex_numIdEEEviiiPKT2_S5_S5_PS3_S5_PKi: ; @_ZN9rocsparseL19gtsv_LBM_rhs_kernelILj256ELj64ELj2E21rocsparse_complex_numIdEEEviiiPKT2_S5_S5_PS3_S5_PKi
; %bb.0:
	s_load_dword s23, s[0:1], 0x0
	v_lshl_or_b32 v24, s2, 8, v0
	s_waitcnt lgkmcnt(0)
	s_lshr_b32 s22, s23, 6
	v_cmp_gt_i32_e32 vcc, s22, v24
	s_and_saveexec_b64 s[4:5], vcc
	s_cbranch_execz .LBB330_29
; %bb.1:
	s_load_dwordx4 s[8:11], s[0:1], 0x28
	s_load_dwordx2 s[6:7], s[0:1], 0x38
	s_cmp_lt_i32 s23, 1
	v_add_u32_e32 v58, s22, v24
	s_mul_i32 s24, s3, s23
	s_cbranch_scc1 .LBB330_21
; %bb.2:
	s_load_dwordx4 s[12:15], s[0:1], 0x10
	s_load_dwordx2 s[16:17], s[0:1], 0x20
	v_ashrrev_i32_e32 v25, 31, v24
	s_lshl_b32 s28, s24, 1
	s_mul_i32 s25, s22, 63
	s_waitcnt lgkmcnt(0)
	v_lshl_add_u64 v[0:1], v[24:25], 4, s[14:15]
	global_load_dwordx4 v[4:7], v[0:1], off
	s_mul_i32 s26, s22, 62
	s_lshl_b32 s27, s22, 1
	v_add_u32_e32 v59, s22, v58
	s_add_i32 s29, s28, s23
	v_mov_b32_e32 v27, 0
	s_mov_b64 s[18:19], 0
	v_mov_b32_e32 v25, 0
	s_branch .LBB330_5
.LBB330_3:                              ;   in Loop: Header=BB330_5 Depth=1
	s_or_b64 exec, exec, s[4:5]
	v_fmac_f64_e32 v[30:31], v[0:1], v[8:9]
	v_fmac_f64_e32 v[28:29], v[2:3], v[8:9]
	v_mul_f64 v[0:1], v[20:21], -v[28:29]
	v_mul_f64 v[2:3], v[20:21], v[30:31]
	v_fmac_f64_e32 v[0:1], v[30:31], v[10:11]
	v_fmac_f64_e32 v[2:3], v[28:29], v[10:11]
	v_add_f64 v[4:5], v[12:13], -v[0:1]
	v_add_f64 v[6:7], v[14:15], -v[2:3]
	v_mov_b32_e32 v10, s22
.LBB330_4:                              ;   in Loop: Header=BB330_5 Depth=1
	s_or_b64 exec, exec, s[2:3]
	v_add_u32_e32 v25, v10, v25
	v_cmp_le_i32_e32 vcc, s23, v25
	s_or_b64 s[18:19], vcc, s[18:19]
	s_andn2_b64 exec, exec, s[18:19]
	s_cbranch_execz .LBB330_20
.LBB330_5:                              ; =>This Inner Loop Header: Depth=1
	v_add_u32_e32 v32, v25, v24
	v_ashrrev_i32_e32 v33, 31, v32
	v_lshl_add_u64 v[0:1], v[32:33], 4, s[16:17]
	global_load_dwordx4 v[8:11], v[0:1], off
	v_cmp_gt_u32_e64 s[0:1], s25, v25
	v_mov_b64_e32 v[12:13], 0
	v_mov_b64_e32 v[0:1], 0
	;; [unrolled: 1-line block ×3, first 2 shown]
	s_and_saveexec_b64 s[2:3], s[0:1]
	s_cbranch_execz .LBB330_7
; %bb.6:                                ;   in Loop: Header=BB330_5 Depth=1
	v_add_u32_e32 v0, v58, v25
	v_ashrrev_i32_e32 v1, 31, v0
	v_lshl_add_u64 v[0:1], v[0:1], 4, s[12:13]
	global_load_dwordx4 v[0:3], v[0:1], off
.LBB330_7:                              ;   in Loop: Header=BB330_5 Depth=1
	s_or_b64 exec, exec, s[2:3]
	v_mov_b64_e32 v[14:15], 0
	s_and_saveexec_b64 s[2:3], s[0:1]
	s_cbranch_execz .LBB330_9
; %bb.8:                                ;   in Loop: Header=BB330_5 Depth=1
	v_add_u32_e32 v12, v58, v25
	v_ashrrev_i32_e32 v13, 31, v12
	v_lshl_add_u64 v[12:13], v[12:13], 4, s[14:15]
	global_load_dwordx4 v[12:15], v[12:13], off
.LBB330_9:                              ;   in Loop: Header=BB330_5 Depth=1
	s_or_b64 exec, exec, s[2:3]
	v_mov_b64_e32 v[20:21], 0
	v_mov_b64_e32 v[16:17], 0
	;; [unrolled: 1-line block ×3, first 2 shown]
	s_and_saveexec_b64 s[2:3], s[0:1]
	s_cbranch_execz .LBB330_11
; %bb.10:                               ;   in Loop: Header=BB330_5 Depth=1
	v_add_u32_e32 v16, v58, v25
	v_ashrrev_i32_e32 v17, 31, v16
	v_lshl_add_u64 v[16:17], v[16:17], 4, s[16:17]
	global_load_dwordx4 v[16:19], v[16:17], off
.LBB330_11:                             ;   in Loop: Header=BB330_5 Depth=1
	s_or_b64 exec, exec, s[2:3]
	v_cmp_gt_u32_e64 s[2:3], s26, v25
	v_mov_b64_e32 v[22:23], 0
	s_and_saveexec_b64 s[4:5], s[2:3]
	s_cbranch_execz .LBB330_13
; %bb.12:                               ;   in Loop: Header=BB330_5 Depth=1
	v_add_u32_e32 v20, v59, v25
	v_ashrrev_i32_e32 v21, 31, v20
	v_lshl_add_u64 v[20:21], v[20:21], 4, s[12:13]
	global_load_dwordx4 v[20:23], v[20:21], off
.LBB330_13:                             ;   in Loop: Header=BB330_5 Depth=1
	s_or_b64 exec, exec, s[4:5]
	v_lshl_add_u64 v[28:29], v[32:33], 2, s[6:7]
	global_load_dword v33, v[28:29], off
	v_cmp_ne_u32_e32 vcc, s25, v25
	s_waitcnt vmcnt(1)
	v_mul_f64 v[30:31], v[10:11], -v[2:3]
	v_mul_f64 v[28:29], v[10:11], v[0:1]
	v_add_u32_e32 v26, s28, v32
	v_add_u32_e32 v32, s29, v32
	s_waitcnt vmcnt(0)
	v_cmp_ne_u32_e64 s[4:5], 1, v33
	s_and_b64 s[4:5], vcc, s[4:5]
	s_and_saveexec_b64 s[20:21], s[4:5]
	s_xor_b64 s[4:5], exec, s[20:21]
	s_cbranch_execz .LBB330_17
; %bb.14:                               ;   in Loop: Header=BB330_5 Depth=1
	v_mov_b32_e32 v33, v27
	v_lshl_add_u64 v[38:39], v[26:27], 4, s[8:9]
	v_lshl_add_u64 v[34:35], v[32:33], 4, s[8:9]
	v_add_u32_e32 v32, v58, v25
	global_load_dwordx4 v[42:45], v[38:39], off
	v_add_u32_e32 v26, s28, v32
	global_load_dwordx4 v[52:55], v[34:35], off
	v_lshl_add_u64 v[36:37], v[26:27], 4, s[8:9]
	global_load_dwordx4 v[60:63], v[36:37], off
	v_add_u32_e32 v26, s29, v32
	v_lshl_add_u64 v[32:33], v[26:27], 4, s[8:9]
	global_load_dwordx4 v[64:67], v[32:33], off
	v_mul_f64 v[46:47], v[4:5], v[14:15]
	v_mul_f64 v[40:41], v[14:15], -v[6:7]
	v_fmac_f64_e32 v[28:29], v[2:3], v[8:9]
	v_fmac_f64_e32 v[46:47], v[6:7], v[12:13]
	;; [unrolled: 1-line block ×4, first 2 shown]
	v_add_f64 v[28:29], v[46:47], -v[28:29]
	v_add_f64 v[30:31], v[40:41], -v[30:31]
	v_mul_f64 v[40:41], v[28:29], v[28:29]
	v_fmac_f64_e32 v[40:41], v[30:31], v[30:31]
	v_div_scale_f64 v[48:49], s[20:21], v[40:41], v[40:41], 1.0
	v_rcp_f64_e32 v[50:51], v[48:49]
	v_fma_f64 v[46:47], 0, v[28:29], v[30:31]
	v_fma_f64 v[30:31], v[30:31], 0, -v[28:29]
	v_div_scale_f64 v[28:29], vcc, 1.0, v[40:41], 1.0
	v_fma_f64 v[68:69], -v[48:49], v[50:51], 1.0
	v_fmac_f64_e32 v[50:51], v[50:51], v[68:69]
	v_fma_f64 v[68:69], -v[48:49], v[50:51], 1.0
	v_fmac_f64_e32 v[50:51], v[50:51], v[68:69]
	v_mul_f64 v[68:69], v[28:29], v[50:51]
	v_fma_f64 v[28:29], -v[48:49], v[68:69], v[28:29]
	v_div_fmas_f64 v[28:29], v[28:29], v[50:51], v[68:69]
	v_div_fixup_f64 v[40:41], v[28:29], v[40:41], 1.0
	v_mul_f64 v[30:31], v[30:31], v[40:41]
	v_mul_f64 v[28:29], v[46:47], v[40:41]
	v_mov_b64_e32 v[56:57], 0
	s_waitcnt vmcnt(3)
	v_mul_f64 v[40:41], v[30:31], -v[44:45]
	v_mul_f64 v[48:49], v[30:31], v[42:43]
	v_fmac_f64_e32 v[40:41], v[42:43], v[28:29]
	s_waitcnt vmcnt(2)
	v_mul_f64 v[42:43], v[30:31], -v[54:55]
	v_mul_f64 v[50:51], v[30:31], v[52:53]
	v_fmac_f64_e32 v[48:49], v[44:45], v[28:29]
	v_fmac_f64_e32 v[42:43], v[52:53], v[28:29]
	;; [unrolled: 1-line block ×3, first 2 shown]
	s_waitcnt vmcnt(1)
	v_mul_f64 v[44:45], v[30:31], -v[62:63]
	v_mul_f64 v[52:53], v[30:31], v[60:61]
	v_mul_f64 v[68:69], v[48:49], -v[14:15]
	v_fmac_f64_e32 v[44:45], v[60:61], v[28:29]
	v_fmac_f64_e32 v[52:53], v[62:63], v[28:29]
	v_mul_f64 v[60:61], v[50:51], -v[14:15]
	v_mul_f64 v[70:71], v[12:13], v[48:49]
	s_waitcnt vmcnt(0)
	v_mul_f64 v[54:55], v[30:31], v[64:65]
	v_fmac_f64_e32 v[68:69], v[12:13], v[40:41]
	v_mul_f64 v[62:63], v[12:13], v[50:51]
	v_fmac_f64_e32 v[60:61], v[12:13], v[42:43]
	v_mul_f64 v[12:13], v[52:53], -v[10:11]
	v_mul_f64 v[46:47], v[30:31], -v[66:67]
	v_fmac_f64_e32 v[70:71], v[14:15], v[40:41]
	v_fmac_f64_e32 v[54:55], v[66:67], v[28:29]
	;; [unrolled: 1-line block ×3, first 2 shown]
	v_mul_f64 v[14:15], v[8:9], v[52:53]
	v_fmac_f64_e32 v[12:13], v[8:9], v[44:45]
	v_mul_f64 v[72:73], v[2:3], v[48:49]
	v_mul_f64 v[74:75], v[48:49], -v[0:1]
	v_fmac_f64_e32 v[46:47], v[64:65], v[28:29]
	v_mul_f64 v[64:65], v[52:53], -v[6:7]
	v_mul_f64 v[66:67], v[4:5], v[52:53]
	v_fmac_f64_e32 v[14:15], v[10:11], v[44:45]
	v_mul_f64 v[76:77], v[54:55], -v[10:11]
	v_add_f64 v[12:13], v[68:69], -v[12:13]
	v_mul_f64 v[68:69], v[8:9], v[54:55]
	v_fma_f64 v[72:73], -v[0:1], v[40:41], v[72:73]
	v_fma_f64 v[74:75], -v[2:3], v[40:41], v[74:75]
	v_add_f64 v[14:15], v[70:71], -v[14:15]
	v_fmac_f64_e32 v[64:65], v[4:5], v[44:45]
	v_fmac_f64_e32 v[66:67], v[6:7], v[44:45]
	;; [unrolled: 1-line block ×4, first 2 shown]
	v_add_f64 v[8:9], v[72:73], v[64:65]
	v_add_f64 v[10:11], v[74:75], v[66:67]
	global_store_dwordx4 v[38:39], v[12:15], off
	s_nop 1
	v_add_f64 v[12:13], v[60:61], -v[76:77]
	v_add_f64 v[14:15], v[62:63], -v[68:69]
	global_store_dwordx4 v[34:35], v[12:15], off
	global_store_dwordx4 v[36:37], v[8:11], off
	s_nop 0
	v_mul_f64 v[12:13], v[54:55], -v[6:7]
	v_mul_f64 v[8:9], v[2:3], v[50:51]
	v_mul_f64 v[10:11], v[50:51], -v[0:1]
	v_mul_f64 v[14:15], v[4:5], v[54:55]
	v_fma_f64 v[8:9], -v[0:1], v[42:43], v[8:9]
	v_fma_f64 v[10:11], -v[2:3], v[42:43], v[10:11]
	v_fmac_f64_e32 v[12:13], v[4:5], v[46:47]
	v_fmac_f64_e32 v[14:15], v[6:7], v[46:47]
	v_add_f64 v[8:9], v[8:9], v[12:13]
	v_add_f64 v[10:11], v[10:11], v[14:15]
	global_store_dwordx4 v[32:33], v[8:11], off
	s_nop 1
	v_mov_b64_e32 v[8:9], 0
	s_and_saveexec_b64 s[20:21], s[2:3]
	s_cbranch_execz .LBB330_16
; %bb.15:                               ;   in Loop: Header=BB330_5 Depth=1
	v_add_u32_e32 v12, v59, v25
	v_add_u32_e32 v26, s28, v12
	v_lshl_add_u64 v[36:37], v[26:27], 4, s[8:9]
	v_add_u32_e32 v26, s29, v12
	v_ashrrev_i32_e32 v13, 31, v12
	global_load_dwordx4 v[8:11], v[36:37], off
	v_lshl_add_u64 v[12:13], v[12:13], 4, s[14:15]
	v_lshl_add_u64 v[38:39], v[26:27], 4, s[8:9]
	global_load_dwordx4 v[12:15], v[12:13], off
	v_mul_f64 v[56:57], v[2:3], v[22:23]
	global_load_dwordx4 v[32:35], v[38:39], off
	v_mul_f64 v[60:61], v[22:23], -v[0:1]
	v_mul_f64 v[62:63], v[22:23], -v[6:7]
	v_mul_f64 v[64:65], v[4:5], v[22:23]
	v_mul_f64 v[66:67], v[6:7], -v[22:23]
	v_mul_f64 v[68:69], v[6:7], v[20:21]
	v_fma_f64 v[0:1], -v[0:1], v[20:21], v[56:57]
	v_fma_f64 v[2:3], -v[2:3], v[20:21], v[60:61]
	v_fmac_f64_e32 v[62:63], v[4:5], v[20:21]
	v_fmac_f64_e32 v[64:65], v[6:7], v[20:21]
	;; [unrolled: 1-line block ×4, first 2 shown]
	v_mul_f64 v[4:5], v[2:3], v[48:49]
	v_mul_f64 v[6:7], v[48:49], -v[0:1]
	v_mul_f64 v[20:21], v[52:53], -v[64:65]
	v_mul_f64 v[22:23], v[62:63], v[52:53]
	v_mul_f64 v[56:57], v[18:19], -v[68:69]
	v_mul_f64 v[18:19], v[18:19], v[66:67]
	v_mul_f64 v[48:49], v[2:3], v[50:51]
	v_mul_f64 v[50:51], v[50:51], -v[0:1]
	v_mul_f64 v[52:53], v[54:55], -v[64:65]
	v_mul_f64 v[54:55], v[62:63], v[54:55]
	v_fma_f64 v[4:5], -v[0:1], v[40:41], v[4:5]
	v_fma_f64 v[6:7], -v[2:3], v[40:41], v[6:7]
	v_fmac_f64_e32 v[20:21], v[62:63], v[44:45]
	v_fmac_f64_e32 v[22:23], v[64:65], v[44:45]
	;; [unrolled: 1-line block ×4, first 2 shown]
	v_fma_f64 v[0:1], -v[0:1], v[42:43], v[48:49]
	v_fma_f64 v[2:3], -v[2:3], v[42:43], v[50:51]
	v_fmac_f64_e32 v[52:53], v[62:63], v[46:47]
	v_fmac_f64_e32 v[54:55], v[64:65], v[46:47]
	v_add_f64 v[4:5], v[4:5], -v[20:21]
	v_add_f64 v[6:7], v[6:7], -v[22:23]
	v_mul_f64 v[22:23], v[30:31], -v[18:19]
	v_mul_f64 v[30:31], v[30:31], v[56:57]
	v_add_f64 v[16:17], v[0:1], -v[52:53]
	v_add_f64 v[20:21], v[2:3], -v[54:55]
	v_fmac_f64_e32 v[22:23], v[56:57], v[28:29]
	v_fmac_f64_e32 v[30:31], v[18:19], v[28:29]
	s_waitcnt vmcnt(2)
	v_add_f64 v[0:1], v[4:5], v[8:9]
	v_add_f64 v[2:3], v[6:7], v[10:11]
	global_store_dwordx4 v[36:37], v[0:3], off
	s_waitcnt vmcnt(2)
	v_add_f64 v[8:9], v[12:13], -v[22:23]
	v_add_f64 v[56:57], v[14:15], -v[30:31]
	s_waitcnt vmcnt(1)
	v_add_f64 v[0:1], v[16:17], v[32:33]
	v_add_f64 v[2:3], v[20:21], v[34:35]
	global_store_dwordx4 v[38:39], v[0:3], off
.LBB330_16:                             ;   in Loop: Header=BB330_5 Depth=1
	s_or_b64 exec, exec, s[20:21]
	v_mov_b64_e32 v[6:7], v[56:57]
	v_mov_b64_e32 v[4:5], v[8:9]
                                        ; implicit-def: $vgpr0_vgpr1
                                        ; implicit-def: $vgpr12_vgpr13
                                        ; implicit-def: $vgpr8_vgpr9
                                        ; implicit-def: $vgpr30_vgpr31
                                        ; implicit-def: $vgpr28_vgpr29
                                        ; implicit-def: $vgpr32
.LBB330_17:                             ;   in Loop: Header=BB330_5 Depth=1
	s_or_saveexec_b64 s[2:3], s[4:5]
	v_mov_b32_e32 v10, s27
	s_xor_b64 exec, exec, s[2:3]
	s_cbranch_execz .LBB330_4
; %bb.18:                               ;   in Loop: Header=BB330_5 Depth=1
	v_mov_b32_e32 v33, v27
	v_lshl_add_u64 v[22:23], v[26:27], 4, s[8:9]
	v_lshl_add_u64 v[32:33], v[32:33], 4, s[8:9]
	global_load_dwordx4 v[34:37], v[22:23], off
	global_load_dwordx4 v[38:41], v[32:33], off
	v_mul_f64 v[10:11], v[6:7], v[6:7]
	v_fmac_f64_e32 v[10:11], v[4:5], v[4:5]
	v_div_scale_f64 v[18:19], s[4:5], v[10:11], v[10:11], 1.0
	v_rcp_f64_e32 v[20:21], v[18:19]
	v_fma_f64 v[16:17], 0, v[6:7], v[4:5]
	v_fma_f64 v[4:5], v[4:5], 0, -v[6:7]
	v_div_scale_f64 v[6:7], vcc, 1.0, v[10:11], 1.0
	v_fma_f64 v[42:43], -v[18:19], v[20:21], 1.0
	v_fmac_f64_e32 v[20:21], v[20:21], v[42:43]
	v_fma_f64 v[42:43], -v[18:19], v[20:21], 1.0
	v_fmac_f64_e32 v[20:21], v[20:21], v[42:43]
	v_mul_f64 v[42:43], v[6:7], v[20:21]
	v_fma_f64 v[6:7], -v[18:19], v[42:43], v[6:7]
	v_div_fmas_f64 v[6:7], v[6:7], v[20:21], v[42:43]
	v_div_fixup_f64 v[6:7], v[6:7], v[10:11], 1.0
	v_mul_f64 v[20:21], v[4:5], v[6:7]
	v_mul_f64 v[10:11], v[16:17], v[6:7]
	s_waitcnt vmcnt(1)
	v_mul_f64 v[16:17], v[20:21], -v[36:37]
	v_mul_f64 v[18:19], v[20:21], v[34:35]
	s_waitcnt vmcnt(0)
	v_mul_f64 v[4:5], v[20:21], -v[40:41]
	v_mul_f64 v[6:7], v[20:21], v[38:39]
	v_fmac_f64_e32 v[16:17], v[34:35], v[10:11]
	v_fmac_f64_e32 v[18:19], v[36:37], v[10:11]
	;; [unrolled: 1-line block ×4, first 2 shown]
	global_store_dwordx4 v[22:23], v[16:19], off
	global_store_dwordx4 v[32:33], v[4:7], off
	s_and_saveexec_b64 s[4:5], s[0:1]
	s_cbranch_execz .LBB330_3
; %bb.19:                               ;   in Loop: Header=BB330_5 Depth=1
	v_add_u32_e32 v36, v58, v25
	v_add_u32_e32 v26, s28, v36
	v_lshl_add_u64 v[22:23], v[26:27], 4, s[8:9]
	v_add_u32_e32 v26, s29, v36
	global_load_dwordx4 v[32:35], v[22:23], off
	v_lshl_add_u64 v[40:41], v[26:27], 4, s[8:9]
	global_load_dwordx4 v[36:39], v[40:41], off
	s_waitcnt vmcnt(1)
	v_fma_f64 v[32:33], -v[0:1], v[16:17], v[32:33]
	v_fma_f64 v[16:17], -v[2:3], v[16:17], v[34:35]
	;; [unrolled: 1-line block ×3, first 2 shown]
	s_waitcnt vmcnt(0)
	v_fma_f64 v[16:17], -v[0:1], v[4:5], v[36:37]
	v_fma_f64 v[4:5], -v[2:3], v[4:5], v[38:39]
	v_fmac_f64_e32 v[32:33], v[2:3], v[18:19]
	v_fmac_f64_e32 v[16:17], v[2:3], v[6:7]
	v_fma_f64 v[18:19], -v[0:1], v[6:7], v[4:5]
	global_store_dwordx4 v[22:23], v[32:35], off
	global_store_dwordx4 v[40:41], v[16:19], off
	s_branch .LBB330_3
.LBB330_20:
	s_or_b64 exec, exec, s[18:19]
	s_branch .LBB330_22
.LBB330_21:
	v_mov_b32_e32 v25, 0
.LBB330_22:
	v_subrev_u32_e32 v2, s22, v25
	v_add_u32_e32 v0, v2, v24
	v_ashrrev_i32_e32 v1, 31, v0
	s_waitcnt lgkmcnt(0)
	v_lshl_add_u64 v[0:1], v[0:1], 2, s[6:7]
	buffer_wbl2 sc1
	s_waitcnt vmcnt(0)
	buffer_inv sc1
	global_load_dword v0, v[0:1], off
	s_waitcnt vmcnt(0)
	v_mul_lo_u32 v0, v0, s22
	v_sub_u32_e32 v8, v2, v0
	v_cmp_lt_i32_e32 vcc, -1, v8
	s_and_b64 exec, exec, vcc
	s_cbranch_execz .LBB330_29
; %bb.23:
	s_lshl_b32 s4, s24, 1
	s_add_i32 s5, s4, s23
	s_lshl_b32 s12, s22, 1
	s_mov_b64 s[0:1], 0
	v_mov_b32_e32 v5, 0
	s_branch .LBB330_25
.LBB330_24:                             ;   in Loop: Header=BB330_25 Depth=1
	s_or_b64 exec, exec, s[2:3]
	v_sub_u32_e32 v8, v8, v4
	v_cmp_gt_i32_e32 vcc, 0, v8
	s_or_b64 s[0:1], vcc, s[0:1]
	s_andn2_b64 exec, exec, s[0:1]
	s_cbranch_execz .LBB330_29
.LBB330_25:                             ; =>This Inner Loop Header: Depth=1
	v_add_u32_e32 v6, v8, v24
	v_ashrrev_i32_e32 v7, 31, v6
	s_waitcnt vmcnt(0)
	v_lshl_add_u64 v[0:1], v[6:7], 2, s[6:7]
	global_load_dword v4, v[0:1], off
	v_lshl_add_u64 v[0:1], v[6:7], 4, s[10:11]
	global_load_dwordx4 v[0:3], v[0:1], off
	s_waitcnt vmcnt(1)
	v_cmp_ne_u32_e32 vcc, 1, v4
	s_and_saveexec_b64 s[2:3], vcc
	s_xor_b64 s[2:3], exec, s[2:3]
	s_cbranch_execz .LBB330_27
; %bb.26:                               ;   in Loop: Header=BB330_25 Depth=1
	v_add_u32_e32 v7, v58, v8
	v_add_u32_e32 v4, s4, v7
	v_lshl_add_u64 v[22:23], v[4:5], 4, s[8:9]
	v_add_u32_e32 v4, s5, v7
	v_lshl_add_u64 v[26:27], v[4:5], 4, s[8:9]
	v_add_u32_e32 v4, s4, v6
	v_lshl_add_u64 v[28:29], v[4:5], 4, s[8:9]
	global_load_dwordx4 v[10:13], v[28:29], off
	global_load_dwordx4 v[14:17], v[22:23], off
	;; [unrolled: 1-line block ×3, first 2 shown]
	v_add_u32_e32 v4, s5, v6
	v_lshl_add_u64 v[6:7], v[4:5], 4, s[8:9]
	v_subrev_u32_e32 v4, s22, v8
	v_add_u32_e32 v22, v4, v24
	v_ashrrev_i32_e32 v23, 31, v22
	v_add_u32_e32 v4, s4, v22
	v_lshl_add_u64 v[26:27], v[22:23], 4, s[10:11]
	v_lshl_add_u64 v[30:31], v[4:5], 4, s[8:9]
	v_add_u32_e32 v4, s5, v22
	s_waitcnt vmcnt(1)
	v_fma_f64 v[10:11], -v[0:1], v[14:15], v[10:11]
	v_fma_f64 v[12:13], -v[2:3], v[14:15], v[12:13]
	v_fmac_f64_e32 v[10:11], v[2:3], v[16:17]
	v_fma_f64 v[12:13], -v[0:1], v[16:17], v[12:13]
	global_store_dwordx4 v[28:29], v[10:13], off
	global_load_dwordx4 v[10:13], v[6:7], off
	s_nop 0
	global_load_dwordx4 v[26:29], v[26:27], off
	s_waitcnt vmcnt(1)
	v_fma_f64 v[10:11], -v[0:1], v[18:19], v[10:11]
	v_fma_f64 v[12:13], -v[2:3], v[18:19], v[12:13]
	v_fmac_f64_e32 v[10:11], v[2:3], v[20:21]
	v_fma_f64 v[12:13], -v[0:1], v[20:21], v[12:13]
	global_store_dwordx4 v[6:7], v[10:13], off
	global_load_dwordx4 v[0:3], v[30:31], off
	v_lshl_add_u64 v[6:7], v[4:5], 4, s[8:9]
	s_waitcnt vmcnt(0)
	v_fma_f64 v[0:1], -v[26:27], v[14:15], v[0:1]
	v_fma_f64 v[2:3], -v[28:29], v[14:15], v[2:3]
	v_fmac_f64_e32 v[0:1], v[28:29], v[16:17]
	v_fma_f64 v[2:3], -v[26:27], v[16:17], v[2:3]
	global_store_dwordx4 v[30:31], v[0:3], off
	global_load_dwordx4 v[0:3], v[6:7], off
	s_waitcnt vmcnt(0)
	v_fma_f64 v[0:1], -v[26:27], v[18:19], v[0:1]
	v_fma_f64 v[2:3], -v[28:29], v[18:19], v[2:3]
	v_fmac_f64_e32 v[0:1], v[28:29], v[20:21]
	v_fma_f64 v[2:3], -v[26:27], v[20:21], v[2:3]
	global_store_dwordx4 v[6:7], v[0:3], off
                                        ; implicit-def: $vgpr6
                                        ; implicit-def: $vgpr0_vgpr1
.LBB330_27:                             ;   in Loop: Header=BB330_25 Depth=1
	s_or_saveexec_b64 s[2:3], s[2:3]
	v_mov_b32_e32 v4, s12
	s_xor_b64 exec, exec, s[2:3]
	s_cbranch_execz .LBB330_24
; %bb.28:                               ;   in Loop: Header=BB330_25 Depth=1
	v_add_u32_e32 v7, v58, v8
	v_add_u32_e32 v4, s4, v7
	v_lshl_add_u64 v[18:19], v[4:5], 4, s[8:9]
	v_add_u32_e32 v4, s4, v6
	v_lshl_add_u64 v[20:21], v[4:5], 4, s[8:9]
	global_load_dwordx4 v[10:13], v[18:19], off
	global_load_dwordx4 v[14:17], v[20:21], off
	v_add_u32_e32 v4, s5, v7
	v_lshl_add_u64 v[18:19], v[4:5], 4, s[8:9]
	v_add_u32_e32 v4, s5, v6
	v_lshl_add_u64 v[6:7], v[4:5], 4, s[8:9]
	v_mov_b32_e32 v4, s22
	s_waitcnt vmcnt(0)
	v_fma_f64 v[14:15], -v[0:1], v[10:11], v[14:15]
	v_fma_f64 v[10:11], -v[2:3], v[10:11], v[16:17]
	v_fmac_f64_e32 v[14:15], v[2:3], v[12:13]
	v_fma_f64 v[16:17], -v[0:1], v[12:13], v[10:11]
	global_store_dwordx4 v[20:21], v[14:17], off
	global_load_dwordx4 v[10:13], v[18:19], off
	s_nop 0
	global_load_dwordx4 v[14:17], v[6:7], off
	s_waitcnt vmcnt(0)
	v_fma_f64 v[14:15], -v[0:1], v[10:11], v[14:15]
	v_fma_f64 v[10:11], -v[2:3], v[10:11], v[16:17]
	v_fmac_f64_e32 v[14:15], v[2:3], v[12:13]
	v_fma_f64 v[16:17], -v[0:1], v[12:13], v[10:11]
	global_store_dwordx4 v[6:7], v[14:17], off
	s_branch .LBB330_24
.LBB330_29:
	s_endpgm
	.section	.rodata,"a",@progbits
	.p2align	6, 0x0
	.amdhsa_kernel _ZN9rocsparseL19gtsv_LBM_rhs_kernelILj256ELj64ELj2E21rocsparse_complex_numIdEEEviiiPKT2_S5_S5_PS3_S5_PKi
		.amdhsa_group_segment_fixed_size 0
		.amdhsa_private_segment_fixed_size 0
		.amdhsa_kernarg_size 64
		.amdhsa_user_sgpr_count 2
		.amdhsa_user_sgpr_dispatch_ptr 0
		.amdhsa_user_sgpr_queue_ptr 0
		.amdhsa_user_sgpr_kernarg_segment_ptr 1
		.amdhsa_user_sgpr_dispatch_id 0
		.amdhsa_user_sgpr_kernarg_preload_length 0
		.amdhsa_user_sgpr_kernarg_preload_offset 0
		.amdhsa_user_sgpr_private_segment_size 0
		.amdhsa_uses_dynamic_stack 0
		.amdhsa_enable_private_segment 0
		.amdhsa_system_sgpr_workgroup_id_x 1
		.amdhsa_system_sgpr_workgroup_id_y 1
		.amdhsa_system_sgpr_workgroup_id_z 0
		.amdhsa_system_sgpr_workgroup_info 0
		.amdhsa_system_vgpr_workitem_id 0
		.amdhsa_next_free_vgpr 78
		.amdhsa_next_free_sgpr 30
		.amdhsa_accum_offset 80
		.amdhsa_reserve_vcc 1
		.amdhsa_float_round_mode_32 0
		.amdhsa_float_round_mode_16_64 0
		.amdhsa_float_denorm_mode_32 3
		.amdhsa_float_denorm_mode_16_64 3
		.amdhsa_dx10_clamp 1
		.amdhsa_ieee_mode 1
		.amdhsa_fp16_overflow 0
		.amdhsa_tg_split 0
		.amdhsa_exception_fp_ieee_invalid_op 0
		.amdhsa_exception_fp_denorm_src 0
		.amdhsa_exception_fp_ieee_div_zero 0
		.amdhsa_exception_fp_ieee_overflow 0
		.amdhsa_exception_fp_ieee_underflow 0
		.amdhsa_exception_fp_ieee_inexact 0
		.amdhsa_exception_int_div_zero 0
	.end_amdhsa_kernel
	.section	.text._ZN9rocsparseL19gtsv_LBM_rhs_kernelILj256ELj64ELj2E21rocsparse_complex_numIdEEEviiiPKT2_S5_S5_PS3_S5_PKi,"axG",@progbits,_ZN9rocsparseL19gtsv_LBM_rhs_kernelILj256ELj64ELj2E21rocsparse_complex_numIdEEEviiiPKT2_S5_S5_PS3_S5_PKi,comdat
.Lfunc_end330:
	.size	_ZN9rocsparseL19gtsv_LBM_rhs_kernelILj256ELj64ELj2E21rocsparse_complex_numIdEEEviiiPKT2_S5_S5_PS3_S5_PKi, .Lfunc_end330-_ZN9rocsparseL19gtsv_LBM_rhs_kernelILj256ELj64ELj2E21rocsparse_complex_numIdEEEviiiPKT2_S5_S5_PS3_S5_PKi
                                        ; -- End function
	.set _ZN9rocsparseL19gtsv_LBM_rhs_kernelILj256ELj64ELj2E21rocsparse_complex_numIdEEEviiiPKT2_S5_S5_PS3_S5_PKi.num_vgpr, 78
	.set _ZN9rocsparseL19gtsv_LBM_rhs_kernelILj256ELj64ELj2E21rocsparse_complex_numIdEEEviiiPKT2_S5_S5_PS3_S5_PKi.num_agpr, 0
	.set _ZN9rocsparseL19gtsv_LBM_rhs_kernelILj256ELj64ELj2E21rocsparse_complex_numIdEEEviiiPKT2_S5_S5_PS3_S5_PKi.numbered_sgpr, 30
	.set _ZN9rocsparseL19gtsv_LBM_rhs_kernelILj256ELj64ELj2E21rocsparse_complex_numIdEEEviiiPKT2_S5_S5_PS3_S5_PKi.num_named_barrier, 0
	.set _ZN9rocsparseL19gtsv_LBM_rhs_kernelILj256ELj64ELj2E21rocsparse_complex_numIdEEEviiiPKT2_S5_S5_PS3_S5_PKi.private_seg_size, 0
	.set _ZN9rocsparseL19gtsv_LBM_rhs_kernelILj256ELj64ELj2E21rocsparse_complex_numIdEEEviiiPKT2_S5_S5_PS3_S5_PKi.uses_vcc, 1
	.set _ZN9rocsparseL19gtsv_LBM_rhs_kernelILj256ELj64ELj2E21rocsparse_complex_numIdEEEviiiPKT2_S5_S5_PS3_S5_PKi.uses_flat_scratch, 0
	.set _ZN9rocsparseL19gtsv_LBM_rhs_kernelILj256ELj64ELj2E21rocsparse_complex_numIdEEEviiiPKT2_S5_S5_PS3_S5_PKi.has_dyn_sized_stack, 0
	.set _ZN9rocsparseL19gtsv_LBM_rhs_kernelILj256ELj64ELj2E21rocsparse_complex_numIdEEEviiiPKT2_S5_S5_PS3_S5_PKi.has_recursion, 0
	.set _ZN9rocsparseL19gtsv_LBM_rhs_kernelILj256ELj64ELj2E21rocsparse_complex_numIdEEEviiiPKT2_S5_S5_PS3_S5_PKi.has_indirect_call, 0
	.section	.AMDGPU.csdata,"",@progbits
; Kernel info:
; codeLenInByte = 2732
; TotalNumSgprs: 36
; NumVgprs: 78
; NumAgprs: 0
; TotalNumVgprs: 78
; ScratchSize: 0
; MemoryBound: 1
; FloatMode: 240
; IeeeMode: 1
; LDSByteSize: 0 bytes/workgroup (compile time only)
; SGPRBlocks: 4
; VGPRBlocks: 9
; NumSGPRsForWavesPerEU: 36
; NumVGPRsForWavesPerEU: 78
; AccumOffset: 80
; Occupancy: 6
; WaveLimiterHint : 0
; COMPUTE_PGM_RSRC2:SCRATCH_EN: 0
; COMPUTE_PGM_RSRC2:USER_SGPR: 2
; COMPUTE_PGM_RSRC2:TRAP_HANDLER: 0
; COMPUTE_PGM_RSRC2:TGID_X_EN: 1
; COMPUTE_PGM_RSRC2:TGID_Y_EN: 1
; COMPUTE_PGM_RSRC2:TGID_Z_EN: 0
; COMPUTE_PGM_RSRC2:TIDIG_COMP_CNT: 0
; COMPUTE_PGM_RSRC3_GFX90A:ACCUM_OFFSET: 19
; COMPUTE_PGM_RSRC3_GFX90A:TG_SPLIT: 0
	.section	.text._ZN9rocsparseL19gtsv_LBM_rhs_kernelILj256ELj64ELj1E21rocsparse_complex_numIdEEEviiiPKT2_S5_S5_PS3_S5_PKi,"axG",@progbits,_ZN9rocsparseL19gtsv_LBM_rhs_kernelILj256ELj64ELj1E21rocsparse_complex_numIdEEEviiiPKT2_S5_S5_PS3_S5_PKi,comdat
	.globl	_ZN9rocsparseL19gtsv_LBM_rhs_kernelILj256ELj64ELj1E21rocsparse_complex_numIdEEEviiiPKT2_S5_S5_PS3_S5_PKi ; -- Begin function _ZN9rocsparseL19gtsv_LBM_rhs_kernelILj256ELj64ELj1E21rocsparse_complex_numIdEEEviiiPKT2_S5_S5_PS3_S5_PKi
	.p2align	8
	.type	_ZN9rocsparseL19gtsv_LBM_rhs_kernelILj256ELj64ELj1E21rocsparse_complex_numIdEEEviiiPKT2_S5_S5_PS3_S5_PKi,@function
_ZN9rocsparseL19gtsv_LBM_rhs_kernelILj256ELj64ELj1E21rocsparse_complex_numIdEEEviiiPKT2_S5_S5_PS3_S5_PKi: ; @_ZN9rocsparseL19gtsv_LBM_rhs_kernelILj256ELj64ELj1E21rocsparse_complex_numIdEEEviiiPKT2_S5_S5_PS3_S5_PKi
; %bb.0:
	s_load_dword s24, s[0:1], 0x0
	v_lshl_or_b32 v24, s2, 8, v0
	s_waitcnt lgkmcnt(0)
	s_lshr_b32 s22, s24, 6
	v_cmp_gt_i32_e32 vcc, s22, v24
	s_and_saveexec_b64 s[4:5], vcc
	s_cbranch_execz .LBB331_29
; %bb.1:
	s_load_dwordx4 s[8:11], s[0:1], 0x28
	s_load_dwordx2 s[6:7], s[0:1], 0x38
	s_cmp_lt_i32 s24, 1
	s_mul_i32 s23, s24, s3
	s_cbranch_scc1 .LBB331_21
; %bb.2:
	s_load_dwordx4 s[12:15], s[0:1], 0x10
	s_load_dwordx2 s[16:17], s[0:1], 0x20
	v_ashrrev_i32_e32 v25, 31, v24
	v_add_u32_e32 v42, s22, v24
	s_mul_i32 s25, s22, 63
	s_waitcnt lgkmcnt(0)
	v_lshl_add_u64 v[0:1], v[24:25], 4, s[14:15]
	global_load_dwordx4 v[0:3], v[0:1], off
	s_mul_i32 s26, s22, 62
	s_lshl_b32 s27, s22, 1
	v_add_u32_e32 v43, s22, v42
	v_add_u32_e32 v44, s23, v42
	v_mov_b32_e32 v27, 0
	s_mov_b64 s[18:19], 0
	v_mov_b32_e32 v25, 0
	s_branch .LBB331_5
.LBB331_3:                              ;   in Loop: Header=BB331_5 Depth=1
	s_or_b64 exec, exec, s[4:5]
	v_fmac_f64_e32 v[30:31], v[4:5], v[8:9]
	v_fmac_f64_e32 v[28:29], v[6:7], v[8:9]
	v_mul_f64 v[0:1], v[16:17], -v[28:29]
	v_mul_f64 v[2:3], v[16:17], v[30:31]
	v_fmac_f64_e32 v[0:1], v[30:31], v[10:11]
	v_fmac_f64_e32 v[2:3], v[28:29], v[10:11]
	v_add_f64 v[0:1], v[12:13], -v[0:1]
	v_add_f64 v[2:3], v[14:15], -v[2:3]
	v_mov_b32_e32 v10, s22
.LBB331_4:                              ;   in Loop: Header=BB331_5 Depth=1
	s_or_b64 exec, exec, s[2:3]
	v_add_u32_e32 v25, v10, v25
	v_cmp_le_i32_e32 vcc, s24, v25
	s_or_b64 s[18:19], vcc, s[18:19]
	s_andn2_b64 exec, exec, s[18:19]
	s_cbranch_execz .LBB331_20
.LBB331_5:                              ; =>This Inner Loop Header: Depth=1
	v_add_u32_e32 v32, v25, v24
	v_ashrrev_i32_e32 v33, 31, v32
	v_lshl_add_u64 v[4:5], v[32:33], 4, s[16:17]
	global_load_dwordx4 v[8:11], v[4:5], off
	v_cmp_gt_u32_e64 s[0:1], s25, v25
	v_mov_b64_e32 v[12:13], 0
	v_add_u32_e32 v22, v42, v25
	v_mov_b64_e32 v[4:5], 0
	v_mov_b64_e32 v[6:7], 0
	s_and_saveexec_b64 s[2:3], s[0:1]
	s_cbranch_execz .LBB331_7
; %bb.6:                                ;   in Loop: Header=BB331_5 Depth=1
	v_ashrrev_i32_e32 v23, 31, v22
	v_lshl_add_u64 v[4:5], v[22:23], 4, s[12:13]
	global_load_dwordx4 v[4:7], v[4:5], off
.LBB331_7:                              ;   in Loop: Header=BB331_5 Depth=1
	s_or_b64 exec, exec, s[2:3]
	v_mov_b64_e32 v[14:15], 0
	s_and_saveexec_b64 s[2:3], s[0:1]
	s_cbranch_execz .LBB331_9
; %bb.8:                                ;   in Loop: Header=BB331_5 Depth=1
	v_ashrrev_i32_e32 v23, 31, v22
	v_lshl_add_u64 v[12:13], v[22:23], 4, s[14:15]
	global_load_dwordx4 v[12:15], v[12:13], off
.LBB331_9:                              ;   in Loop: Header=BB331_5 Depth=1
	s_or_b64 exec, exec, s[2:3]
	v_mov_b64_e32 v[20:21], 0
	v_mov_b64_e32 v[16:17], 0
	;; [unrolled: 1-line block ×3, first 2 shown]
	s_and_saveexec_b64 s[2:3], s[0:1]
	s_cbranch_execz .LBB331_11
; %bb.10:                               ;   in Loop: Header=BB331_5 Depth=1
	v_ashrrev_i32_e32 v23, 31, v22
	v_lshl_add_u64 v[16:17], v[22:23], 4, s[16:17]
	global_load_dwordx4 v[16:19], v[16:17], off
.LBB331_11:                             ;   in Loop: Header=BB331_5 Depth=1
	s_or_b64 exec, exec, s[2:3]
	v_cmp_gt_u32_e64 s[2:3], s26, v25
	v_mov_b64_e32 v[22:23], 0
	s_and_saveexec_b64 s[4:5], s[2:3]
	s_cbranch_execz .LBB331_13
; %bb.12:                               ;   in Loop: Header=BB331_5 Depth=1
	v_add_u32_e32 v20, v43, v25
	v_ashrrev_i32_e32 v21, 31, v20
	v_lshl_add_u64 v[20:21], v[20:21], 4, s[12:13]
	global_load_dwordx4 v[20:23], v[20:21], off
.LBB331_13:                             ;   in Loop: Header=BB331_5 Depth=1
	s_or_b64 exec, exec, s[4:5]
	v_lshl_add_u64 v[28:29], v[32:33], 2, s[6:7]
	global_load_dword v26, v[28:29], off
	v_cmp_ne_u32_e32 vcc, s25, v25
	s_waitcnt vmcnt(1)
	v_mul_f64 v[30:31], v[10:11], -v[6:7]
	v_mul_f64 v[28:29], v[10:11], v[4:5]
	s_waitcnt vmcnt(0)
	v_cmp_ne_u32_e64 s[4:5], 1, v26
	s_and_b64 s[4:5], vcc, s[4:5]
	v_add_u32_e32 v26, s23, v32
	s_and_saveexec_b64 s[20:21], s[4:5]
	s_xor_b64 s[4:5], exec, s[20:21]
	s_cbranch_execz .LBB331_17
; %bb.14:                               ;   in Loop: Header=BB331_5 Depth=1
	v_lshl_add_u64 v[54:55], v[26:27], 4, s[8:9]
	v_add_u32_e32 v26, v44, v25
	global_load_dwordx4 v[46:49], v[54:55], off
	v_lshl_add_u64 v[56:57], v[26:27], 4, s[8:9]
	global_load_dwordx4 v[50:53], v[56:57], off
	v_mul_f64 v[34:35], v[0:1], v[14:15]
	v_mul_f64 v[32:33], v[14:15], -v[2:3]
	v_fmac_f64_e32 v[28:29], v[6:7], v[8:9]
	v_fmac_f64_e32 v[34:35], v[2:3], v[12:13]
	;; [unrolled: 1-line block ×4, first 2 shown]
	v_add_f64 v[28:29], v[34:35], -v[28:29]
	v_add_f64 v[30:31], v[32:33], -v[30:31]
	v_mul_f64 v[32:33], v[28:29], v[28:29]
	v_fmac_f64_e32 v[32:33], v[30:31], v[30:31]
	v_div_scale_f64 v[36:37], s[20:21], v[32:33], v[32:33], 1.0
	v_rcp_f64_e32 v[38:39], v[36:37]
	v_fma_f64 v[34:35], 0, v[28:29], v[30:31]
	v_fma_f64 v[30:31], v[30:31], 0, -v[28:29]
	v_div_scale_f64 v[28:29], vcc, 1.0, v[32:33], 1.0
	v_fma_f64 v[58:59], -v[36:37], v[38:39], 1.0
	v_fmac_f64_e32 v[38:39], v[38:39], v[58:59]
	v_fma_f64 v[58:59], -v[36:37], v[38:39], 1.0
	v_fmac_f64_e32 v[38:39], v[38:39], v[58:59]
	v_mul_f64 v[58:59], v[28:29], v[38:39]
	v_fma_f64 v[28:29], -v[36:37], v[58:59], v[28:29]
	v_div_fmas_f64 v[28:29], v[28:29], v[38:39], v[58:59]
	v_div_fixup_f64 v[32:33], v[28:29], v[32:33], 1.0
	v_mul_f64 v[30:31], v[30:31], v[32:33]
	v_mul_f64 v[28:29], v[34:35], v[32:33]
	v_mov_b64_e32 v[40:41], 0
	s_waitcnt vmcnt(1)
	v_mul_f64 v[36:37], v[30:31], v[46:47]
	v_mul_f64 v[32:33], v[30:31], -v[48:49]
	v_fmac_f64_e32 v[36:37], v[48:49], v[28:29]
	s_waitcnt vmcnt(0)
	v_mul_f64 v[38:39], v[30:31], v[50:51]
	v_fmac_f64_e32 v[32:33], v[46:47], v[28:29]
	v_mul_f64 v[34:35], v[30:31], -v[52:53]
	v_fmac_f64_e32 v[38:39], v[52:53], v[28:29]
	v_mul_f64 v[46:47], v[36:37], -v[14:15]
	v_mul_f64 v[48:49], v[12:13], v[36:37]
	v_fmac_f64_e32 v[34:35], v[50:51], v[28:29]
	v_fmac_f64_e32 v[46:47], v[12:13], v[32:33]
	;; [unrolled: 1-line block ×3, first 2 shown]
	v_mul_f64 v[12:13], v[38:39], -v[10:11]
	v_mul_f64 v[14:15], v[8:9], v[38:39]
	v_mul_f64 v[50:51], v[6:7], v[36:37]
	v_mul_f64 v[52:53], v[36:37], -v[4:5]
	v_mul_f64 v[58:59], v[38:39], -v[2:3]
	v_mul_f64 v[60:61], v[0:1], v[38:39]
	v_fmac_f64_e32 v[12:13], v[8:9], v[34:35]
	v_fmac_f64_e32 v[14:15], v[10:11], v[34:35]
	v_fma_f64 v[50:51], -v[4:5], v[32:33], v[50:51]
	v_fma_f64 v[52:53], -v[6:7], v[32:33], v[52:53]
	v_fmac_f64_e32 v[58:59], v[0:1], v[34:35]
	v_fmac_f64_e32 v[60:61], v[2:3], v[34:35]
	v_add_f64 v[8:9], v[46:47], -v[12:13]
	v_add_f64 v[10:11], v[48:49], -v[14:15]
	v_add_f64 v[12:13], v[50:51], v[58:59]
	v_add_f64 v[14:15], v[52:53], v[60:61]
	global_store_dwordx4 v[54:55], v[8:11], off
	global_store_dwordx4 v[56:57], v[12:15], off
	s_nop 0
	v_mov_b64_e32 v[8:9], 0
	s_and_saveexec_b64 s[20:21], s[2:3]
	s_cbranch_execz .LBB331_16
; %bb.15:                               ;   in Loop: Header=BB331_5 Depth=1
	v_add_u32_e32 v12, v43, v25
	v_add_u32_e32 v26, s23, v12
	v_lshl_add_u64 v[40:41], v[26:27], 4, s[8:9]
	v_ashrrev_i32_e32 v13, 31, v12
	global_load_dwordx4 v[8:11], v[40:41], off
	v_lshl_add_u64 v[12:13], v[12:13], 4, s[14:15]
	global_load_dwordx4 v[12:15], v[12:13], off
	v_mul_f64 v[46:47], v[6:7], v[22:23]
	v_mul_f64 v[48:49], v[22:23], -v[4:5]
	v_mul_f64 v[50:51], v[22:23], -v[2:3]
	v_mul_f64 v[52:53], v[0:1], v[22:23]
	v_mul_f64 v[54:55], v[2:3], -v[22:23]
	v_mul_f64 v[56:57], v[2:3], v[20:21]
	v_fma_f64 v[4:5], -v[4:5], v[20:21], v[46:47]
	v_fma_f64 v[6:7], -v[6:7], v[20:21], v[48:49]
	v_fmac_f64_e32 v[50:51], v[0:1], v[20:21]
	v_fmac_f64_e32 v[52:53], v[2:3], v[20:21]
	;; [unrolled: 1-line block ×4, first 2 shown]
	v_mul_f64 v[0:1], v[6:7], v[36:37]
	v_mul_f64 v[2:3], v[36:37], -v[4:5]
	v_mul_f64 v[20:21], v[38:39], -v[52:53]
	v_mul_f64 v[22:23], v[50:51], v[38:39]
	v_mul_f64 v[36:37], v[18:19], -v[56:57]
	v_mul_f64 v[18:19], v[18:19], v[54:55]
	v_fma_f64 v[0:1], -v[4:5], v[32:33], v[0:1]
	v_fma_f64 v[2:3], -v[6:7], v[32:33], v[2:3]
	v_fmac_f64_e32 v[20:21], v[50:51], v[34:35]
	v_fmac_f64_e32 v[22:23], v[52:53], v[34:35]
	;; [unrolled: 1-line block ×4, first 2 shown]
	v_add_f64 v[0:1], v[0:1], -v[20:21]
	v_add_f64 v[2:3], v[2:3], -v[22:23]
	v_mul_f64 v[4:5], v[30:31], -v[18:19]
	v_mul_f64 v[6:7], v[30:31], v[36:37]
	v_fmac_f64_e32 v[4:5], v[36:37], v[28:29]
	v_fmac_f64_e32 v[6:7], v[18:19], v[28:29]
	s_waitcnt vmcnt(1)
	v_add_f64 v[0:1], v[0:1], v[8:9]
	v_add_f64 v[2:3], v[2:3], v[10:11]
	s_waitcnt vmcnt(0)
	v_add_f64 v[8:9], v[12:13], -v[4:5]
	global_store_dwordx4 v[40:41], v[0:3], off
	v_add_f64 v[40:41], v[14:15], -v[6:7]
.LBB331_16:                             ;   in Loop: Header=BB331_5 Depth=1
	s_or_b64 exec, exec, s[20:21]
	v_mov_b64_e32 v[2:3], v[40:41]
	v_mov_b64_e32 v[0:1], v[8:9]
                                        ; implicit-def: $vgpr4_vgpr5
                                        ; implicit-def: $vgpr12_vgpr13
                                        ; implicit-def: $vgpr8_vgpr9
                                        ; implicit-def: $vgpr30_vgpr31
                                        ; implicit-def: $vgpr28_vgpr29
.LBB331_17:                             ;   in Loop: Header=BB331_5 Depth=1
	s_or_saveexec_b64 s[2:3], s[4:5]
	v_mov_b32_e32 v10, s27
	s_xor_b64 exec, exec, s[2:3]
	s_cbranch_execz .LBB331_4
; %bb.18:                               ;   in Loop: Header=BB331_5 Depth=1
	v_lshl_add_u64 v[22:23], v[26:27], 4, s[8:9]
	global_load_dwordx4 v[18:21], v[22:23], off
	v_mul_f64 v[10:11], v[2:3], v[2:3]
	v_fmac_f64_e32 v[10:11], v[0:1], v[0:1]
	v_div_scale_f64 v[32:33], s[4:5], v[10:11], v[10:11], 1.0
	v_rcp_f64_e32 v[34:35], v[32:33]
	v_fma_f64 v[16:17], 0, v[2:3], v[0:1]
	v_fma_f64 v[0:1], v[0:1], 0, -v[2:3]
	v_div_scale_f64 v[2:3], vcc, 1.0, v[10:11], 1.0
	v_fma_f64 v[36:37], -v[32:33], v[34:35], 1.0
	v_fmac_f64_e32 v[34:35], v[34:35], v[36:37]
	v_fma_f64 v[36:37], -v[32:33], v[34:35], 1.0
	v_fmac_f64_e32 v[34:35], v[34:35], v[36:37]
	v_mul_f64 v[36:37], v[2:3], v[34:35]
	v_fma_f64 v[2:3], -v[32:33], v[36:37], v[2:3]
	v_div_fmas_f64 v[2:3], v[2:3], v[34:35], v[36:37]
	v_div_fixup_f64 v[2:3], v[2:3], v[10:11], 1.0
	v_mul_f64 v[10:11], v[16:17], v[2:3]
	v_mul_f64 v[16:17], v[0:1], v[2:3]
	s_waitcnt vmcnt(0)
	v_mul_f64 v[0:1], v[16:17], -v[20:21]
	v_mul_f64 v[2:3], v[16:17], v[18:19]
	v_fmac_f64_e32 v[0:1], v[18:19], v[10:11]
	v_fmac_f64_e32 v[2:3], v[20:21], v[10:11]
	global_store_dwordx4 v[22:23], v[0:3], off
	s_and_saveexec_b64 s[4:5], s[0:1]
	s_cbranch_execz .LBB331_3
; %bb.19:                               ;   in Loop: Header=BB331_5 Depth=1
	v_add_u32_e32 v26, v44, v25
	v_lshl_add_u64 v[22:23], v[26:27], 4, s[8:9]
	global_load_dwordx4 v[18:21], v[22:23], off
	s_waitcnt vmcnt(0)
	v_fma_f64 v[18:19], -v[4:5], v[0:1], v[18:19]
	v_fma_f64 v[0:1], -v[6:7], v[0:1], v[20:21]
	v_fmac_f64_e32 v[18:19], v[6:7], v[2:3]
	v_fma_f64 v[20:21], -v[4:5], v[2:3], v[0:1]
	global_store_dwordx4 v[22:23], v[18:21], off
	s_branch .LBB331_3
.LBB331_20:
	s_or_b64 exec, exec, s[18:19]
	s_branch .LBB331_22
.LBB331_21:
	v_mov_b32_e32 v25, 0
.LBB331_22:
	v_subrev_u32_e32 v2, s22, v25
	v_add_u32_e32 v0, v2, v24
	v_ashrrev_i32_e32 v1, 31, v0
	s_waitcnt lgkmcnt(0)
	v_lshl_add_u64 v[0:1], v[0:1], 2, s[6:7]
	buffer_wbl2 sc1
	s_waitcnt vmcnt(0)
	buffer_inv sc1
	global_load_dword v0, v[0:1], off
	s_waitcnt vmcnt(0)
	v_mul_lo_u32 v0, v0, s22
	v_sub_u32_e32 v8, v2, v0
	v_cmp_lt_i32_e32 vcc, -1, v8
	s_and_b64 exec, exec, vcc
	s_cbranch_execz .LBB331_29
; %bb.23:
	s_add_i32 s0, s23, s22
	v_add_u32_e32 v9, s0, v24
	s_lshl_b32 s4, s22, 1
	s_mov_b64 s[0:1], 0
	v_mov_b32_e32 v5, 0
	s_branch .LBB331_25
.LBB331_24:                             ;   in Loop: Header=BB331_25 Depth=1
	s_or_b64 exec, exec, s[2:3]
	v_sub_u32_e32 v8, v8, v4
	v_cmp_gt_i32_e32 vcc, 0, v8
	s_or_b64 s[0:1], vcc, s[0:1]
	s_andn2_b64 exec, exec, s[0:1]
	s_cbranch_execz .LBB331_29
.LBB331_25:                             ; =>This Inner Loop Header: Depth=1
	v_add_u32_e32 v6, v8, v24
	v_ashrrev_i32_e32 v7, 31, v6
	s_waitcnt vmcnt(0)
	v_lshl_add_u64 v[0:1], v[6:7], 2, s[6:7]
	global_load_dword v4, v[0:1], off
	v_lshl_add_u64 v[0:1], v[6:7], 4, s[10:11]
	global_load_dwordx4 v[0:3], v[0:1], off
	s_waitcnt vmcnt(1)
	v_cmp_ne_u32_e32 vcc, 1, v4
	s_and_saveexec_b64 s[2:3], vcc
	s_xor_b64 s[2:3], exec, s[2:3]
	s_cbranch_execz .LBB331_27
; %bb.26:                               ;   in Loop: Header=BB331_25 Depth=1
	v_add_u32_e32 v4, v9, v8
	v_lshl_add_u64 v[18:19], v[4:5], 4, s[8:9]
	v_add_u32_e32 v4, s23, v6
	v_lshl_add_u64 v[6:7], v[4:5], 4, s[8:9]
	global_load_dwordx4 v[10:13], v[18:19], off
	global_load_dwordx4 v[14:17], v[6:7], off
	v_subrev_u32_e32 v4, s22, v8
	v_add_u32_e32 v18, v4, v24
	v_ashrrev_i32_e32 v19, 31, v18
	v_add_u32_e32 v4, s23, v18
	v_lshl_add_u64 v[18:19], v[18:19], 4, s[10:11]
	v_lshl_add_u64 v[22:23], v[4:5], 4, s[8:9]
	global_load_dwordx4 v[18:21], v[18:19], off
	s_waitcnt vmcnt(1)
	v_fma_f64 v[14:15], -v[0:1], v[10:11], v[14:15]
	v_fma_f64 v[16:17], -v[2:3], v[10:11], v[16:17]
	v_fmac_f64_e32 v[14:15], v[2:3], v[12:13]
	v_fma_f64 v[16:17], -v[0:1], v[12:13], v[16:17]
	global_store_dwordx4 v[6:7], v[14:17], off
	global_load_dwordx4 v[0:3], v[22:23], off
                                        ; implicit-def: $vgpr6
	s_waitcnt vmcnt(0)
	v_fma_f64 v[0:1], -v[18:19], v[10:11], v[0:1]
	v_fma_f64 v[2:3], -v[20:21], v[10:11], v[2:3]
	v_fmac_f64_e32 v[0:1], v[20:21], v[12:13]
	v_fma_f64 v[2:3], -v[18:19], v[12:13], v[2:3]
	global_store_dwordx4 v[22:23], v[0:3], off
                                        ; implicit-def: $vgpr0_vgpr1
.LBB331_27:                             ;   in Loop: Header=BB331_25 Depth=1
	s_or_saveexec_b64 s[2:3], s[2:3]
	v_mov_b32_e32 v4, s4
	s_xor_b64 exec, exec, s[2:3]
	s_cbranch_execz .LBB331_24
; %bb.28:                               ;   in Loop: Header=BB331_25 Depth=1
	v_add_u32_e32 v4, v9, v8
	v_lshl_add_u64 v[18:19], v[4:5], 4, s[8:9]
	v_add_u32_e32 v4, s23, v6
	v_lshl_add_u64 v[6:7], v[4:5], 4, s[8:9]
	global_load_dwordx4 v[10:13], v[18:19], off
	global_load_dwordx4 v[14:17], v[6:7], off
	v_mov_b32_e32 v4, s22
	s_waitcnt vmcnt(0)
	v_fma_f64 v[14:15], -v[0:1], v[10:11], v[14:15]
	v_fma_f64 v[10:11], -v[2:3], v[10:11], v[16:17]
	v_fmac_f64_e32 v[14:15], v[2:3], v[12:13]
	v_fma_f64 v[16:17], -v[0:1], v[12:13], v[10:11]
	global_store_dwordx4 v[6:7], v[14:17], off
	s_branch .LBB331_24
.LBB331_29:
	s_endpgm
	.section	.rodata,"a",@progbits
	.p2align	6, 0x0
	.amdhsa_kernel _ZN9rocsparseL19gtsv_LBM_rhs_kernelILj256ELj64ELj1E21rocsparse_complex_numIdEEEviiiPKT2_S5_S5_PS3_S5_PKi
		.amdhsa_group_segment_fixed_size 0
		.amdhsa_private_segment_fixed_size 0
		.amdhsa_kernarg_size 64
		.amdhsa_user_sgpr_count 2
		.amdhsa_user_sgpr_dispatch_ptr 0
		.amdhsa_user_sgpr_queue_ptr 0
		.amdhsa_user_sgpr_kernarg_segment_ptr 1
		.amdhsa_user_sgpr_dispatch_id 0
		.amdhsa_user_sgpr_kernarg_preload_length 0
		.amdhsa_user_sgpr_kernarg_preload_offset 0
		.amdhsa_user_sgpr_private_segment_size 0
		.amdhsa_uses_dynamic_stack 0
		.amdhsa_enable_private_segment 0
		.amdhsa_system_sgpr_workgroup_id_x 1
		.amdhsa_system_sgpr_workgroup_id_y 1
		.amdhsa_system_sgpr_workgroup_id_z 0
		.amdhsa_system_sgpr_workgroup_info 0
		.amdhsa_system_vgpr_workitem_id 0
		.amdhsa_next_free_vgpr 62
		.amdhsa_next_free_sgpr 28
		.amdhsa_accum_offset 64
		.amdhsa_reserve_vcc 1
		.amdhsa_float_round_mode_32 0
		.amdhsa_float_round_mode_16_64 0
		.amdhsa_float_denorm_mode_32 3
		.amdhsa_float_denorm_mode_16_64 3
		.amdhsa_dx10_clamp 1
		.amdhsa_ieee_mode 1
		.amdhsa_fp16_overflow 0
		.amdhsa_tg_split 0
		.amdhsa_exception_fp_ieee_invalid_op 0
		.amdhsa_exception_fp_denorm_src 0
		.amdhsa_exception_fp_ieee_div_zero 0
		.amdhsa_exception_fp_ieee_overflow 0
		.amdhsa_exception_fp_ieee_underflow 0
		.amdhsa_exception_fp_ieee_inexact 0
		.amdhsa_exception_int_div_zero 0
	.end_amdhsa_kernel
	.section	.text._ZN9rocsparseL19gtsv_LBM_rhs_kernelILj256ELj64ELj1E21rocsparse_complex_numIdEEEviiiPKT2_S5_S5_PS3_S5_PKi,"axG",@progbits,_ZN9rocsparseL19gtsv_LBM_rhs_kernelILj256ELj64ELj1E21rocsparse_complex_numIdEEEviiiPKT2_S5_S5_PS3_S5_PKi,comdat
.Lfunc_end331:
	.size	_ZN9rocsparseL19gtsv_LBM_rhs_kernelILj256ELj64ELj1E21rocsparse_complex_numIdEEEviiiPKT2_S5_S5_PS3_S5_PKi, .Lfunc_end331-_ZN9rocsparseL19gtsv_LBM_rhs_kernelILj256ELj64ELj1E21rocsparse_complex_numIdEEEviiiPKT2_S5_S5_PS3_S5_PKi
                                        ; -- End function
	.set _ZN9rocsparseL19gtsv_LBM_rhs_kernelILj256ELj64ELj1E21rocsparse_complex_numIdEEEviiiPKT2_S5_S5_PS3_S5_PKi.num_vgpr, 62
	.set _ZN9rocsparseL19gtsv_LBM_rhs_kernelILj256ELj64ELj1E21rocsparse_complex_numIdEEEviiiPKT2_S5_S5_PS3_S5_PKi.num_agpr, 0
	.set _ZN9rocsparseL19gtsv_LBM_rhs_kernelILj256ELj64ELj1E21rocsparse_complex_numIdEEEviiiPKT2_S5_S5_PS3_S5_PKi.numbered_sgpr, 28
	.set _ZN9rocsparseL19gtsv_LBM_rhs_kernelILj256ELj64ELj1E21rocsparse_complex_numIdEEEviiiPKT2_S5_S5_PS3_S5_PKi.num_named_barrier, 0
	.set _ZN9rocsparseL19gtsv_LBM_rhs_kernelILj256ELj64ELj1E21rocsparse_complex_numIdEEEviiiPKT2_S5_S5_PS3_S5_PKi.private_seg_size, 0
	.set _ZN9rocsparseL19gtsv_LBM_rhs_kernelILj256ELj64ELj1E21rocsparse_complex_numIdEEEviiiPKT2_S5_S5_PS3_S5_PKi.uses_vcc, 1
	.set _ZN9rocsparseL19gtsv_LBM_rhs_kernelILj256ELj64ELj1E21rocsparse_complex_numIdEEEviiiPKT2_S5_S5_PS3_S5_PKi.uses_flat_scratch, 0
	.set _ZN9rocsparseL19gtsv_LBM_rhs_kernelILj256ELj64ELj1E21rocsparse_complex_numIdEEEviiiPKT2_S5_S5_PS3_S5_PKi.has_dyn_sized_stack, 0
	.set _ZN9rocsparseL19gtsv_LBM_rhs_kernelILj256ELj64ELj1E21rocsparse_complex_numIdEEEviiiPKT2_S5_S5_PS3_S5_PKi.has_recursion, 0
	.set _ZN9rocsparseL19gtsv_LBM_rhs_kernelILj256ELj64ELj1E21rocsparse_complex_numIdEEEviiiPKT2_S5_S5_PS3_S5_PKi.has_indirect_call, 0
	.section	.AMDGPU.csdata,"",@progbits
; Kernel info:
; codeLenInByte = 1980
; TotalNumSgprs: 34
; NumVgprs: 62
; NumAgprs: 0
; TotalNumVgprs: 62
; ScratchSize: 0
; MemoryBound: 1
; FloatMode: 240
; IeeeMode: 1
; LDSByteSize: 0 bytes/workgroup (compile time only)
; SGPRBlocks: 4
; VGPRBlocks: 7
; NumSGPRsForWavesPerEU: 34
; NumVGPRsForWavesPerEU: 62
; AccumOffset: 64
; Occupancy: 8
; WaveLimiterHint : 0
; COMPUTE_PGM_RSRC2:SCRATCH_EN: 0
; COMPUTE_PGM_RSRC2:USER_SGPR: 2
; COMPUTE_PGM_RSRC2:TRAP_HANDLER: 0
; COMPUTE_PGM_RSRC2:TGID_X_EN: 1
; COMPUTE_PGM_RSRC2:TGID_Y_EN: 1
; COMPUTE_PGM_RSRC2:TGID_Z_EN: 0
; COMPUTE_PGM_RSRC2:TIDIG_COMP_CNT: 0
; COMPUTE_PGM_RSRC3_GFX90A:ACCUM_OFFSET: 15
; COMPUTE_PGM_RSRC3_GFX90A:TG_SPLIT: 0
	.section	.text._ZN9rocsparseL29gtsv_spike_block_level_kernelILj256ELj64E21rocsparse_complex_numIdEEEviiiPT1_PKS3_S6_S4_S4_S4_S4_S4_,"axG",@progbits,_ZN9rocsparseL29gtsv_spike_block_level_kernelILj256ELj64E21rocsparse_complex_numIdEEEviiiPT1_PKS3_S6_S4_S4_S4_S4_S4_,comdat
	.globl	_ZN9rocsparseL29gtsv_spike_block_level_kernelILj256ELj64E21rocsparse_complex_numIdEEEviiiPT1_PKS3_S6_S4_S4_S4_S4_S4_ ; -- Begin function _ZN9rocsparseL29gtsv_spike_block_level_kernelILj256ELj64E21rocsparse_complex_numIdEEEviiiPT1_PKS3_S6_S4_S4_S4_S4_S4_
	.p2align	8
	.type	_ZN9rocsparseL29gtsv_spike_block_level_kernelILj256ELj64E21rocsparse_complex_numIdEEEviiiPT1_PKS3_S6_S4_S4_S4_S4_S4_,@function
_ZN9rocsparseL29gtsv_spike_block_level_kernelILj256ELj64E21rocsparse_complex_numIdEEEviiiPT1_PKS3_S6_S4_S4_S4_S4_S4_: ; @_ZN9rocsparseL29gtsv_spike_block_level_kernelILj256ELj64E21rocsparse_complex_numIdEEEviiiPT1_PKS3_S6_S4_S4_S4_S4_S4_
; %bb.0:
	s_load_dword s12, s[0:1], 0x0
	s_load_dwordx2 s[8:9], s[0:1], 0x18
	v_lshl_or_b32 v6, s2, 8, v0
	v_mov_b64_e32 v[2:3], 0
	v_mov_b64_e32 v[12:13], 0
	s_waitcnt lgkmcnt(0)
	s_lshr_b32 s20, s12, 6
	v_cmp_gt_i32_e64 s[4:5], s20, v6
	v_mov_b64_e32 v[14:15], 0
	s_and_saveexec_b64 s[6:7], s[4:5]
	s_cbranch_execz .LBB332_2
; %bb.1:
	v_ashrrev_i32_e32 v7, 31, v6
	v_lshl_add_u64 v[4:5], v[6:7], 4, s[8:9]
	global_load_dwordx4 v[12:15], v[4:5], off
.LBB332_2:
	s_or_b64 exec, exec, s[6:7]
	s_load_dwordx2 s[6:7], s[0:1], 0x20
	v_lshlrev_b32_e32 v1, 4, v0
	v_or_b32_e32 v10, 0x2000, v1
	v_mov_b64_e32 v[4:5], 0
	s_waitcnt vmcnt(0)
	ds_write_b128 v1, v[12:15] offset:8192
	s_and_saveexec_b64 s[10:11], s[4:5]
	s_cbranch_execz .LBB332_4
; %bb.3:
	v_mad_u64_u32 v[2:3], s[14:15], s20, 63, v[6:7]
	v_mov_b32_e32 v3, 0
	v_lshl_add_u64 v[2:3], v[2:3], 4, s[8:9]
	global_load_dwordx4 v[2:5], v[2:3], off
.LBB332_4:
	s_or_b64 exec, exec, s[10:11]
	s_waitcnt vmcnt(0)
	ds_write_b128 v10, v[2:5] offset:4096
	v_mov_b64_e32 v[2:3], 0
	v_mov_b64_e32 v[12:13], 0
	;; [unrolled: 1-line block ×3, first 2 shown]
	s_and_saveexec_b64 s[8:9], s[4:5]
	s_cbranch_execz .LBB332_6
; %bb.5:
	v_ashrrev_i32_e32 v7, 31, v6
	s_waitcnt lgkmcnt(0)
	v_lshl_add_u64 v[4:5], v[6:7], 4, s[6:7]
	global_load_dwordx4 v[12:15], v[4:5], off
.LBB332_6:
	s_or_b64 exec, exec, s[8:9]
	s_load_dwordx2 s[16:17], s[0:1], 0x10
	v_mov_b64_e32 v[4:5], 0
	s_waitcnt vmcnt(0)
	ds_write_b128 v1, v[12:15]
	s_and_saveexec_b64 s[8:9], s[4:5]
	s_cbranch_execz .LBB332_8
; %bb.7:
	v_mad_u64_u32 v[2:3], s[10:11], s20, 63, v[6:7]
	v_mov_b32_e32 v3, 0
	s_waitcnt lgkmcnt(0)
	v_lshl_add_u64 v[2:3], v[2:3], 4, s[6:7]
	global_load_dwordx4 v[2:5], v[2:3], off
.LBB332_8:
	s_or_b64 exec, exec, s[8:9]
	s_mul_i32 s14, s12, s3
	s_waitcnt vmcnt(0)
	ds_write_b128 v1, v[2:5] offset:4096
	v_mov_b64_e32 v[2:3], 0
	v_add_u32_e32 v8, s14, v6
	v_mov_b64_e32 v[12:13], 0
	v_mov_b64_e32 v[14:15], 0
	s_waitcnt lgkmcnt(0)
	s_and_saveexec_b64 s[6:7], s[4:5]
	s_cbranch_execz .LBB332_10
; %bb.9:
	v_ashrrev_i32_e32 v9, 31, v8
	v_lshl_add_u64 v[4:5], v[8:9], 4, s[16:17]
	global_load_dwordx4 v[12:15], v[4:5], off
.LBB332_10:
	s_or_b64 exec, exec, s[6:7]
	s_load_dwordx2 s[6:7], s[0:1], 0x48
	s_load_dwordx4 s[8:11], s[0:1], 0x38
	v_or_b32_e32 v9, 0x4000, v1
	s_mul_i32 s21, s20, 63
	v_mov_b64_e32 v[4:5], 0
	s_waitcnt vmcnt(0)
	ds_write_b128 v1, v[12:15] offset:16384
	s_and_saveexec_b64 s[12:13], s[4:5]
	s_cbranch_execz .LBB332_12
; %bb.11:
	s_mul_i32 s15, s20, 63
	s_add_i32 s15, s15, s14
	v_add_u32_e32 v2, s15, v6
	v_mov_b32_e32 v3, 0
	v_lshl_add_u64 v[2:3], v[2:3], 4, s[16:17]
	global_load_dwordx4 v[2:5], v[2:3], off
.LBB332_12:
	s_or_b64 exec, exec, s[12:13]
	s_load_dwordx4 s[12:15], s[0:1], 0x28
	v_add_u32_e32 v13, 0x1000, v10
	v_or_b32_e32 v12, 0x1000, v1
	v_add_u32_e32 v11, 0x1000, v9
	s_mov_b32 s22, 2
	s_waitcnt vmcnt(0)
	ds_write_b128 v9, v[2:5] offset:4096
	s_waitcnt lgkmcnt(0)
	s_barrier
	s_branch .LBB332_14
.LBB332_13:                             ;   in Loop: Header=BB332_14 Depth=1
	s_or_b64 exec, exec, s[18:19]
	s_lshl_b32 s18, s22, 1
	s_cmpk_lt_u32 s22, 0x81
	s_mov_b32 s22, s18
	s_waitcnt lgkmcnt(0)
	s_barrier
	s_cbranch_scc0 .LBB332_16
.LBB332_14:                             ; =>This Inner Loop Header: Depth=1
	s_ff1_i32_b32 s18, s22
	s_lshr_b32 s18, 0x100, s18
	v_cmp_gt_u32_e32 vcc, s18, v0
	s_and_saveexec_b64 s[18:19], vcc
	s_cbranch_execz .LBB332_13
; %bb.15:                               ;   in Loop: Header=BB332_14 Depth=1
	v_mul_lo_u32 v7, s22, v0
	s_lshr_b32 s23, s22, 1
	v_add_u32_e32 v46, s23, v7
	v_lshlrev_b32_e32 v47, 4, v46
	ds_read_b128 v[14:17], v47 offset:8192
	ds_read_b128 v[2:5], v47 offset:4080
	ds_read_b128 v[18:21], v47
	ds_read_b128 v[22:25], v47 offset:12272
	v_lshlrev_b32_e32 v7, 4, v7
	v_add_lshl_u32 v46, v46, s23, 4
	s_waitcnt lgkmcnt(2)
	v_mul_f64 v[28:29], v[4:5], v[14:15]
	v_mul_f64 v[26:27], v[4:5], -v[16:17]
	v_fmac_f64_e32 v[28:29], v[16:17], v[2:3]
	v_fmac_f64_e32 v[26:27], v[14:15], v[2:3]
	v_add_f64 v[36:37], -v[28:29], 0
	v_add_f64 v[34:35], -v[26:27], 1.0
	v_mul_f64 v[26:27], v[36:37], v[36:37]
	v_fmac_f64_e32 v[26:27], v[34:35], v[34:35]
	v_div_scale_f64 v[28:29], s[24:25], v[26:27], v[26:27], 1.0
	v_rcp_f64_e32 v[30:31], v[28:29]
	v_fma_f64 v[40:41], 0, v[36:37], v[34:35]
	v_fma_f64 v[34:35], v[34:35], 0, -v[36:37]
	v_fma_f64 v[32:33], -v[28:29], v[30:31], 1.0
	v_fmac_f64_e32 v[30:31], v[30:31], v[32:33]
	v_fma_f64 v[32:33], -v[28:29], v[30:31], 1.0
	v_fmac_f64_e32 v[30:31], v[30:31], v[32:33]
	v_div_scale_f64 v[32:33], vcc, 1.0, v[26:27], 1.0
	v_mul_f64 v[38:39], v[32:33], v[30:31]
	v_fma_f64 v[28:29], -v[28:29], v[38:39], v[32:33]
	s_nop 1
	v_div_fmas_f64 v[28:29], v[28:29], v[30:31], v[38:39]
	v_div_fixup_f64 v[38:39], v[28:29], v[26:27], 1.0
	ds_read_b128 v[26:29], v47 offset:20464
	ds_read_b128 v[30:33], v47 offset:16384
	v_mul_f64 v[44:45], v[34:35], v[38:39]
	v_mul_f64 v[42:43], v[40:41], v[38:39]
	s_waitcnt lgkmcnt(0)
	v_mul_f64 v[34:35], v[32:33], -v[4:5]
	v_mul_f64 v[36:37], v[2:3], v[32:33]
	v_fmac_f64_e32 v[34:35], v[2:3], v[30:31]
	v_fmac_f64_e32 v[36:37], v[4:5], v[30:31]
	v_add_f64 v[38:39], v[26:27], -v[34:35]
	v_add_f64 v[40:41], v[28:29], -v[36:37]
	v_mul_f64 v[34:35], v[44:45], -v[40:41]
	v_mul_f64 v[36:37], v[44:45], v[38:39]
	v_fmac_f64_e32 v[34:35], v[38:39], v[42:43]
	v_fmac_f64_e32 v[36:37], v[40:41], v[42:43]
	ds_write_b128 v47, v[34:37] offset:20464
	v_mul_f64 v[34:35], v[16:17], -v[28:29]
	v_fmac_f64_e32 v[34:35], v[26:27], v[14:15]
	v_mul_f64 v[26:27], v[16:17], v[26:27]
	v_fmac_f64_e32 v[26:27], v[28:29], v[14:15]
	v_add_f64 v[28:29], v[30:31], -v[34:35]
	v_add_f64 v[30:31], v[32:33], -v[26:27]
	v_mul_f64 v[26:27], v[44:45], -v[30:31]
	v_fmac_f64_e32 v[26:27], v[28:29], v[42:43]
	v_mul_f64 v[28:29], v[28:29], v[44:45]
	v_mul_f64 v[38:39], v[16:17], -v[24:25]
	v_mul_f64 v[16:17], v[16:17], v[22:23]
	v_fmac_f64_e32 v[28:29], v[30:31], v[42:43]
	ds_read_b128 v[30:33], v7
	v_fmac_f64_e32 v[16:17], v[24:25], v[14:15]
	v_fmac_f64_e32 v[38:39], v[22:23], v[14:15]
	v_mul_f64 v[14:15], v[44:45], v[16:17]
	v_mul_f64 v[16:17], v[16:17], -v[42:43]
	v_fma_f64 v[14:15], -v[42:43], v[38:39], v[14:15]
	v_fma_f64 v[16:17], -v[44:45], v[38:39], v[16:17]
	v_mul_f64 v[38:39], v[24:25], -v[44:45]
	v_mul_f64 v[40:41], v[42:43], v[24:25]
	v_fmac_f64_e32 v[38:39], v[42:43], v[22:23]
	v_fmac_f64_e32 v[40:41], v[44:45], v[22:23]
	ds_read_b128 v[34:37], v46 offset:12272
	ds_write_b128 v47, v[14:17] offset:8192
	ds_write_b128 v47, v[38:41] offset:12272
	ds_read_b128 v[22:25], v7 offset:8192
	s_waitcnt lgkmcnt(4)
	v_mul_f64 v[38:39], v[28:29], -v[32:33]
	v_fmac_f64_e32 v[38:39], v[30:31], v[26:27]
	v_mul_f64 v[30:31], v[28:29], v[30:31]
	v_mul_f64 v[40:41], v[2:3], v[20:21]
	ds_write_b128 v47, v[26:29] offset:16384
	v_fmac_f64_e32 v[30:31], v[32:33], v[26:27]
	v_mul_f64 v[32:33], v[20:21], -v[4:5]
	v_fmac_f64_e32 v[40:41], v[4:5], v[18:19]
	ds_read_b128 v[26:29], v7 offset:16384
	v_fmac_f64_e32 v[32:33], v[2:3], v[18:19]
	v_mul_f64 v[2:3], v[44:45], v[40:41]
	v_mul_f64 v[4:5], v[40:41], -v[42:43]
	v_fma_f64 v[2:3], -v[42:43], v[32:33], v[2:3]
	v_fma_f64 v[4:5], -v[44:45], v[32:33], v[4:5]
	ds_write_b128 v47, v[2:5] offset:4080
	v_mul_f64 v[2:3], v[20:21], -v[44:45]
	v_mul_f64 v[4:5], v[42:43], v[20:21]
	v_fmac_f64_e32 v[2:3], v[42:43], v[18:19]
	v_fmac_f64_e32 v[4:5], v[44:45], v[18:19]
	ds_write_b128 v47, v[2:5]
	ds_read_b128 v[18:21], v7
	s_waitcnt lgkmcnt(3)
	v_add_f64 v[26:27], v[26:27], -v[38:39]
	v_add_f64 v[28:29], v[28:29], -v[30:31]
	ds_write_b128 v7, v[26:29] offset:16384
	ds_read_b128 v[26:29], v47 offset:20464
	s_waitcnt lgkmcnt(2)
	v_mul_f64 v[30:31], v[4:5], v[20:21]
	v_mul_f64 v[4:5], v[4:5], -v[18:19]
	v_fma_f64 v[30:31], -v[18:19], v[2:3], v[30:31]
	v_fma_f64 v[32:33], -v[20:21], v[2:3], v[4:5]
	ds_write_b128 v7, v[30:33]
	s_waitcnt lgkmcnt(1)
	v_mul_f64 v[30:31], v[28:29], -v[36:37]
	v_fmac_f64_e32 v[30:31], v[34:35], v[26:27]
	v_mul_f64 v[32:33], v[28:29], v[34:35]
	v_mul_f64 v[34:35], v[16:17], -v[20:21]
	v_mul_f64 v[16:17], v[16:17], v[18:19]
	v_fmac_f64_e32 v[34:35], v[18:19], v[14:15]
	v_fmac_f64_e32 v[16:17], v[20:21], v[14:15]
	ds_read_b128 v[2:5], v46 offset:4080
	v_fmac_f64_e32 v[32:33], v[36:37], v[26:27]
	ds_read_b128 v[26:29], v46 offset:20464
	v_add_f64 v[14:15], v[22:23], -v[34:35]
	v_add_f64 v[16:17], v[24:25], -v[16:17]
	ds_write_b128 v7, v[14:17] offset:8192
	ds_read_b128 v[14:17], v46 offset:12272
	ds_read_b128 v[18:21], v47 offset:4080
	s_waitcnt lgkmcnt(3)
	v_add_f64 v[22:23], v[26:27], -v[30:31]
	v_add_f64 v[24:25], v[28:29], -v[32:33]
	ds_write_b128 v46, v[22:25] offset:20464
	ds_read_b128 v[22:25], v47 offset:12272
	s_waitcnt lgkmcnt(2)
	v_mul_f64 v[26:27], v[16:17], -v[20:21]
	v_fmac_f64_e32 v[26:27], v[18:19], v[14:15]
	v_mul_f64 v[18:19], v[16:17], v[18:19]
	v_fmac_f64_e32 v[18:19], v[20:21], v[14:15]
	v_add_f64 v[2:3], v[2:3], -v[26:27]
	v_add_f64 v[4:5], v[4:5], -v[18:19]
	ds_write_b128 v46, v[2:5] offset:4080
	s_waitcnt lgkmcnt(1)
	v_mul_f64 v[2:3], v[16:17], v[24:25]
	v_mul_f64 v[4:5], v[24:25], -v[14:15]
	v_fma_f64 v[2:3], -v[14:15], v[22:23], v[2:3]
	v_fma_f64 v[4:5], -v[16:17], v[22:23], v[4:5]
	ds_write_b128 v46, v[2:5] offset:12272
	s_branch .LBB332_13
.LBB332_16:
	s_and_saveexec_b64 s[18:19], s[4:5]
	s_cbranch_execnz .LBB332_19
; %bb.17:
	s_or_b64 exec, exec, s[18:19]
	v_cmp_eq_u32_e32 vcc, 0, v0
	s_and_saveexec_b64 s[4:5], vcc
	s_cbranch_execnz .LBB332_23
.LBB332_18:
	s_endpgm
.LBB332_19:
	s_cmp_eq_u32 s3, 0
	s_cbranch_scc1 .LBB332_27
; %bb.20:
	s_mul_i32 s20, s20, 63
	s_cbranch_execnz .LBB332_22
.LBB332_21:
	ds_read2_b64 v[2:5], v10 offset1:1
	ds_read2_b64 v[14:17], v13 offset1:1
	v_ashrrev_i32_e32 v7, 31, v6
	v_lshlrev_b64 v[22:23], 4, v[6:7]
	v_lshl_add_u64 v[18:19], s[12:13], 0, v[22:23]
	s_waitcnt lgkmcnt(1)
	global_store_dwordx4 v[18:19], v[2:5], off
	ds_read2_b64 v[18:21], v12 offset1:1
	v_lshl_add_u64 v[12:13], s[14:15], 0, v[22:23]
	v_add_u32_e32 v2, s21, v6
	v_mov_b32_e32 v3, 0
	v_lshlrev_b64 v[6:7], 4, v[2:3]
	ds_read2_b64 v[2:5], v1 offset1:1
	v_lshl_add_u64 v[24:25], s[12:13], 0, v[6:7]
	s_mov_b32 s20, s21
	s_waitcnt lgkmcnt(2)
	global_store_dwordx4 v[24:25], v[14:17], off
	s_waitcnt lgkmcnt(0)
	global_store_dwordx4 v[12:13], v[2:5], off
	s_nop 1
	v_lshl_add_u64 v[2:3], s[14:15], 0, v[6:7]
	global_store_dwordx4 v[2:3], v[18:21], off
.LBB332_22:
	ds_read2_b64 v[2:5], v9 offset1:1
	ds_read2_b64 v[10:13], v11 offset1:1
	v_ashrrev_i32_e32 v9, 31, v8
	v_add_u32_e32 v6, s20, v8
	v_lshl_add_u64 v[8:9], v[8:9], 4, s[16:17]
	v_mov_b32_e32 v7, 0
	s_waitcnt lgkmcnt(1)
	global_store_dwordx4 v[8:9], v[2:5], off
	s_nop 1
	v_lshl_add_u64 v[2:3], v[6:7], 4, s[16:17]
	s_waitcnt lgkmcnt(0)
	global_store_dwordx4 v[2:3], v[10:13], off
	s_or_b64 exec, exec, s[18:19]
	v_cmp_eq_u32_e32 vcc, 0, v0
	s_and_saveexec_b64 s[4:5], vcc
	s_cbranch_execz .LBB332_18
.LBB332_23:
	s_cmp_eq_u32 s3, 0
	s_cbranch_scc1 .LBB332_28
; %bb.24:
	s_load_dword s12, s[0:1], 0x50
	s_cbranch_execnz .LBB332_26
.LBB332_25:
	v_mov_b32_e32 v8, 0
	ds_read_b128 v[0:3], v8 offset:8192
	ds_read_b128 v[4:7], v8 offset:16368
	s_waitcnt lgkmcnt(0)
	s_load_dword s12, s[0:1], 0x50
	s_mov_b32 s4, s3
	s_ashr_i32 s3, s2, 31
	s_lshl_b64 s[14:15], s[2:3], 4
	s_add_u32 s0, s10, s14
	s_addc_u32 s1, s11, s15
	global_store_dwordx4 v8, v[0:3], s[0:1]
	s_waitcnt lgkmcnt(0)
	s_add_i32 s0, s12, s2
	s_mov_b32 s1, 0
	s_lshl_b64 s[0:1], s[0:1], 4
	s_mov_b32 s3, s4
	s_add_u32 s4, s10, s0
	s_addc_u32 s5, s11, s1
	ds_read_b128 v[0:3], v8
	global_store_dwordx4 v8, v[4:7], s[4:5]
	ds_read_b128 v[4:7], v8 offset:8176
	s_add_u32 s4, s6, s14
	s_addc_u32 s5, s7, s15
	s_add_u32 s0, s6, s0
	s_addc_u32 s1, s7, s1
	s_waitcnt lgkmcnt(1)
	global_store_dwordx4 v8, v[0:3], s[4:5]
	s_waitcnt lgkmcnt(0)
	global_store_dwordx4 v8, v[4:7], s[0:1]
.LBB332_26:
	s_waitcnt lgkmcnt(0)
	s_mul_i32 s0, s12, s3
	s_lshl_b32 s0, s0, 1
	s_add_i32 s0, s0, s2
	s_mov_b32 s1, 0
	v_mov_b32_e32 v8, 0
	s_lshl_b64 s[2:3], s[0:1], 4
	ds_read_b128 v[0:3], v8 offset:16384
	ds_read_b128 v[4:7], v8 offset:24560
	s_add_u32 s2, s8, s2
	s_addc_u32 s3, s9, s3
	s_add_i32 s0, s0, s12
	s_lshl_b64 s[0:1], s[0:1], 4
	s_add_u32 s0, s8, s0
	s_addc_u32 s1, s9, s1
	s_waitcnt lgkmcnt(1)
	global_store_dwordx4 v8, v[0:3], s[2:3]
	s_waitcnt lgkmcnt(0)
	global_store_dwordx4 v8, v[4:7], s[0:1]
	s_endpgm
.LBB332_27:
                                        ; implicit-def: $sgpr20
	s_branch .LBB332_21
.LBB332_28:
                                        ; implicit-def: $sgpr12
	s_branch .LBB332_25
	.section	.rodata,"a",@progbits
	.p2align	6, 0x0
	.amdhsa_kernel _ZN9rocsparseL29gtsv_spike_block_level_kernelILj256ELj64E21rocsparse_complex_numIdEEEviiiPT1_PKS3_S6_S4_S4_S4_S4_S4_
		.amdhsa_group_segment_fixed_size 24576
		.amdhsa_private_segment_fixed_size 0
		.amdhsa_kernarg_size 336
		.amdhsa_user_sgpr_count 2
		.amdhsa_user_sgpr_dispatch_ptr 0
		.amdhsa_user_sgpr_queue_ptr 0
		.amdhsa_user_sgpr_kernarg_segment_ptr 1
		.amdhsa_user_sgpr_dispatch_id 0
		.amdhsa_user_sgpr_kernarg_preload_length 0
		.amdhsa_user_sgpr_kernarg_preload_offset 0
		.amdhsa_user_sgpr_private_segment_size 0
		.amdhsa_uses_dynamic_stack 0
		.amdhsa_enable_private_segment 0
		.amdhsa_system_sgpr_workgroup_id_x 1
		.amdhsa_system_sgpr_workgroup_id_y 1
		.amdhsa_system_sgpr_workgroup_id_z 0
		.amdhsa_system_sgpr_workgroup_info 0
		.amdhsa_system_vgpr_workitem_id 0
		.amdhsa_next_free_vgpr 73
		.amdhsa_next_free_sgpr 91
		.amdhsa_accum_offset 48
		.amdhsa_reserve_vcc 1
		.amdhsa_float_round_mode_32 0
		.amdhsa_float_round_mode_16_64 0
		.amdhsa_float_denorm_mode_32 3
		.amdhsa_float_denorm_mode_16_64 3
		.amdhsa_dx10_clamp 1
		.amdhsa_ieee_mode 1
		.amdhsa_fp16_overflow 0
		.amdhsa_tg_split 0
		.amdhsa_exception_fp_ieee_invalid_op 0
		.amdhsa_exception_fp_denorm_src 0
		.amdhsa_exception_fp_ieee_div_zero 0
		.amdhsa_exception_fp_ieee_overflow 0
		.amdhsa_exception_fp_ieee_underflow 0
		.amdhsa_exception_fp_ieee_inexact 0
		.amdhsa_exception_int_div_zero 0
	.end_amdhsa_kernel
	.section	.text._ZN9rocsparseL29gtsv_spike_block_level_kernelILj256ELj64E21rocsparse_complex_numIdEEEviiiPT1_PKS3_S6_S4_S4_S4_S4_S4_,"axG",@progbits,_ZN9rocsparseL29gtsv_spike_block_level_kernelILj256ELj64E21rocsparse_complex_numIdEEEviiiPT1_PKS3_S6_S4_S4_S4_S4_S4_,comdat
.Lfunc_end332:
	.size	_ZN9rocsparseL29gtsv_spike_block_level_kernelILj256ELj64E21rocsparse_complex_numIdEEEviiiPT1_PKS3_S6_S4_S4_S4_S4_S4_, .Lfunc_end332-_ZN9rocsparseL29gtsv_spike_block_level_kernelILj256ELj64E21rocsparse_complex_numIdEEEviiiPT1_PKS3_S6_S4_S4_S4_S4_S4_
                                        ; -- End function
	.set _ZN9rocsparseL29gtsv_spike_block_level_kernelILj256ELj64E21rocsparse_complex_numIdEEEviiiPT1_PKS3_S6_S4_S4_S4_S4_S4_.num_vgpr, 48
	.set _ZN9rocsparseL29gtsv_spike_block_level_kernelILj256ELj64E21rocsparse_complex_numIdEEEviiiPT1_PKS3_S6_S4_S4_S4_S4_S4_.num_agpr, 0
	.set _ZN9rocsparseL29gtsv_spike_block_level_kernelILj256ELj64E21rocsparse_complex_numIdEEEviiiPT1_PKS3_S6_S4_S4_S4_S4_S4_.numbered_sgpr, 26
	.set _ZN9rocsparseL29gtsv_spike_block_level_kernelILj256ELj64E21rocsparse_complex_numIdEEEviiiPT1_PKS3_S6_S4_S4_S4_S4_S4_.num_named_barrier, 0
	.set _ZN9rocsparseL29gtsv_spike_block_level_kernelILj256ELj64E21rocsparse_complex_numIdEEEviiiPT1_PKS3_S6_S4_S4_S4_S4_S4_.private_seg_size, 0
	.set _ZN9rocsparseL29gtsv_spike_block_level_kernelILj256ELj64E21rocsparse_complex_numIdEEEviiiPT1_PKS3_S6_S4_S4_S4_S4_S4_.uses_vcc, 1
	.set _ZN9rocsparseL29gtsv_spike_block_level_kernelILj256ELj64E21rocsparse_complex_numIdEEEviiiPT1_PKS3_S6_S4_S4_S4_S4_S4_.uses_flat_scratch, 0
	.set _ZN9rocsparseL29gtsv_spike_block_level_kernelILj256ELj64E21rocsparse_complex_numIdEEEviiiPT1_PKS3_S6_S4_S4_S4_S4_S4_.has_dyn_sized_stack, 0
	.set _ZN9rocsparseL29gtsv_spike_block_level_kernelILj256ELj64E21rocsparse_complex_numIdEEEviiiPT1_PKS3_S6_S4_S4_S4_S4_S4_.has_recursion, 0
	.set _ZN9rocsparseL29gtsv_spike_block_level_kernelILj256ELj64E21rocsparse_complex_numIdEEEviiiPT1_PKS3_S6_S4_S4_S4_S4_S4_.has_indirect_call, 0
	.section	.AMDGPU.csdata,"",@progbits
; Kernel info:
; codeLenInByte = 2088
; TotalNumSgprs: 32
; NumVgprs: 48
; NumAgprs: 0
; TotalNumVgprs: 48
; ScratchSize: 0
; MemoryBound: 1
; FloatMode: 240
; IeeeMode: 1
; LDSByteSize: 24576 bytes/workgroup (compile time only)
; SGPRBlocks: 12
; VGPRBlocks: 9
; NumSGPRsForWavesPerEU: 97
; NumVGPRsForWavesPerEU: 73
; AccumOffset: 48
; Occupancy: 6
; WaveLimiterHint : 0
; COMPUTE_PGM_RSRC2:SCRATCH_EN: 0
; COMPUTE_PGM_RSRC2:USER_SGPR: 2
; COMPUTE_PGM_RSRC2:TRAP_HANDLER: 0
; COMPUTE_PGM_RSRC2:TGID_X_EN: 1
; COMPUTE_PGM_RSRC2:TGID_Y_EN: 1
; COMPUTE_PGM_RSRC2:TGID_Z_EN: 0
; COMPUTE_PGM_RSRC2:TIDIG_COMP_CNT: 0
; COMPUTE_PGM_RSRC3_GFX90A:ACCUM_OFFSET: 11
; COMPUTE_PGM_RSRC3_GFX90A:TG_SPLIT: 0
	.section	.text._ZN9rocsparseL33gtsv_solve_spike_propagate_kernelILj256ELj64E21rocsparse_complex_numIdEEEviiiPT1_PKS3_S6_S6_,"axG",@progbits,_ZN9rocsparseL33gtsv_solve_spike_propagate_kernelILj256ELj64E21rocsparse_complex_numIdEEEviiiPT1_PKS3_S6_S6_,comdat
	.globl	_ZN9rocsparseL33gtsv_solve_spike_propagate_kernelILj256ELj64E21rocsparse_complex_numIdEEEviiiPT1_PKS3_S6_S6_ ; -- Begin function _ZN9rocsparseL33gtsv_solve_spike_propagate_kernelILj256ELj64E21rocsparse_complex_numIdEEEviiiPT1_PKS3_S6_S6_
	.p2align	8
	.type	_ZN9rocsparseL33gtsv_solve_spike_propagate_kernelILj256ELj64E21rocsparse_complex_numIdEEEviiiPT1_PKS3_S6_S6_,@function
_ZN9rocsparseL33gtsv_solve_spike_propagate_kernelILj256ELj64E21rocsparse_complex_numIdEEEviiiPT1_PKS3_S6_S6_: ; @_ZN9rocsparseL33gtsv_solve_spike_propagate_kernelILj256ELj64E21rocsparse_complex_numIdEEEviiiPT1_PKS3_S6_S6_
; %bb.0:
	s_load_dword s8, s[0:1], 0x0
	v_lshl_or_b32 v2, s2, 8, v0
	v_lshlrev_b32_e32 v4, 4, v0
	s_waitcnt lgkmcnt(0)
	s_lshr_b32 s20, s8, 6
	v_cmp_gt_i32_e32 vcc, s20, v2
	v_cmp_le_i32_e64 s[4:5], s20, v2
	s_and_saveexec_b64 s[6:7], s[4:5]
	s_xor_b64 s[6:7], exec, s[6:7]
; %bb.1:
	v_mov_b32_e32 v6, 0
	v_mov_b32_e32 v7, v6
	;; [unrolled: 1-line block ×4, first 2 shown]
	ds_write_b128 v4, v[6:9] offset:16416
; %bb.2:
	s_or_saveexec_b64 s[6:7], s[6:7]
	v_mov_b64_e32 v[6:7], 0
	v_ashrrev_i32_e32 v3, 31, v2
	v_mov_b64_e32 v[8:9], 0
	s_xor_b64 exec, exec, s[6:7]
	s_cbranch_execz .LBB333_4
; %bb.3:
	s_load_dwordx2 s[10:11], s[0:1], 0x18
	v_mad_u64_u32 v[6:7], s[12:13], s20, 63, v[2:3]
	v_mov_b32_e32 v7, 0
	s_waitcnt lgkmcnt(0)
	v_lshl_add_u64 v[14:15], v[2:3], 4, s[10:11]
	v_lshl_add_u64 v[16:17], v[6:7], 4, s[10:11]
	global_load_dwordx4 v[10:13], v[14:15], off
	global_load_dwordx4 v[6:9], v[16:17], off
	s_waitcnt vmcnt(1)
	ds_write_b128 v4, v[10:13] offset:16416
.LBB333_4:
	s_or_b64 exec, exec, s[6:7]
	s_waitcnt vmcnt(0)
	ds_write_b128 v4, v[6:9] offset:20512
	s_and_saveexec_b64 s[6:7], s[4:5]
	s_xor_b64 s[4:5], exec, s[6:7]
; %bb.5:
	v_mov_b32_e32 v6, 0
	v_mov_b32_e32 v7, v6
	;; [unrolled: 1-line block ×4, first 2 shown]
	ds_write_b128 v4, v[6:9] offset:8224
; %bb.6:
	s_or_saveexec_b64 s[4:5], s[4:5]
	s_load_dwordx2 s[6:7], s[0:1], 0x10
	v_mov_b64_e32 v[8:9], 0
	v_mov_b64_e32 v[10:11], 0
	;; [unrolled: 1-line block ×3, first 2 shown]
	s_xor_b64 exec, exec, s[4:5]
	s_cbranch_execz .LBB333_8
; %bb.7:
	s_load_dwordx2 s[10:11], s[0:1], 0x20
	v_mad_u64_u32 v[6:7], s[12:13], s20, 63, v[2:3]
	v_mov_b32_e32 v7, 0
	s_waitcnt lgkmcnt(0)
	v_lshl_add_u64 v[18:19], v[2:3], 4, s[10:11]
	v_lshl_add_u64 v[6:7], v[6:7], 4, s[10:11]
	global_load_dwordx4 v[14:17], v[18:19], off
	global_load_dwordx4 v[10:13], v[6:7], off
	s_waitcnt vmcnt(1)
	ds_write_b128 v4, v[14:17] offset:8224
.LBB333_8:
	s_or_b64 exec, exec, s[4:5]
	s_mul_i32 s8, s8, s3
	v_mov_b64_e32 v[6:7], 0
	s_waitcnt vmcnt(0)
	ds_write_b128 v4, v[10:13] offset:12320
	s_and_saveexec_b64 s[4:5], vcc
	s_cbranch_execz .LBB333_10
; %bb.9:
	s_mul_i32 s9, s20, 63
	s_add_i32 s9, s9, s8
	v_add_u32_e32 v6, s9, v2
	v_mov_b32_e32 v7, 0
	s_waitcnt lgkmcnt(0)
	v_lshl_add_u64 v[6:7], v[6:7], 4, s[6:7]
	global_load_dwordx4 v[6:9], v[6:7], off
.LBB333_10:
	s_or_b64 exec, exec, s[4:5]
	s_waitcnt vmcnt(0)
	ds_write_b128 v4, v[6:9] offset:16
	v_mov_b64_e32 v[8:9], 0
	v_add_u32_e32 v2, s8, v2
	v_mov_b64_e32 v[6:7], 0
	s_and_saveexec_b64 s[4:5], vcc
	s_cbranch_execz .LBB333_12
; %bb.11:
	v_ashrrev_i32_e32 v3, 31, v2
	s_waitcnt lgkmcnt(0)
	v_lshl_add_u64 v[6:7], v[2:3], 4, s[6:7]
	global_load_dwordx4 v[6:9], v[6:7], off
.LBB333_12:
	s_or_b64 exec, exec, s[4:5]
	v_cmp_eq_u32_e64 s[4:5], 0, v0
	s_waitcnt vmcnt(0)
	ds_write_b128 v4, v[6:9] offset:4112
	s_waitcnt lgkmcnt(0)
	s_barrier
	s_and_saveexec_b64 s[16:17], s[4:5]
	s_cbranch_execz .LBB333_18
; %bb.13:
	s_load_dword s21, s[0:1], 0x30
	s_load_dwordx2 s[18:19], s[0:1], 0x28
	s_cmp_lt_i32 s2, 1
	s_mov_b64 s[10:11], 0
	s_mov_b64 s[14:15], 0
	s_waitcnt lgkmcnt(0)
	s_mul_i32 s3, s3, s21
	s_mov_b64 s[12:13], 0
	s_cbranch_scc1 .LBB333_15
; %bb.14:
	s_lshl_b32 s0, s3, 1
	s_add_i32 s1, s2, s21
	s_add_i32 s0, s1, s0
	s_add_i32 s0, s0, -1
	s_mov_b32 s1, 0
	s_lshl_b64 s[0:1], s[0:1], 4
	s_add_u32 s0, s18, s0
	s_addc_u32 s1, s19, s1
	s_load_dwordx4 s[12:15], s[0:1], 0x0
.LBB333_15:
	s_add_i32 s0, s21, -1
	s_waitcnt lgkmcnt(0)
	v_mov_b32_e32 v6, s12
	v_mov_b32_e32 v7, s13
	;; [unrolled: 1-line block ×5, first 2 shown]
	s_cmp_ge_u32 s2, s0
	s_mov_b64 s[8:9], 0
	ds_write_b128 v1, v[6:9]
	s_cbranch_scc1 .LBB333_17
; %bb.16:
	s_lshl_b32 s0, s3, 1
	s_add_i32 s0, s2, s0
	s_add_i32 s0, s0, 1
	s_mov_b32 s1, 0
	s_lshl_b64 s[0:1], s[0:1], 4
	s_add_u32 s0, s18, s0
	s_addc_u32 s1, s19, s1
	s_load_dwordx4 s[8:11], s[0:1], 0x0
.LBB333_17:
	s_lshl_b32 s0, s3, 1
	s_add_i32 s0, s0, s2
	s_mov_b32 s1, 0
	s_lshl_b64 s[2:3], s[0:1], 4
	s_add_u32 s2, s18, s2
	s_addc_u32 s3, s19, s3
	s_add_i32 s0, s0, s21
	s_lshl_b64 s[0:1], s[0:1], 4
	s_add_u32 s0, s18, s0
	s_addc_u32 s1, s19, s1
	global_load_dwordx4 v[6:9], v1, s[2:3]
	global_load_dwordx4 v[10:13], v1, s[0:1]
	s_waitcnt lgkmcnt(0)
	v_mov_b32_e32 v14, s8
	v_mov_b32_e32 v15, s9
	;; [unrolled: 1-line block ×4, first 2 shown]
	ds_write_b128 v1, v[14:17] offset:8208
	s_waitcnt vmcnt(1)
	ds_write_b128 v1, v[6:9] offset:4112
	s_waitcnt vmcnt(0)
	ds_write_b128 v1, v[10:13] offset:4096
.LBB333_18:
	s_or_b64 exec, exec, s[16:17]
	v_add_u32_e32 v1, 16, v4
	v_add_u32_e32 v3, 0x1010, v4
	s_waitcnt lgkmcnt(0)
	s_barrier
	s_and_saveexec_b64 s[0:1], s[4:5]
	s_cbranch_execz .LBB333_20
; %bb.19:
	v_mov_b32_e32 v34, 0
	ds_read_b128 v[4:7], v34 offset:8208
	ds_read_b128 v[8:11], v34 offset:14352
	ds_read_b128 v[12:15], v34 offset:2048
	ds_read_b128 v[16:19], v34 offset:10272
	ds_read_b128 v[20:23], v34 offset:6160
	ds_read_b128 v[24:27], v34
	ds_read_b128 v[28:31], v34 offset:22544
	s_waitcnt lgkmcnt(5)
	v_mul_f64 v[32:33], v[6:7], -v[10:11]
	v_fmac_f64_e32 v[32:33], v[8:9], v[4:5]
	v_mul_f64 v[8:9], v[6:7], v[8:9]
	v_fmac_f64_e32 v[8:9], v[10:11], v[4:5]
	s_waitcnt lgkmcnt(4)
	v_add_f64 v[12:13], v[12:13], -v[32:33]
	s_waitcnt lgkmcnt(0)
	v_mul_f64 v[32:33], v[26:27], -v[30:31]
	v_add_f64 v[14:15], v[14:15], -v[8:9]
	ds_read_b128 v[8:11], v34 offset:18464
	v_fmac_f64_e32 v[32:33], v[28:29], v[24:25]
	v_mul_f64 v[28:29], v[26:27], v[28:29]
	v_fmac_f64_e32 v[28:29], v[30:31], v[24:25]
	v_add_f64 v[12:13], v[12:13], -v[32:33]
	v_add_f64 v[14:15], v[14:15], -v[28:29]
	ds_write_b128 v34, v[12:15] offset:2048
	v_mul_f64 v[12:13], v[6:7], -v[18:19]
	v_fmac_f64_e32 v[12:13], v[16:17], v[4:5]
	v_mul_f64 v[6:7], v[6:7], v[16:17]
	v_fmac_f64_e32 v[6:7], v[18:19], v[4:5]
	v_add_f64 v[4:5], v[20:21], -v[12:13]
	s_waitcnt lgkmcnt(1)
	v_mul_f64 v[12:13], v[26:27], -v[10:11]
	v_fmac_f64_e32 v[12:13], v[8:9], v[24:25]
	v_mul_f64 v[8:9], v[26:27], v[8:9]
	v_add_f64 v[6:7], v[22:23], -v[6:7]
	v_fmac_f64_e32 v[8:9], v[10:11], v[24:25]
	v_add_f64 v[4:5], v[4:5], -v[12:13]
	v_add_f64 v[6:7], v[6:7], -v[8:9]
	ds_write_b128 v34, v[4:7] offset:6160
.LBB333_20:
	s_or_b64 exec, exec, s[0:1]
	v_cmp_gt_u32_e64 s[0:1], 2, v0
	s_waitcnt lgkmcnt(0)
	s_barrier
	s_and_saveexec_b64 s[2:3], s[0:1]
	s_cbranch_execz .LBB333_22
; %bb.21:
	v_lshlrev_b32_e32 v34, 11, v0
	ds_read_b128 v[4:7], v34 offset:6160
	ds_read_b128 v[8:11], v34 offset:13328
	ds_read_b128 v[12:15], v34 offset:1024
	ds_read_b128 v[16:19], v34 offset:9248
	ds_read_b128 v[20:23], v34 offset:5136
	ds_read_b128 v[24:27], v34
	ds_read_b128 v[28:31], v34 offset:21520
	s_waitcnt lgkmcnt(5)
	v_mul_f64 v[32:33], v[6:7], -v[10:11]
	v_fmac_f64_e32 v[32:33], v[8:9], v[4:5]
	v_mul_f64 v[8:9], v[6:7], v[8:9]
	v_fmac_f64_e32 v[8:9], v[10:11], v[4:5]
	s_waitcnt lgkmcnt(4)
	v_add_f64 v[12:13], v[12:13], -v[32:33]
	s_waitcnt lgkmcnt(0)
	v_mul_f64 v[32:33], v[26:27], -v[30:31]
	v_add_f64 v[14:15], v[14:15], -v[8:9]
	ds_read_b128 v[8:11], v34 offset:17440
	v_fmac_f64_e32 v[32:33], v[28:29], v[24:25]
	v_mul_f64 v[28:29], v[26:27], v[28:29]
	v_fmac_f64_e32 v[28:29], v[30:31], v[24:25]
	v_add_f64 v[12:13], v[12:13], -v[32:33]
	v_add_f64 v[14:15], v[14:15], -v[28:29]
	ds_write_b128 v34, v[12:15] offset:1024
	v_mul_f64 v[12:13], v[6:7], -v[18:19]
	v_fmac_f64_e32 v[12:13], v[16:17], v[4:5]
	v_mul_f64 v[6:7], v[6:7], v[16:17]
	v_fmac_f64_e32 v[6:7], v[18:19], v[4:5]
	v_add_f64 v[4:5], v[20:21], -v[12:13]
	s_waitcnt lgkmcnt(1)
	v_mul_f64 v[12:13], v[26:27], -v[10:11]
	v_fmac_f64_e32 v[12:13], v[8:9], v[24:25]
	v_mul_f64 v[8:9], v[26:27], v[8:9]
	v_add_f64 v[6:7], v[22:23], -v[6:7]
	v_fmac_f64_e32 v[8:9], v[10:11], v[24:25]
	v_add_f64 v[4:5], v[4:5], -v[12:13]
	v_add_f64 v[6:7], v[6:7], -v[8:9]
	ds_write_b128 v34, v[4:7] offset:5136
.LBB333_22:
	s_or_b64 exec, exec, s[2:3]
	v_cmp_gt_u32_e64 s[0:1], 4, v0
	s_waitcnt lgkmcnt(0)
	s_barrier
	s_and_saveexec_b64 s[2:3], s[0:1]
	s_cbranch_execz .LBB333_24
; %bb.23:
	v_lshlrev_b32_e32 v34, 10, v0
	ds_read_b128 v[4:7], v34 offset:5136
	ds_read_b128 v[8:11], v34 offset:12816
	ds_read_b128 v[12:15], v34 offset:512
	ds_read_b128 v[16:19], v34 offset:8736
	ds_read_b128 v[20:23], v34 offset:4624
	ds_read_b128 v[24:27], v34
	ds_read_b128 v[28:31], v34 offset:21008
	s_waitcnt lgkmcnt(5)
	v_mul_f64 v[32:33], v[6:7], -v[10:11]
	v_fmac_f64_e32 v[32:33], v[8:9], v[4:5]
	v_mul_f64 v[8:9], v[6:7], v[8:9]
	v_fmac_f64_e32 v[8:9], v[10:11], v[4:5]
	s_waitcnt lgkmcnt(4)
	v_add_f64 v[12:13], v[12:13], -v[32:33]
	s_waitcnt lgkmcnt(0)
	v_mul_f64 v[32:33], v[26:27], -v[30:31]
	v_add_f64 v[14:15], v[14:15], -v[8:9]
	ds_read_b128 v[8:11], v34 offset:16928
	v_fmac_f64_e32 v[32:33], v[28:29], v[24:25]
	v_mul_f64 v[28:29], v[26:27], v[28:29]
	v_fmac_f64_e32 v[28:29], v[30:31], v[24:25]
	v_add_f64 v[12:13], v[12:13], -v[32:33]
	v_add_f64 v[14:15], v[14:15], -v[28:29]
	ds_write_b128 v34, v[12:15] offset:512
	v_mul_f64 v[12:13], v[6:7], -v[18:19]
	v_fmac_f64_e32 v[12:13], v[16:17], v[4:5]
	v_mul_f64 v[6:7], v[6:7], v[16:17]
	v_fmac_f64_e32 v[6:7], v[18:19], v[4:5]
	v_add_f64 v[4:5], v[20:21], -v[12:13]
	s_waitcnt lgkmcnt(1)
	v_mul_f64 v[12:13], v[26:27], -v[10:11]
	v_fmac_f64_e32 v[12:13], v[8:9], v[24:25]
	v_mul_f64 v[8:9], v[26:27], v[8:9]
	v_add_f64 v[6:7], v[22:23], -v[6:7]
	v_fmac_f64_e32 v[8:9], v[10:11], v[24:25]
	v_add_f64 v[4:5], v[4:5], -v[12:13]
	v_add_f64 v[6:7], v[6:7], -v[8:9]
	ds_write_b128 v34, v[4:7] offset:4624
.LBB333_24:
	;; [unrolled: 47-line block ×5, first 2 shown]
	s_or_b64 exec, exec, s[2:3]
	v_cmp_gt_u32_e64 s[0:1], 64, v0
	s_waitcnt lgkmcnt(0)
	s_barrier
	s_and_saveexec_b64 s[2:3], s[0:1]
	s_cbranch_execz .LBB333_32
; %bb.31:
	v_lshlrev_b32_e32 v34, 6, v0
	ds_read_b128 v[4:7], v34 offset:4176
	ds_read_b128 v[8:11], v34 offset:12336
	;; [unrolled: 1-line block ×4, first 2 shown]
	ds_read_b128 v[20:23], v34
	ds_read_b128 v[24:27], v34 offset:32
	ds_read_b128 v[28:31], v34 offset:20528
	s_waitcnt lgkmcnt(5)
	v_mul_f64 v[32:33], v[6:7], -v[10:11]
	v_fmac_f64_e32 v[32:33], v[8:9], v[4:5]
	v_mul_f64 v[8:9], v[6:7], v[8:9]
	v_fmac_f64_e32 v[8:9], v[10:11], v[4:5]
	s_waitcnt lgkmcnt(1)
	v_add_f64 v[24:25], v[24:25], -v[32:33]
	v_add_f64 v[26:27], v[26:27], -v[8:9]
	ds_read_b128 v[8:11], v34 offset:16448
	s_waitcnt lgkmcnt(1)
	v_mul_f64 v[32:33], v[22:23], -v[30:31]
	v_fmac_f64_e32 v[32:33], v[28:29], v[20:21]
	v_mul_f64 v[28:29], v[22:23], v[28:29]
	v_fmac_f64_e32 v[28:29], v[30:31], v[20:21]
	v_add_f64 v[24:25], v[24:25], -v[32:33]
	v_add_f64 v[26:27], v[26:27], -v[28:29]
	ds_write_b128 v34, v[24:27] offset:32
	v_mul_f64 v[24:25], v[6:7], -v[14:15]
	v_fmac_f64_e32 v[24:25], v[12:13], v[4:5]
	v_mul_f64 v[6:7], v[6:7], v[12:13]
	s_waitcnt lgkmcnt(1)
	v_mul_f64 v[12:13], v[22:23], -v[10:11]
	v_fmac_f64_e32 v[6:7], v[14:15], v[4:5]
	v_fmac_f64_e32 v[12:13], v[8:9], v[20:21]
	v_mul_f64 v[8:9], v[22:23], v[8:9]
	v_add_f64 v[4:5], v[16:17], -v[24:25]
	v_add_f64 v[6:7], v[18:19], -v[6:7]
	v_fmac_f64_e32 v[8:9], v[10:11], v[20:21]
	v_add_f64 v[4:5], v[4:5], -v[12:13]
	v_add_f64 v[6:7], v[6:7], -v[8:9]
	ds_write_b128 v34, v[4:7] offset:4144
.LBB333_32:
	s_or_b64 exec, exec, s[2:3]
	s_movk_i32 s0, 0x80
	v_cmp_gt_u32_e64 s[0:1], s0, v0
	s_waitcnt lgkmcnt(0)
	s_barrier
	s_and_saveexec_b64 s[2:3], s[0:1]
	s_cbranch_execz .LBB333_34
; %bb.33:
	v_lshlrev_b32_e32 v0, 5, v0
	ds_read_b128 v[4:7], v0 offset:4144
	ds_read_b128 v[8:11], v0 offset:12320
	;; [unrolled: 1-line block ×4, first 2 shown]
	ds_read_b128 v[20:23], v0
	ds_read_b128 v[24:27], v0 offset:16
	ds_read_b128 v[28:31], v0 offset:20512
	s_waitcnt lgkmcnt(5)
	v_mul_f64 v[32:33], v[6:7], -v[10:11]
	v_fmac_f64_e32 v[32:33], v[8:9], v[4:5]
	v_mul_f64 v[8:9], v[6:7], v[8:9]
	v_fmac_f64_e32 v[8:9], v[10:11], v[4:5]
	s_waitcnt lgkmcnt(1)
	v_add_f64 v[24:25], v[24:25], -v[32:33]
	v_add_f64 v[26:27], v[26:27], -v[8:9]
	ds_read_b128 v[8:11], v0 offset:16432
	s_waitcnt lgkmcnt(1)
	v_mul_f64 v[32:33], v[22:23], -v[30:31]
	v_fmac_f64_e32 v[32:33], v[28:29], v[20:21]
	v_mul_f64 v[28:29], v[22:23], v[28:29]
	v_fmac_f64_e32 v[28:29], v[30:31], v[20:21]
	v_add_f64 v[24:25], v[24:25], -v[32:33]
	v_add_f64 v[26:27], v[26:27], -v[28:29]
	ds_write_b128 v0, v[24:27] offset:16
	v_mul_f64 v[24:25], v[6:7], -v[14:15]
	v_fmac_f64_e32 v[24:25], v[12:13], v[4:5]
	v_mul_f64 v[6:7], v[6:7], v[12:13]
	s_waitcnt lgkmcnt(1)
	v_mul_f64 v[12:13], v[22:23], -v[10:11]
	v_fmac_f64_e32 v[6:7], v[14:15], v[4:5]
	v_fmac_f64_e32 v[12:13], v[8:9], v[20:21]
	v_mul_f64 v[8:9], v[22:23], v[8:9]
	v_add_f64 v[4:5], v[16:17], -v[24:25]
	v_add_f64 v[6:7], v[18:19], -v[6:7]
	v_fmac_f64_e32 v[8:9], v[10:11], v[20:21]
	v_add_f64 v[4:5], v[4:5], -v[12:13]
	v_add_f64 v[6:7], v[6:7], -v[8:9]
	ds_write_b128 v0, v[4:7] offset:4128
.LBB333_34:
	s_or_b64 exec, exec, s[2:3]
	s_waitcnt lgkmcnt(0)
	s_barrier
	s_and_saveexec_b64 s[0:1], vcc
	s_cbranch_execz .LBB333_36
; %bb.35:
	ds_read2_b64 v[4:7], v3 offset1:1
	ds_read2_b64 v[8:11], v1 offset1:1
	v_ashrrev_i32_e32 v3, 31, v2
	v_lshl_add_u64 v[0:1], v[2:3], 4, s[6:7]
	s_waitcnt lgkmcnt(1)
	global_store_dwordx4 v[0:1], v[4:7], off
	v_mad_u64_u32 v[0:1], s[0:1], s20, 63, v[2:3]
	v_mov_b32_e32 v1, 0
	v_lshl_add_u64 v[0:1], v[0:1], 4, s[6:7]
	s_waitcnt lgkmcnt(0)
	global_store_dwordx4 v[0:1], v[8:11], off
.LBB333_36:
	s_endpgm
	.section	.rodata,"a",@progbits
	.p2align	6, 0x0
	.amdhsa_kernel _ZN9rocsparseL33gtsv_solve_spike_propagate_kernelILj256ELj64E21rocsparse_complex_numIdEEEviiiPT1_PKS3_S6_S6_
		.amdhsa_group_segment_fixed_size 24608
		.amdhsa_private_segment_fixed_size 0
		.amdhsa_kernarg_size 304
		.amdhsa_user_sgpr_count 2
		.amdhsa_user_sgpr_dispatch_ptr 0
		.amdhsa_user_sgpr_queue_ptr 0
		.amdhsa_user_sgpr_kernarg_segment_ptr 1
		.amdhsa_user_sgpr_dispatch_id 0
		.amdhsa_user_sgpr_kernarg_preload_length 0
		.amdhsa_user_sgpr_kernarg_preload_offset 0
		.amdhsa_user_sgpr_private_segment_size 0
		.amdhsa_uses_dynamic_stack 0
		.amdhsa_enable_private_segment 0
		.amdhsa_system_sgpr_workgroup_id_x 1
		.amdhsa_system_sgpr_workgroup_id_y 1
		.amdhsa_system_sgpr_workgroup_id_z 0
		.amdhsa_system_sgpr_workgroup_info 0
		.amdhsa_system_vgpr_workitem_id 0
		.amdhsa_next_free_vgpr 73
		.amdhsa_next_free_sgpr 91
		.amdhsa_accum_offset 36
		.amdhsa_reserve_vcc 1
		.amdhsa_float_round_mode_32 0
		.amdhsa_float_round_mode_16_64 0
		.amdhsa_float_denorm_mode_32 3
		.amdhsa_float_denorm_mode_16_64 3
		.amdhsa_dx10_clamp 1
		.amdhsa_ieee_mode 1
		.amdhsa_fp16_overflow 0
		.amdhsa_tg_split 0
		.amdhsa_exception_fp_ieee_invalid_op 0
		.amdhsa_exception_fp_denorm_src 0
		.amdhsa_exception_fp_ieee_div_zero 0
		.amdhsa_exception_fp_ieee_overflow 0
		.amdhsa_exception_fp_ieee_underflow 0
		.amdhsa_exception_fp_ieee_inexact 0
		.amdhsa_exception_int_div_zero 0
	.end_amdhsa_kernel
	.section	.text._ZN9rocsparseL33gtsv_solve_spike_propagate_kernelILj256ELj64E21rocsparse_complex_numIdEEEviiiPT1_PKS3_S6_S6_,"axG",@progbits,_ZN9rocsparseL33gtsv_solve_spike_propagate_kernelILj256ELj64E21rocsparse_complex_numIdEEEviiiPT1_PKS3_S6_S6_,comdat
.Lfunc_end333:
	.size	_ZN9rocsparseL33gtsv_solve_spike_propagate_kernelILj256ELj64E21rocsparse_complex_numIdEEEviiiPT1_PKS3_S6_S6_, .Lfunc_end333-_ZN9rocsparseL33gtsv_solve_spike_propagate_kernelILj256ELj64E21rocsparse_complex_numIdEEEviiiPT1_PKS3_S6_S6_
                                        ; -- End function
	.set _ZN9rocsparseL33gtsv_solve_spike_propagate_kernelILj256ELj64E21rocsparse_complex_numIdEEEviiiPT1_PKS3_S6_S6_.num_vgpr, 35
	.set _ZN9rocsparseL33gtsv_solve_spike_propagate_kernelILj256ELj64E21rocsparse_complex_numIdEEEviiiPT1_PKS3_S6_S6_.num_agpr, 0
	.set _ZN9rocsparseL33gtsv_solve_spike_propagate_kernelILj256ELj64E21rocsparse_complex_numIdEEEviiiPT1_PKS3_S6_S6_.numbered_sgpr, 22
	.set _ZN9rocsparseL33gtsv_solve_spike_propagate_kernelILj256ELj64E21rocsparse_complex_numIdEEEviiiPT1_PKS3_S6_S6_.num_named_barrier, 0
	.set _ZN9rocsparseL33gtsv_solve_spike_propagate_kernelILj256ELj64E21rocsparse_complex_numIdEEEviiiPT1_PKS3_S6_S6_.private_seg_size, 0
	.set _ZN9rocsparseL33gtsv_solve_spike_propagate_kernelILj256ELj64E21rocsparse_complex_numIdEEEviiiPT1_PKS3_S6_S6_.uses_vcc, 1
	.set _ZN9rocsparseL33gtsv_solve_spike_propagate_kernelILj256ELj64E21rocsparse_complex_numIdEEEviiiPT1_PKS3_S6_S6_.uses_flat_scratch, 0
	.set _ZN9rocsparseL33gtsv_solve_spike_propagate_kernelILj256ELj64E21rocsparse_complex_numIdEEEviiiPT1_PKS3_S6_S6_.has_dyn_sized_stack, 0
	.set _ZN9rocsparseL33gtsv_solve_spike_propagate_kernelILj256ELj64E21rocsparse_complex_numIdEEEviiiPT1_PKS3_S6_S6_.has_recursion, 0
	.set _ZN9rocsparseL33gtsv_solve_spike_propagate_kernelILj256ELj64E21rocsparse_complex_numIdEEEviiiPT1_PKS3_S6_S6_.has_indirect_call, 0
	.section	.AMDGPU.csdata,"",@progbits
; Kernel info:
; codeLenInByte = 3164
; TotalNumSgprs: 28
; NumVgprs: 35
; NumAgprs: 0
; TotalNumVgprs: 35
; ScratchSize: 0
; MemoryBound: 0
; FloatMode: 240
; IeeeMode: 1
; LDSByteSize: 24608 bytes/workgroup (compile time only)
; SGPRBlocks: 12
; VGPRBlocks: 9
; NumSGPRsForWavesPerEU: 97
; NumVGPRsForWavesPerEU: 73
; AccumOffset: 36
; Occupancy: 6
; WaveLimiterHint : 0
; COMPUTE_PGM_RSRC2:SCRATCH_EN: 0
; COMPUTE_PGM_RSRC2:USER_SGPR: 2
; COMPUTE_PGM_RSRC2:TRAP_HANDLER: 0
; COMPUTE_PGM_RSRC2:TGID_X_EN: 1
; COMPUTE_PGM_RSRC2:TGID_Y_EN: 1
; COMPUTE_PGM_RSRC2:TGID_Z_EN: 0
; COMPUTE_PGM_RSRC2:TIDIG_COMP_CNT: 0
; COMPUTE_PGM_RSRC3_GFX90A:ACCUM_OFFSET: 8
; COMPUTE_PGM_RSRC3_GFX90A:TG_SPLIT: 0
	.section	.text._ZN9rocsparseL39gtsv_spike_backward_substitution_kernelILj256ELj64E21rocsparse_complex_numIdEEEviiiPT1_PKS3_S6_,"axG",@progbits,_ZN9rocsparseL39gtsv_spike_backward_substitution_kernelILj256ELj64E21rocsparse_complex_numIdEEEviiiPT1_PKS3_S6_,comdat
	.globl	_ZN9rocsparseL39gtsv_spike_backward_substitution_kernelILj256ELj64E21rocsparse_complex_numIdEEEviiiPT1_PKS3_S6_ ; -- Begin function _ZN9rocsparseL39gtsv_spike_backward_substitution_kernelILj256ELj64E21rocsparse_complex_numIdEEEviiiPT1_PKS3_S6_
	.p2align	8
	.type	_ZN9rocsparseL39gtsv_spike_backward_substitution_kernelILj256ELj64E21rocsparse_complex_numIdEEEviiiPT1_PKS3_S6_,@function
_ZN9rocsparseL39gtsv_spike_backward_substitution_kernelILj256ELj64E21rocsparse_complex_numIdEEEviiiPT1_PKS3_S6_: ; @_ZN9rocsparseL39gtsv_spike_backward_substitution_kernelILj256ELj64E21rocsparse_complex_numIdEEEviiiPT1_PKS3_S6_
; %bb.0:
	s_load_dword s6, s[0:1], 0x0
	s_lshl_b32 s10, s2, 8
	v_or_b32_e32 v10, s10, v0
	s_waitcnt lgkmcnt(0)
	s_lshr_b32 s11, s6, 6
	v_cmp_gt_i32_e32 vcc, s11, v10
	s_and_saveexec_b64 s[4:5], vcc
	s_cbranch_execz .LBB334_7
; %bb.1:
	s_load_dwordx2 s[8:9], s[0:1], 0x10
	v_cmp_lt_i32_e32 vcc, 0, v10
	v_mov_b64_e32 v[2:3], 0
	s_mul_i32 s2, s6, s3
	v_mov_b64_e32 v[4:5], 0
	s_and_saveexec_b64 s[4:5], vcc
	s_cbranch_execz .LBB334_3
; %bb.2:
	s_mul_i32 s7, s11, 63
	s_mul_i32 s3, s6, s3
	s_add_i32 s7, s7, s3
	v_add3_u32 v2, v10, s7, -1
	v_mov_b32_e32 v3, 0
	s_waitcnt lgkmcnt(0)
	v_lshl_add_u64 v[2:3], v[2:3], 4, s[8:9]
	global_load_dwordx4 v[2:5], v[2:3], off
.LBB334_3:
	s_or_b64 exec, exec, s[4:5]
	v_add_u32_e32 v1, 64, v10
	v_cmp_le_u32_e32 vcc, s6, v1
	s_and_saveexec_b64 s[4:5], vcc
	s_xor_b64 s[4:5], exec, s[4:5]
	s_or_saveexec_b64 s[4:5], s[4:5]
	v_mov_b64_e32 v[6:7], 0
	v_mov_b32_e32 v12, s2
	v_mov_b64_e32 v[8:9], 0
	s_xor_b64 exec, exec, s[4:5]
	s_cbranch_execz .LBB334_5
; %bb.4:
	s_ashr_i32 s3, s2, 31
	v_ashrrev_i32_e32 v11, 31, v10
	v_lshl_add_u64 v[6:7], v[10:11], 0, s[2:3]
	s_waitcnt lgkmcnt(0)
	v_lshl_add_u64 v[6:7], v[6:7], 4, s[8:9]
	global_load_dwordx4 v[6:9], v[6:7], off offset:16
	v_mov_b32_e32 v12, s2
.LBB334_5:
	s_or_b64 exec, exec, s[4:5]
	s_load_dwordx4 s[4:7], s[0:1], 0x18
	s_lshl_b32 s0, s11, 1
	s_add_i32 s10, s10, s11
	v_add_u32_e32 v10, s0, v10
	v_add_u32_e32 v0, s10, v0
	s_mov_b32 s1, 62
.LBB334_6:                              ; =>This Inner Loop Header: Depth=1
	v_ashrrev_i32_e32 v1, 31, v0
	v_add_u32_e32 v14, v12, v0
	v_lshlrev_b64 v[16:17], 4, v[0:1]
	v_ashrrev_i32_e32 v15, 31, v14
	s_waitcnt lgkmcnt(0)
	v_lshl_add_u64 v[26:27], s[4:5], 0, v[16:17]
	v_lshl_add_u64 v[34:35], v[14:15], 4, s[8:9]
	;; [unrolled: 1-line block ×3, first 2 shown]
	global_load_dwordx4 v[14:17], v[26:27], off
	global_load_dwordx4 v[18:21], v[28:29], off
	;; [unrolled: 1-line block ×3, first 2 shown]
	v_ashrrev_i32_e32 v11, 31, v10
	v_add_u32_e32 v26, v12, v10
	v_lshlrev_b64 v[28:29], 4, v[10:11]
	v_ashrrev_i32_e32 v27, 31, v26
	v_lshl_add_u64 v[38:39], s[4:5], 0, v[28:29]
	v_lshl_add_u64 v[40:41], s[6:7], 0, v[28:29]
	;; [unrolled: 1-line block ×3, first 2 shown]
	global_load_dwordx4 v[26:29], v[38:39], off
	global_load_dwordx4 v[30:33], v[40:41], off
	s_add_i32 s1, s1, -2
	v_add_u32_e32 v10, s0, v10
	v_add_u32_e32 v0, s0, v0
	s_cmp_lg_u32 s1, 0
	s_waitcnt vmcnt(4)
	v_mul_f64 v[38:39], v[4:5], -v[16:17]
	v_mul_f64 v[40:41], v[4:5], v[14:15]
	s_waitcnt vmcnt(3)
	v_mul_f64 v[42:43], v[8:9], -v[20:21]
	v_mul_f64 v[44:45], v[8:9], v[18:19]
	v_fmac_f64_e32 v[38:39], v[14:15], v[2:3]
	v_fmac_f64_e32 v[40:41], v[16:17], v[2:3]
	v_fmac_f64_e32 v[42:43], v[18:19], v[6:7]
	v_fmac_f64_e32 v[44:45], v[20:21], v[6:7]
	s_waitcnt vmcnt(2)
	v_add_f64 v[14:15], v[22:23], -v[38:39]
	v_add_f64 v[16:17], v[24:25], -v[40:41]
	;; [unrolled: 1-line block ×4, first 2 shown]
	global_store_dwordx4 v[34:35], v[14:17], off
	global_load_dwordx4 v[14:17], v[36:37], off
	s_waitcnt vmcnt(3)
	v_mul_f64 v[18:19], v[4:5], -v[28:29]
	v_mul_f64 v[20:21], v[4:5], v[26:27]
	s_waitcnt vmcnt(2)
	v_mul_f64 v[22:23], v[8:9], -v[32:33]
	v_mul_f64 v[24:25], v[8:9], v[30:31]
	v_fmac_f64_e32 v[18:19], v[26:27], v[2:3]
	v_fmac_f64_e32 v[20:21], v[28:29], v[2:3]
	;; [unrolled: 1-line block ×4, first 2 shown]
	s_waitcnt vmcnt(0)
	v_add_f64 v[14:15], v[14:15], -v[18:19]
	v_add_f64 v[16:17], v[16:17], -v[20:21]
	v_add_f64 v[14:15], v[14:15], -v[22:23]
	v_add_f64 v[16:17], v[16:17], -v[24:25]
	global_store_dwordx4 v[36:37], v[14:17], off
	s_cbranch_scc1 .LBB334_6
.LBB334_7:
	s_endpgm
	.section	.rodata,"a",@progbits
	.p2align	6, 0x0
	.amdhsa_kernel _ZN9rocsparseL39gtsv_spike_backward_substitution_kernelILj256ELj64E21rocsparse_complex_numIdEEEviiiPT1_PKS3_S6_
		.amdhsa_group_segment_fixed_size 0
		.amdhsa_private_segment_fixed_size 0
		.amdhsa_kernarg_size 40
		.amdhsa_user_sgpr_count 2
		.amdhsa_user_sgpr_dispatch_ptr 0
		.amdhsa_user_sgpr_queue_ptr 0
		.amdhsa_user_sgpr_kernarg_segment_ptr 1
		.amdhsa_user_sgpr_dispatch_id 0
		.amdhsa_user_sgpr_kernarg_preload_length 0
		.amdhsa_user_sgpr_kernarg_preload_offset 0
		.amdhsa_user_sgpr_private_segment_size 0
		.amdhsa_uses_dynamic_stack 0
		.amdhsa_enable_private_segment 0
		.amdhsa_system_sgpr_workgroup_id_x 1
		.amdhsa_system_sgpr_workgroup_id_y 1
		.amdhsa_system_sgpr_workgroup_id_z 0
		.amdhsa_system_sgpr_workgroup_info 0
		.amdhsa_system_vgpr_workitem_id 0
		.amdhsa_next_free_vgpr 46
		.amdhsa_next_free_sgpr 12
		.amdhsa_accum_offset 48
		.amdhsa_reserve_vcc 1
		.amdhsa_float_round_mode_32 0
		.amdhsa_float_round_mode_16_64 0
		.amdhsa_float_denorm_mode_32 3
		.amdhsa_float_denorm_mode_16_64 3
		.amdhsa_dx10_clamp 1
		.amdhsa_ieee_mode 1
		.amdhsa_fp16_overflow 0
		.amdhsa_tg_split 0
		.amdhsa_exception_fp_ieee_invalid_op 0
		.amdhsa_exception_fp_denorm_src 0
		.amdhsa_exception_fp_ieee_div_zero 0
		.amdhsa_exception_fp_ieee_overflow 0
		.amdhsa_exception_fp_ieee_underflow 0
		.amdhsa_exception_fp_ieee_inexact 0
		.amdhsa_exception_int_div_zero 0
	.end_amdhsa_kernel
	.section	.text._ZN9rocsparseL39gtsv_spike_backward_substitution_kernelILj256ELj64E21rocsparse_complex_numIdEEEviiiPT1_PKS3_S6_,"axG",@progbits,_ZN9rocsparseL39gtsv_spike_backward_substitution_kernelILj256ELj64E21rocsparse_complex_numIdEEEviiiPT1_PKS3_S6_,comdat
.Lfunc_end334:
	.size	_ZN9rocsparseL39gtsv_spike_backward_substitution_kernelILj256ELj64E21rocsparse_complex_numIdEEEviiiPT1_PKS3_S6_, .Lfunc_end334-_ZN9rocsparseL39gtsv_spike_backward_substitution_kernelILj256ELj64E21rocsparse_complex_numIdEEEviiiPT1_PKS3_S6_
                                        ; -- End function
	.set _ZN9rocsparseL39gtsv_spike_backward_substitution_kernelILj256ELj64E21rocsparse_complex_numIdEEEviiiPT1_PKS3_S6_.num_vgpr, 46
	.set _ZN9rocsparseL39gtsv_spike_backward_substitution_kernelILj256ELj64E21rocsparse_complex_numIdEEEviiiPT1_PKS3_S6_.num_agpr, 0
	.set _ZN9rocsparseL39gtsv_spike_backward_substitution_kernelILj256ELj64E21rocsparse_complex_numIdEEEviiiPT1_PKS3_S6_.numbered_sgpr, 12
	.set _ZN9rocsparseL39gtsv_spike_backward_substitution_kernelILj256ELj64E21rocsparse_complex_numIdEEEviiiPT1_PKS3_S6_.num_named_barrier, 0
	.set _ZN9rocsparseL39gtsv_spike_backward_substitution_kernelILj256ELj64E21rocsparse_complex_numIdEEEviiiPT1_PKS3_S6_.private_seg_size, 0
	.set _ZN9rocsparseL39gtsv_spike_backward_substitution_kernelILj256ELj64E21rocsparse_complex_numIdEEEviiiPT1_PKS3_S6_.uses_vcc, 1
	.set _ZN9rocsparseL39gtsv_spike_backward_substitution_kernelILj256ELj64E21rocsparse_complex_numIdEEEviiiPT1_PKS3_S6_.uses_flat_scratch, 0
	.set _ZN9rocsparseL39gtsv_spike_backward_substitution_kernelILj256ELj64E21rocsparse_complex_numIdEEEviiiPT1_PKS3_S6_.has_dyn_sized_stack, 0
	.set _ZN9rocsparseL39gtsv_spike_backward_substitution_kernelILj256ELj64E21rocsparse_complex_numIdEEEviiiPT1_PKS3_S6_.has_recursion, 0
	.set _ZN9rocsparseL39gtsv_spike_backward_substitution_kernelILj256ELj64E21rocsparse_complex_numIdEEEviiiPT1_PKS3_S6_.has_indirect_call, 0
	.section	.AMDGPU.csdata,"",@progbits
; Kernel info:
; codeLenInByte = 592
; TotalNumSgprs: 18
; NumVgprs: 46
; NumAgprs: 0
; TotalNumVgprs: 46
; ScratchSize: 0
; MemoryBound: 0
; FloatMode: 240
; IeeeMode: 1
; LDSByteSize: 0 bytes/workgroup (compile time only)
; SGPRBlocks: 2
; VGPRBlocks: 5
; NumSGPRsForWavesPerEU: 18
; NumVGPRsForWavesPerEU: 46
; AccumOffset: 48
; Occupancy: 8
; WaveLimiterHint : 0
; COMPUTE_PGM_RSRC2:SCRATCH_EN: 0
; COMPUTE_PGM_RSRC2:USER_SGPR: 2
; COMPUTE_PGM_RSRC2:TRAP_HANDLER: 0
; COMPUTE_PGM_RSRC2:TGID_X_EN: 1
; COMPUTE_PGM_RSRC2:TGID_Y_EN: 1
; COMPUTE_PGM_RSRC2:TGID_Z_EN: 0
; COMPUTE_PGM_RSRC2:TIDIG_COMP_CNT: 0
; COMPUTE_PGM_RSRC3_GFX90A:ACCUM_OFFSET: 11
; COMPUTE_PGM_RSRC3_GFX90A:TG_SPLIT: 0
	.section	.text._ZN9rocsparseL32gtsv_transpose_back_array_kernelILj256ELj64E21rocsparse_complex_numIdEEEviiiPKT1_PS3_,"axG",@progbits,_ZN9rocsparseL32gtsv_transpose_back_array_kernelILj256ELj64E21rocsparse_complex_numIdEEEviiiPKT1_PS3_,comdat
	.globl	_ZN9rocsparseL32gtsv_transpose_back_array_kernelILj256ELj64E21rocsparse_complex_numIdEEEviiiPKT1_PS3_ ; -- Begin function _ZN9rocsparseL32gtsv_transpose_back_array_kernelILj256ELj64E21rocsparse_complex_numIdEEEviiiPKT1_PS3_
	.p2align	8
	.type	_ZN9rocsparseL32gtsv_transpose_back_array_kernelILj256ELj64E21rocsparse_complex_numIdEEEviiiPKT1_PS3_,@function
_ZN9rocsparseL32gtsv_transpose_back_array_kernelILj256ELj64E21rocsparse_complex_numIdEEEviiiPKT1_PS3_: ; @_ZN9rocsparseL32gtsv_transpose_back_array_kernelILj256ELj64E21rocsparse_complex_numIdEEEviiiPKT1_PS3_
; %bb.0:
	s_load_dwordx4 s[4:7], s[0:1], 0x0
	v_lshl_or_b32 v0, s2, 8, v0
	v_lshlrev_b32_e32 v2, 6, v0
	s_waitcnt lgkmcnt(0)
	v_cvt_f32_u32_e32 v1, s5
	s_sub_i32 s2, 0, s5
	v_rcp_iflag_f32_e32 v1, v1
	s_nop 0
	v_mul_f32_e32 v1, 0x4f7ffffe, v1
	v_cvt_u32_f32_e32 v1, v1
	v_mul_lo_u32 v3, s2, v1
	v_mul_hi_u32 v3, v1, v3
	v_add_u32_e32 v1, v1, v3
	v_mul_hi_u32 v1, v2, v1
	v_mul_lo_u32 v3, v1, s5
	v_sub_u32_e32 v3, v2, v3
	v_add_u32_e32 v4, 1, v1
	v_cmp_le_u32_e32 vcc, s5, v3
	s_nop 1
	v_cndmask_b32_e32 v1, v1, v4, vcc
	v_subrev_u32_e32 v4, s5, v3
	v_cndmask_b32_e32 v3, v3, v4, vcc
	v_add_u32_e32 v4, 1, v1
	v_cmp_le_u32_e32 vcc, s5, v3
	s_nop 1
	v_cndmask_b32_e32 v1, v1, v4, vcc
	v_mul_lo_u32 v3, v1, s5
	v_sub_u32_e32 v2, v2, v3
	v_add_u32_e32 v1, v1, v2
	v_cmp_gt_i32_e32 vcc, s4, v1
	s_and_saveexec_b64 s[8:9], vcc
	s_cbranch_execz .LBB335_2
; %bb.1:
	s_load_dwordx4 s[8:11], s[0:1], 0x10
	s_mul_i32 s0, s5, s3
	v_add_u32_e32 v2, s0, v0
	v_ashrrev_i32_e32 v3, 31, v2
	s_mul_i32 s0, s6, s3
	s_waitcnt lgkmcnt(0)
	v_lshl_add_u64 v[2:3], v[2:3], 4, s[8:9]
	global_load_dwordx4 v[2:5], v[2:3], off
	v_add_u32_e32 v0, s0, v1
	v_ashrrev_i32_e32 v1, 31, v0
	v_lshl_add_u64 v[0:1], v[0:1], 4, s[10:11]
	s_waitcnt vmcnt(0)
	global_store_dwordx4 v[0:1], v[2:5], off
.LBB335_2:
	s_endpgm
	.section	.rodata,"a",@progbits
	.p2align	6, 0x0
	.amdhsa_kernel _ZN9rocsparseL32gtsv_transpose_back_array_kernelILj256ELj64E21rocsparse_complex_numIdEEEviiiPKT1_PS3_
		.amdhsa_group_segment_fixed_size 0
		.amdhsa_private_segment_fixed_size 0
		.amdhsa_kernarg_size 32
		.amdhsa_user_sgpr_count 2
		.amdhsa_user_sgpr_dispatch_ptr 0
		.amdhsa_user_sgpr_queue_ptr 0
		.amdhsa_user_sgpr_kernarg_segment_ptr 1
		.amdhsa_user_sgpr_dispatch_id 0
		.amdhsa_user_sgpr_kernarg_preload_length 0
		.amdhsa_user_sgpr_kernarg_preload_offset 0
		.amdhsa_user_sgpr_private_segment_size 0
		.amdhsa_uses_dynamic_stack 0
		.amdhsa_enable_private_segment 0
		.amdhsa_system_sgpr_workgroup_id_x 1
		.amdhsa_system_sgpr_workgroup_id_y 1
		.amdhsa_system_sgpr_workgroup_id_z 0
		.amdhsa_system_sgpr_workgroup_info 0
		.amdhsa_system_vgpr_workitem_id 0
		.amdhsa_next_free_vgpr 6
		.amdhsa_next_free_sgpr 12
		.amdhsa_accum_offset 8
		.amdhsa_reserve_vcc 1
		.amdhsa_float_round_mode_32 0
		.amdhsa_float_round_mode_16_64 0
		.amdhsa_float_denorm_mode_32 3
		.amdhsa_float_denorm_mode_16_64 3
		.amdhsa_dx10_clamp 1
		.amdhsa_ieee_mode 1
		.amdhsa_fp16_overflow 0
		.amdhsa_tg_split 0
		.amdhsa_exception_fp_ieee_invalid_op 0
		.amdhsa_exception_fp_denorm_src 0
		.amdhsa_exception_fp_ieee_div_zero 0
		.amdhsa_exception_fp_ieee_overflow 0
		.amdhsa_exception_fp_ieee_underflow 0
		.amdhsa_exception_fp_ieee_inexact 0
		.amdhsa_exception_int_div_zero 0
	.end_amdhsa_kernel
	.section	.text._ZN9rocsparseL32gtsv_transpose_back_array_kernelILj256ELj64E21rocsparse_complex_numIdEEEviiiPKT1_PS3_,"axG",@progbits,_ZN9rocsparseL32gtsv_transpose_back_array_kernelILj256ELj64E21rocsparse_complex_numIdEEEviiiPKT1_PS3_,comdat
.Lfunc_end335:
	.size	_ZN9rocsparseL32gtsv_transpose_back_array_kernelILj256ELj64E21rocsparse_complex_numIdEEEviiiPKT1_PS3_, .Lfunc_end335-_ZN9rocsparseL32gtsv_transpose_back_array_kernelILj256ELj64E21rocsparse_complex_numIdEEEviiiPKT1_PS3_
                                        ; -- End function
	.set _ZN9rocsparseL32gtsv_transpose_back_array_kernelILj256ELj64E21rocsparse_complex_numIdEEEviiiPKT1_PS3_.num_vgpr, 6
	.set _ZN9rocsparseL32gtsv_transpose_back_array_kernelILj256ELj64E21rocsparse_complex_numIdEEEviiiPKT1_PS3_.num_agpr, 0
	.set _ZN9rocsparseL32gtsv_transpose_back_array_kernelILj256ELj64E21rocsparse_complex_numIdEEEviiiPKT1_PS3_.numbered_sgpr, 12
	.set _ZN9rocsparseL32gtsv_transpose_back_array_kernelILj256ELj64E21rocsparse_complex_numIdEEEviiiPKT1_PS3_.num_named_barrier, 0
	.set _ZN9rocsparseL32gtsv_transpose_back_array_kernelILj256ELj64E21rocsparse_complex_numIdEEEviiiPKT1_PS3_.private_seg_size, 0
	.set _ZN9rocsparseL32gtsv_transpose_back_array_kernelILj256ELj64E21rocsparse_complex_numIdEEEviiiPKT1_PS3_.uses_vcc, 1
	.set _ZN9rocsparseL32gtsv_transpose_back_array_kernelILj256ELj64E21rocsparse_complex_numIdEEEviiiPKT1_PS3_.uses_flat_scratch, 0
	.set _ZN9rocsparseL32gtsv_transpose_back_array_kernelILj256ELj64E21rocsparse_complex_numIdEEEviiiPKT1_PS3_.has_dyn_sized_stack, 0
	.set _ZN9rocsparseL32gtsv_transpose_back_array_kernelILj256ELj64E21rocsparse_complex_numIdEEEviiiPKT1_PS3_.has_recursion, 0
	.set _ZN9rocsparseL32gtsv_transpose_back_array_kernelILj256ELj64E21rocsparse_complex_numIdEEEviiiPKT1_PS3_.has_indirect_call, 0
	.section	.AMDGPU.csdata,"",@progbits
; Kernel info:
; codeLenInByte = 236
; TotalNumSgprs: 18
; NumVgprs: 6
; NumAgprs: 0
; TotalNumVgprs: 6
; ScratchSize: 0
; MemoryBound: 0
; FloatMode: 240
; IeeeMode: 1
; LDSByteSize: 0 bytes/workgroup (compile time only)
; SGPRBlocks: 2
; VGPRBlocks: 0
; NumSGPRsForWavesPerEU: 18
; NumVGPRsForWavesPerEU: 6
; AccumOffset: 8
; Occupancy: 8
; WaveLimiterHint : 0
; COMPUTE_PGM_RSRC2:SCRATCH_EN: 0
; COMPUTE_PGM_RSRC2:USER_SGPR: 2
; COMPUTE_PGM_RSRC2:TRAP_HANDLER: 0
; COMPUTE_PGM_RSRC2:TGID_X_EN: 1
; COMPUTE_PGM_RSRC2:TGID_Y_EN: 1
; COMPUTE_PGM_RSRC2:TGID_Z_EN: 0
; COMPUTE_PGM_RSRC2:TIDIG_COMP_CNT: 0
; COMPUTE_PGM_RSRC3_GFX90A:ACCUM_OFFSET: 1
; COMPUTE_PGM_RSRC3_GFX90A:TG_SPLIT: 0
	.section	.text._ZN9rocsparseL42gtsv_transpose_and_pad_array_shared_kernelILj256ELj128E21rocsparse_complex_numIdEEEviiiPKT1_PS3_S3_,"axG",@progbits,_ZN9rocsparseL42gtsv_transpose_and_pad_array_shared_kernelILj256ELj128E21rocsparse_complex_numIdEEEviiiPKT1_PS3_S3_,comdat
	.globl	_ZN9rocsparseL42gtsv_transpose_and_pad_array_shared_kernelILj256ELj128E21rocsparse_complex_numIdEEEviiiPKT1_PS3_S3_ ; -- Begin function _ZN9rocsparseL42gtsv_transpose_and_pad_array_shared_kernelILj256ELj128E21rocsparse_complex_numIdEEEviiiPKT1_PS3_S3_
	.p2align	8
	.type	_ZN9rocsparseL42gtsv_transpose_and_pad_array_shared_kernelILj256ELj128E21rocsparse_complex_numIdEEEviiiPKT1_PS3_S3_,@function
_ZN9rocsparseL42gtsv_transpose_and_pad_array_shared_kernelILj256ELj128E21rocsparse_complex_numIdEEEviiiPKT1_PS3_S3_: ; @_ZN9rocsparseL42gtsv_transpose_and_pad_array_shared_kernelILj256ELj128E21rocsparse_complex_numIdEEEviiiPKT1_PS3_S3_
; %bb.0:
	s_load_dwordx4 s[4:7], s[0:1], 0x0
	v_lshl_or_b32 v2, s2, 8, v0
	v_lshlrev_b32_e32 v1, 4, v0
	s_waitcnt lgkmcnt(0)
	v_cmp_le_i32_e32 vcc, s4, v2
	s_and_saveexec_b64 s[8:9], vcc
	s_xor_b64 s[8:9], exec, s[8:9]
	s_cbranch_execz .LBB336_2
; %bb.1:
	s_load_dwordx4 s[12:15], s[0:1], 0x20
	s_waitcnt lgkmcnt(0)
	v_mov_b64_e32 v[2:3], s[12:13]
	v_mov_b64_e32 v[4:5], s[14:15]
	ds_write_b128 v1, v[2:5]
                                        ; implicit-def: $vgpr2
                                        ; implicit-def: $vgpr1
.LBB336_2:
	s_andn2_saveexec_b64 s[8:9], s[8:9]
	s_cbranch_execz .LBB336_4
; %bb.3:
	s_load_dwordx2 s[10:11], s[0:1], 0x10
	s_mul_i32 s4, s6, s3
	v_add_u32_e32 v2, s4, v2
	v_ashrrev_i32_e32 v3, 31, v2
	s_waitcnt lgkmcnt(0)
	v_lshl_add_u64 v[2:3], v[2:3], 4, s[10:11]
	global_load_dwordx4 v[2:5], v[2:3], off
	s_waitcnt vmcnt(0)
	ds_write2_b64 v1, v[2:3], v[4:5] offset1:1
.LBB336_4:
	s_or_b64 exec, exec, s[8:9]
	v_and_b32_e32 v3, 1, v0
	v_lshrrev_b32_e32 v2, 1, v0
	s_lshr_b32 s4, s5, 7
	v_lshl_or_b32 v0, s2, 1, v3
	v_mad_u64_u32 v[0:1], s[6:7], s4, v2, v[0:1]
	v_cmp_gt_i32_e32 vcc, s5, v0
	s_waitcnt lgkmcnt(0)
	s_barrier
	s_and_saveexec_b64 s[6:7], vcc
	s_cbranch_execz .LBB336_6
; %bb.5:
	v_lshlrev_b32_e32 v1, 4, v2
	s_load_dwordx2 s[0:1], s[0:1], 0x18
	v_lshl_or_b32 v1, v3, 11, v1
	ds_read2_b64 v[2:5], v1 offset1:1
	s_mul_i32 s2, s5, s3
	v_add_u32_e32 v0, s2, v0
	v_ashrrev_i32_e32 v1, 31, v0
	s_waitcnt lgkmcnt(0)
	v_lshl_add_u64 v[0:1], v[0:1], 4, s[0:1]
	global_store_dwordx4 v[0:1], v[2:5], off
.LBB336_6:
	s_endpgm
	.section	.rodata,"a",@progbits
	.p2align	6, 0x0
	.amdhsa_kernel _ZN9rocsparseL42gtsv_transpose_and_pad_array_shared_kernelILj256ELj128E21rocsparse_complex_numIdEEEviiiPKT1_PS3_S3_
		.amdhsa_group_segment_fixed_size 4096
		.amdhsa_private_segment_fixed_size 0
		.amdhsa_kernarg_size 48
		.amdhsa_user_sgpr_count 2
		.amdhsa_user_sgpr_dispatch_ptr 0
		.amdhsa_user_sgpr_queue_ptr 0
		.amdhsa_user_sgpr_kernarg_segment_ptr 1
		.amdhsa_user_sgpr_dispatch_id 0
		.amdhsa_user_sgpr_kernarg_preload_length 0
		.amdhsa_user_sgpr_kernarg_preload_offset 0
		.amdhsa_user_sgpr_private_segment_size 0
		.amdhsa_uses_dynamic_stack 0
		.amdhsa_enable_private_segment 0
		.amdhsa_system_sgpr_workgroup_id_x 1
		.amdhsa_system_sgpr_workgroup_id_y 1
		.amdhsa_system_sgpr_workgroup_id_z 0
		.amdhsa_system_sgpr_workgroup_info 0
		.amdhsa_system_vgpr_workitem_id 0
		.amdhsa_next_free_vgpr 6
		.amdhsa_next_free_sgpr 16
		.amdhsa_accum_offset 8
		.amdhsa_reserve_vcc 1
		.amdhsa_float_round_mode_32 0
		.amdhsa_float_round_mode_16_64 0
		.amdhsa_float_denorm_mode_32 3
		.amdhsa_float_denorm_mode_16_64 3
		.amdhsa_dx10_clamp 1
		.amdhsa_ieee_mode 1
		.amdhsa_fp16_overflow 0
		.amdhsa_tg_split 0
		.amdhsa_exception_fp_ieee_invalid_op 0
		.amdhsa_exception_fp_denorm_src 0
		.amdhsa_exception_fp_ieee_div_zero 0
		.amdhsa_exception_fp_ieee_overflow 0
		.amdhsa_exception_fp_ieee_underflow 0
		.amdhsa_exception_fp_ieee_inexact 0
		.amdhsa_exception_int_div_zero 0
	.end_amdhsa_kernel
	.section	.text._ZN9rocsparseL42gtsv_transpose_and_pad_array_shared_kernelILj256ELj128E21rocsparse_complex_numIdEEEviiiPKT1_PS3_S3_,"axG",@progbits,_ZN9rocsparseL42gtsv_transpose_and_pad_array_shared_kernelILj256ELj128E21rocsparse_complex_numIdEEEviiiPKT1_PS3_S3_,comdat
.Lfunc_end336:
	.size	_ZN9rocsparseL42gtsv_transpose_and_pad_array_shared_kernelILj256ELj128E21rocsparse_complex_numIdEEEviiiPKT1_PS3_S3_, .Lfunc_end336-_ZN9rocsparseL42gtsv_transpose_and_pad_array_shared_kernelILj256ELj128E21rocsparse_complex_numIdEEEviiiPKT1_PS3_S3_
                                        ; -- End function
	.set _ZN9rocsparseL42gtsv_transpose_and_pad_array_shared_kernelILj256ELj128E21rocsparse_complex_numIdEEEviiiPKT1_PS3_S3_.num_vgpr, 6
	.set _ZN9rocsparseL42gtsv_transpose_and_pad_array_shared_kernelILj256ELj128E21rocsparse_complex_numIdEEEviiiPKT1_PS3_S3_.num_agpr, 0
	.set _ZN9rocsparseL42gtsv_transpose_and_pad_array_shared_kernelILj256ELj128E21rocsparse_complex_numIdEEEviiiPKT1_PS3_S3_.numbered_sgpr, 16
	.set _ZN9rocsparseL42gtsv_transpose_and_pad_array_shared_kernelILj256ELj128E21rocsparse_complex_numIdEEEviiiPKT1_PS3_S3_.num_named_barrier, 0
	.set _ZN9rocsparseL42gtsv_transpose_and_pad_array_shared_kernelILj256ELj128E21rocsparse_complex_numIdEEEviiiPKT1_PS3_S3_.private_seg_size, 0
	.set _ZN9rocsparseL42gtsv_transpose_and_pad_array_shared_kernelILj256ELj128E21rocsparse_complex_numIdEEEviiiPKT1_PS3_S3_.uses_vcc, 1
	.set _ZN9rocsparseL42gtsv_transpose_and_pad_array_shared_kernelILj256ELj128E21rocsparse_complex_numIdEEEviiiPKT1_PS3_S3_.uses_flat_scratch, 0
	.set _ZN9rocsparseL42gtsv_transpose_and_pad_array_shared_kernelILj256ELj128E21rocsparse_complex_numIdEEEviiiPKT1_PS3_S3_.has_dyn_sized_stack, 0
	.set _ZN9rocsparseL42gtsv_transpose_and_pad_array_shared_kernelILj256ELj128E21rocsparse_complex_numIdEEEviiiPKT1_PS3_S3_.has_recursion, 0
	.set _ZN9rocsparseL42gtsv_transpose_and_pad_array_shared_kernelILj256ELj128E21rocsparse_complex_numIdEEEviiiPKT1_PS3_S3_.has_indirect_call, 0
	.section	.AMDGPU.csdata,"",@progbits
; Kernel info:
; codeLenInByte = 244
; TotalNumSgprs: 22
; NumVgprs: 6
; NumAgprs: 0
; TotalNumVgprs: 6
; ScratchSize: 0
; MemoryBound: 0
; FloatMode: 240
; IeeeMode: 1
; LDSByteSize: 4096 bytes/workgroup (compile time only)
; SGPRBlocks: 2
; VGPRBlocks: 0
; NumSGPRsForWavesPerEU: 22
; NumVGPRsForWavesPerEU: 6
; AccumOffset: 8
; Occupancy: 8
; WaveLimiterHint : 0
; COMPUTE_PGM_RSRC2:SCRATCH_EN: 0
; COMPUTE_PGM_RSRC2:USER_SGPR: 2
; COMPUTE_PGM_RSRC2:TRAP_HANDLER: 0
; COMPUTE_PGM_RSRC2:TGID_X_EN: 1
; COMPUTE_PGM_RSRC2:TGID_Y_EN: 1
; COMPUTE_PGM_RSRC2:TGID_Z_EN: 0
; COMPUTE_PGM_RSRC2:TIDIG_COMP_CNT: 0
; COMPUTE_PGM_RSRC3_GFX90A:ACCUM_OFFSET: 1
; COMPUTE_PGM_RSRC3_GFX90A:TG_SPLIT: 0
	.section	.text._ZN9rocsparseL18gtsv_LBM_wv_kernelILj256ELj128E21rocsparse_complex_numIdEEEviiiPKT1_S5_S5_PS3_S6_S6_Pi,"axG",@progbits,_ZN9rocsparseL18gtsv_LBM_wv_kernelILj256ELj128E21rocsparse_complex_numIdEEEviiiPKT1_S5_S5_PS3_S6_S6_Pi,comdat
	.globl	_ZN9rocsparseL18gtsv_LBM_wv_kernelILj256ELj128E21rocsparse_complex_numIdEEEviiiPKT1_S5_S5_PS3_S6_S6_Pi ; -- Begin function _ZN9rocsparseL18gtsv_LBM_wv_kernelILj256ELj128E21rocsparse_complex_numIdEEEviiiPKT1_S5_S5_PS3_S6_S6_Pi
	.p2align	8
	.type	_ZN9rocsparseL18gtsv_LBM_wv_kernelILj256ELj128E21rocsparse_complex_numIdEEEviiiPKT1_S5_S5_PS3_S6_S6_Pi,@function
_ZN9rocsparseL18gtsv_LBM_wv_kernelILj256ELj128E21rocsparse_complex_numIdEEEviiiPKT1_S5_S5_PS3_S6_S6_Pi: ; @_ZN9rocsparseL18gtsv_LBM_wv_kernelILj256ELj128E21rocsparse_complex_numIdEEEviiiPKT1_S5_S5_PS3_S6_S6_Pi
; %bb.0:
	s_load_dword s29, s[0:1], 0x0
	v_lshl_or_b32 v40, s2, 8, v0
	s_waitcnt lgkmcnt(0)
	s_lshr_b32 s28, s29, 7
	v_cmp_gt_i32_e32 vcc, s28, v40
	s_and_saveexec_b64 s[2:3], vcc
	s_cbranch_execz .LBB337_72
; %bb.1:
	s_load_dwordx2 s[16:17], s[0:1], 0x10
	s_load_dwordx8 s[8:15], s[0:1], 0x20
	v_ashrrev_i32_e32 v41, 31, v40
	s_mul_i32 s30, s28, 0x7f
	v_lshlrev_b64 v[8:9], 4, v[40:41]
	v_add_u32_e32 v10, s30, v40
	v_mov_b32_e32 v11, 0
	s_waitcnt lgkmcnt(0)
	v_lshl_add_u64 v[0:1], s[16:17], 0, v[8:9]
	v_lshlrev_b64 v[12:13], 4, v[10:11]
	global_load_dwordx4 v[0:3], v[0:1], off
	v_lshl_add_u64 v[4:5], s[8:9], 0, v[12:13]
	global_load_dwordx4 v[4:7], v[4:5], off
	s_load_dwordx2 s[6:7], s[0:1], 0x40
	s_cmp_lt_i32 s29, 1
	v_add_u32_e32 v58, s28, v40
	v_lshl_add_u64 v[42:43], s[10:11], 0, v[8:9]
	v_mov_b32_e32 v44, v11
	v_lshl_add_u64 v[8:9], s[12:13], 0, v[12:13]
	s_waitcnt vmcnt(1)
	global_store_dwordx4 v[42:43], v[0:3], off
	s_waitcnt vmcnt(1)
	global_store_dwordx4 v[8:9], v[4:7], off
	s_cbranch_scc1 .LBB337_65
; %bb.2:
	s_load_dwordx2 s[18:19], s[0:1], 0x18
	s_mov_b32 s22, 0
	s_mov_b32 s24, 0x372fe950
	s_mul_i32 s31, s28, 0x7e
	s_lshl_b32 s33, s28, 1
	s_waitcnt lgkmcnt(0)
	v_lshl_add_u64 v[0:1], v[40:41], 4, s[18:19]
	global_load_dwordx4 v[0:3], v[0:1], off
	v_add_u32_e32 v41, s28, v58
	v_mov_b32_e32 v44, 0
	s_mov_b64 s[20:21], 0
	s_brev_b32 s23, 8
	v_mov_b32_e32 v59, 0x260
	s_mov_b32 s25, 0x3fe3c6ef
	v_mov_b32_e32 v60, 2
	v_mov_b32_e32 v61, 1
	;; [unrolled: 1-line block ×4, first 2 shown]
	s_branch .LBB337_5
.LBB337_3:                              ;   in Loop: Header=BB337_5 Depth=1
	s_or_b64 exec, exec, s[4:5]
	v_mul_f64 v[4:5], v[2:3], -v[50:51]
	v_mul_f64 v[2:3], v[2:3], v[48:49]
	v_fmac_f64_e32 v[4:5], v[48:49], v[0:1]
	v_fmac_f64_e32 v[2:3], v[50:51], v[0:1]
	v_add_f64 v[0:1], v[8:9], -v[4:5]
	v_add_f64 v[2:3], v[10:11], -v[2:3]
	v_mov_b32_e32 v12, s28
.LBB337_4:                              ;   in Loop: Header=BB337_5 Depth=1
	s_or_b64 exec, exec, s[2:3]
	v_add_u32_e32 v44, v12, v44
	v_cmp_le_i32_e32 vcc, s29, v44
	s_or_b64 s[20:21], vcc, s[20:21]
	s_andn2_b64 exec, exec, s[20:21]
	s_cbranch_execz .LBB337_64
.LBB337_5:                              ; =>This Inner Loop Header: Depth=1
	v_add_u32_e32 v46, v44, v40
	v_ashrrev_i32_e32 v47, 31, v46
	v_lshl_add_u64 v[4:5], v[46:47], 4, s[8:9]
	global_load_dwordx4 v[16:19], v[4:5], off
	v_cmp_gt_u32_e64 s[0:1], s30, v44
	v_mov_b64_e32 v[8:9], 0
	v_mov_b64_e32 v[4:5], 0
	;; [unrolled: 1-line block ×3, first 2 shown]
	s_and_saveexec_b64 s[2:3], s[0:1]
	s_cbranch_execz .LBB337_7
; %bb.6:                                ;   in Loop: Header=BB337_5 Depth=1
	v_add_u32_e32 v4, v58, v44
	v_ashrrev_i32_e32 v5, 31, v4
	v_lshl_add_u64 v[4:5], v[4:5], 4, s[16:17]
	global_load_dwordx4 v[4:7], v[4:5], off
.LBB337_7:                              ;   in Loop: Header=BB337_5 Depth=1
	s_or_b64 exec, exec, s[2:3]
	v_mov_b64_e32 v[10:11], 0
	s_and_saveexec_b64 s[2:3], s[0:1]
	s_cbranch_execz .LBB337_9
; %bb.8:                                ;   in Loop: Header=BB337_5 Depth=1
	v_add_u32_e32 v8, v58, v44
	v_ashrrev_i32_e32 v9, 31, v8
	v_lshl_add_u64 v[8:9], v[8:9], 4, s[18:19]
	global_load_dwordx4 v[8:11], v[8:9], off
.LBB337_9:                              ;   in Loop: Header=BB337_5 Depth=1
	s_or_b64 exec, exec, s[2:3]
	v_mov_b64_e32 v[20:21], 0
	v_mov_b64_e32 v[12:13], 0
	;; [unrolled: 1-line block ×3, first 2 shown]
	s_and_saveexec_b64 s[2:3], s[0:1]
	s_cbranch_execz .LBB337_11
; %bb.10:                               ;   in Loop: Header=BB337_5 Depth=1
	v_add_u32_e32 v12, v58, v44
	v_ashrrev_i32_e32 v13, 31, v12
	v_lshl_add_u64 v[12:13], v[12:13], 4, s[8:9]
	global_load_dwordx4 v[12:15], v[12:13], off
.LBB337_11:                             ;   in Loop: Header=BB337_5 Depth=1
	s_or_b64 exec, exec, s[2:3]
	v_cmp_gt_u32_e64 s[2:3], s31, v44
	v_mov_b64_e32 v[22:23], 0
	s_and_saveexec_b64 s[4:5], s[2:3]
	s_cbranch_execz .LBB337_13
; %bb.12:                               ;   in Loop: Header=BB337_5 Depth=1
	v_add_u32_e32 v20, v41, v44
	v_ashrrev_i32_e32 v21, 31, v20
	v_lshl_add_u64 v[20:21], v[20:21], 4, s[16:17]
	global_load_dwordx4 v[20:23], v[20:21], off
.LBB337_13:                             ;   in Loop: Header=BB337_5 Depth=1
	s_or_b64 exec, exec, s[4:5]
	s_waitcnt vmcnt(0)
	v_xor_b32_e32 v24, 0x80000000, v5
	v_cmp_gt_f64_e32 vcc, 0, v[4:5]
	v_mov_b32_e32 v26, v4
	v_mov_b32_e32 v28, v6
	v_cndmask_b32_e32 v27, v5, v24, vcc
	v_xor_b32_e32 v24, 0x80000000, v7
	v_cmp_gt_f64_e32 vcc, 0, v[6:7]
	s_nop 1
	v_cndmask_b32_e32 v29, v7, v24, vcc
	v_cmp_ngt_f64_e32 vcc, v[26:27], v[28:29]
                                        ; implicit-def: $vgpr24_vgpr25
	s_and_saveexec_b64 s[4:5], vcc
	s_xor_b64 s[4:5], exec, s[4:5]
	s_cbranch_execz .LBB337_17
; %bb.14:                               ;   in Loop: Header=BB337_5 Depth=1
	v_mov_b64_e32 v[24:25], 0
	v_cmp_neq_f64_e32 vcc, 0, v[6:7]
	s_and_saveexec_b64 s[26:27], vcc
	s_cbranch_execz .LBB337_16
; %bb.15:                               ;   in Loop: Header=BB337_5 Depth=1
	v_div_scale_f64 v[24:25], s[34:35], v[28:29], v[28:29], v[26:27]
	v_rcp_f64_e32 v[30:31], v[24:25]
	v_div_scale_f64 v[32:33], vcc, v[26:27], v[28:29], v[26:27]
	v_fma_f64 v[34:35], -v[24:25], v[30:31], 1.0
	v_fmac_f64_e32 v[30:31], v[30:31], v[34:35]
	v_fma_f64 v[34:35], -v[24:25], v[30:31], 1.0
	v_fmac_f64_e32 v[30:31], v[30:31], v[34:35]
	v_mul_f64 v[34:35], v[32:33], v[30:31]
	v_fma_f64 v[24:25], -v[24:25], v[34:35], v[32:33]
	v_div_fmas_f64 v[24:25], v[24:25], v[30:31], v[34:35]
	v_div_fixup_f64 v[24:25], v[24:25], v[28:29], v[26:27]
	v_fma_f64 v[24:25], v[24:25], v[24:25], 1.0
	v_cmp_gt_f64_e32 vcc, s[22:23], v[24:25]
	s_nop 1
	v_cndmask_b32_e32 v26, 0, v62, vcc
	v_ldexp_f64 v[24:25], v[24:25], v26
	v_rsq_f64_e32 v[26:27], v[24:25]
	s_nop 0
	v_mul_f64 v[30:31], v[24:25], v[26:27]
	v_mul_f64 v[26:27], v[26:27], 0.5
	v_fma_f64 v[32:33], -v[26:27], v[30:31], 0.5
	v_fmac_f64_e32 v[30:31], v[30:31], v[32:33]
	v_fma_f64 v[34:35], -v[30:31], v[30:31], v[24:25]
	v_fmac_f64_e32 v[26:27], v[26:27], v[32:33]
	v_fmac_f64_e32 v[30:31], v[34:35], v[26:27]
	v_fma_f64 v[32:33], -v[30:31], v[30:31], v[24:25]
	v_fmac_f64_e32 v[30:31], v[32:33], v[26:27]
	v_cndmask_b32_e32 v26, 0, v63, vcc
	v_ldexp_f64 v[26:27], v[30:31], v26
	v_cmp_class_f64_e32 vcc, v[24:25], v59
	s_nop 1
	v_cndmask_b32_e32 v25, v27, v25, vcc
	v_cndmask_b32_e32 v24, v26, v24, vcc
	v_mul_f64 v[24:25], v[28:29], v[24:25]
.LBB337_16:                             ;   in Loop: Header=BB337_5 Depth=1
	s_or_b64 exec, exec, s[26:27]
                                        ; implicit-def: $vgpr26_vgpr27
                                        ; implicit-def: $vgpr28_vgpr29
.LBB337_17:                             ;   in Loop: Header=BB337_5 Depth=1
	s_andn2_saveexec_b64 s[4:5], s[4:5]
	s_cbranch_execz .LBB337_19
; %bb.18:                               ;   in Loop: Header=BB337_5 Depth=1
	v_div_scale_f64 v[24:25], s[26:27], v[26:27], v[26:27], v[28:29]
	v_rcp_f64_e32 v[30:31], v[24:25]
	v_div_scale_f64 v[32:33], vcc, v[28:29], v[26:27], v[28:29]
	v_fma_f64 v[34:35], -v[24:25], v[30:31], 1.0
	v_fmac_f64_e32 v[30:31], v[30:31], v[34:35]
	v_fma_f64 v[34:35], -v[24:25], v[30:31], 1.0
	v_fmac_f64_e32 v[30:31], v[30:31], v[34:35]
	v_mul_f64 v[34:35], v[32:33], v[30:31]
	v_fma_f64 v[24:25], -v[24:25], v[34:35], v[32:33]
	v_div_fmas_f64 v[24:25], v[24:25], v[30:31], v[34:35]
	v_div_fixup_f64 v[24:25], v[24:25], v[26:27], v[28:29]
	v_fma_f64 v[24:25], v[24:25], v[24:25], 1.0
	v_cmp_gt_f64_e32 vcc, s[22:23], v[24:25]
	s_nop 1
	v_cndmask_b32_e32 v28, 0, v62, vcc
	v_ldexp_f64 v[24:25], v[24:25], v28
	v_rsq_f64_e32 v[28:29], v[24:25]
	s_nop 0
	v_mul_f64 v[30:31], v[24:25], v[28:29]
	v_mul_f64 v[28:29], v[28:29], 0.5
	v_fma_f64 v[32:33], -v[28:29], v[30:31], 0.5
	v_fmac_f64_e32 v[30:31], v[30:31], v[32:33]
	v_fma_f64 v[34:35], -v[30:31], v[30:31], v[24:25]
	v_fmac_f64_e32 v[28:29], v[28:29], v[32:33]
	v_fmac_f64_e32 v[30:31], v[34:35], v[28:29]
	v_fma_f64 v[32:33], -v[30:31], v[30:31], v[24:25]
	v_fmac_f64_e32 v[30:31], v[32:33], v[28:29]
	v_cndmask_b32_e32 v28, 0, v63, vcc
	v_ldexp_f64 v[28:29], v[30:31], v28
	v_cmp_class_f64_e32 vcc, v[24:25], v59
	s_nop 1
	v_cndmask_b32_e32 v25, v29, v25, vcc
	v_cndmask_b32_e32 v24, v28, v24, vcc
	v_mul_f64 v[24:25], v[26:27], v[24:25]
.LBB337_19:                             ;   in Loop: Header=BB337_5 Depth=1
	s_or_b64 exec, exec, s[4:5]
	v_xor_b32_e32 v26, 0x80000000, v21
	v_cmp_gt_f64_e32 vcc, 0, v[20:21]
	v_mov_b32_e32 v28, v20
	v_mov_b32_e32 v30, v22
	v_cndmask_b32_e32 v29, v21, v26, vcc
	v_xor_b32_e32 v26, 0x80000000, v23
	v_cmp_gt_f64_e32 vcc, 0, v[22:23]
	s_nop 1
	v_cndmask_b32_e32 v31, v23, v26, vcc
	v_cmp_ngt_f64_e32 vcc, v[28:29], v[30:31]
                                        ; implicit-def: $vgpr26_vgpr27
	s_and_saveexec_b64 s[4:5], vcc
	s_xor_b64 s[4:5], exec, s[4:5]
	s_cbranch_execz .LBB337_23
; %bb.20:                               ;   in Loop: Header=BB337_5 Depth=1
	v_mov_b64_e32 v[26:27], 0
	v_cmp_neq_f64_e32 vcc, 0, v[22:23]
	s_and_saveexec_b64 s[26:27], vcc
	s_cbranch_execz .LBB337_22
; %bb.21:                               ;   in Loop: Header=BB337_5 Depth=1
	v_div_scale_f64 v[26:27], s[34:35], v[30:31], v[30:31], v[28:29]
	v_rcp_f64_e32 v[32:33], v[26:27]
	v_div_scale_f64 v[34:35], vcc, v[28:29], v[30:31], v[28:29]
	v_fma_f64 v[36:37], -v[26:27], v[32:33], 1.0
	v_fmac_f64_e32 v[32:33], v[32:33], v[36:37]
	v_fma_f64 v[36:37], -v[26:27], v[32:33], 1.0
	v_fmac_f64_e32 v[32:33], v[32:33], v[36:37]
	v_mul_f64 v[36:37], v[34:35], v[32:33]
	v_fma_f64 v[26:27], -v[26:27], v[36:37], v[34:35]
	v_div_fmas_f64 v[26:27], v[26:27], v[32:33], v[36:37]
	v_div_fixup_f64 v[26:27], v[26:27], v[30:31], v[28:29]
	v_fma_f64 v[26:27], v[26:27], v[26:27], 1.0
	v_cmp_gt_f64_e32 vcc, s[22:23], v[26:27]
	s_nop 1
	v_cndmask_b32_e32 v28, 0, v62, vcc
	v_ldexp_f64 v[26:27], v[26:27], v28
	v_rsq_f64_e32 v[28:29], v[26:27]
	s_nop 0
	v_mul_f64 v[32:33], v[26:27], v[28:29]
	v_mul_f64 v[28:29], v[28:29], 0.5
	v_fma_f64 v[34:35], -v[28:29], v[32:33], 0.5
	v_fmac_f64_e32 v[32:33], v[32:33], v[34:35]
	v_fma_f64 v[36:37], -v[32:33], v[32:33], v[26:27]
	v_fmac_f64_e32 v[28:29], v[28:29], v[34:35]
	v_fmac_f64_e32 v[32:33], v[36:37], v[28:29]
	v_fma_f64 v[34:35], -v[32:33], v[32:33], v[26:27]
	v_fmac_f64_e32 v[32:33], v[34:35], v[28:29]
	v_cndmask_b32_e32 v28, 0, v63, vcc
	v_ldexp_f64 v[28:29], v[32:33], v28
	v_cmp_class_f64_e32 vcc, v[26:27], v59
	s_nop 1
	v_cndmask_b32_e32 v27, v29, v27, vcc
	v_cndmask_b32_e32 v26, v28, v26, vcc
	v_mul_f64 v[26:27], v[30:31], v[26:27]
.LBB337_22:                             ;   in Loop: Header=BB337_5 Depth=1
	s_or_b64 exec, exec, s[26:27]
                                        ; implicit-def: $vgpr28_vgpr29
                                        ; implicit-def: $vgpr30_vgpr31
.LBB337_23:                             ;   in Loop: Header=BB337_5 Depth=1
	s_andn2_saveexec_b64 s[4:5], s[4:5]
	s_cbranch_execz .LBB337_25
; %bb.24:                               ;   in Loop: Header=BB337_5 Depth=1
	v_div_scale_f64 v[26:27], s[26:27], v[28:29], v[28:29], v[30:31]
	v_rcp_f64_e32 v[32:33], v[26:27]
	v_div_scale_f64 v[34:35], vcc, v[30:31], v[28:29], v[30:31]
	v_fma_f64 v[36:37], -v[26:27], v[32:33], 1.0
	v_fmac_f64_e32 v[32:33], v[32:33], v[36:37]
	v_fma_f64 v[36:37], -v[26:27], v[32:33], 1.0
	v_fmac_f64_e32 v[32:33], v[32:33], v[36:37]
	v_mul_f64 v[36:37], v[34:35], v[32:33]
	v_fma_f64 v[26:27], -v[26:27], v[36:37], v[34:35]
	v_div_fmas_f64 v[26:27], v[26:27], v[32:33], v[36:37]
	v_div_fixup_f64 v[26:27], v[26:27], v[28:29], v[30:31]
	v_fma_f64 v[26:27], v[26:27], v[26:27], 1.0
	v_cmp_gt_f64_e32 vcc, s[22:23], v[26:27]
	s_nop 1
	v_cndmask_b32_e32 v30, 0, v62, vcc
	v_ldexp_f64 v[26:27], v[26:27], v30
	v_rsq_f64_e32 v[30:31], v[26:27]
	s_nop 0
	v_mul_f64 v[32:33], v[26:27], v[30:31]
	v_mul_f64 v[30:31], v[30:31], 0.5
	v_fma_f64 v[34:35], -v[30:31], v[32:33], 0.5
	v_fmac_f64_e32 v[32:33], v[32:33], v[34:35]
	v_fma_f64 v[36:37], -v[32:33], v[32:33], v[26:27]
	v_fmac_f64_e32 v[30:31], v[30:31], v[34:35]
	v_fmac_f64_e32 v[32:33], v[36:37], v[30:31]
	v_fma_f64 v[34:35], -v[32:33], v[32:33], v[26:27]
	v_fmac_f64_e32 v[32:33], v[34:35], v[30:31]
	v_cndmask_b32_e32 v30, 0, v63, vcc
	v_ldexp_f64 v[30:31], v[32:33], v30
	v_cmp_class_f64_e32 vcc, v[26:27], v59
	s_nop 1
	v_cndmask_b32_e32 v27, v31, v27, vcc
	v_cndmask_b32_e32 v26, v30, v26, vcc
	v_mul_f64 v[26:27], v[28:29], v[26:27]
.LBB337_25:                             ;   in Loop: Header=BB337_5 Depth=1
	s_or_b64 exec, exec, s[4:5]
	v_xor_b32_e32 v28, 0x80000000, v9
	v_cmp_gt_f64_e32 vcc, 0, v[8:9]
	v_mov_b32_e32 v30, v8
	v_mov_b32_e32 v32, v10
	v_cndmask_b32_e32 v31, v9, v28, vcc
	v_xor_b32_e32 v28, 0x80000000, v11
	v_cmp_gt_f64_e32 vcc, 0, v[10:11]
	s_nop 1
	v_cndmask_b32_e32 v33, v11, v28, vcc
	v_cmp_ngt_f64_e32 vcc, v[30:31], v[32:33]
                                        ; implicit-def: $vgpr28_vgpr29
	s_and_saveexec_b64 s[4:5], vcc
	s_xor_b64 s[4:5], exec, s[4:5]
	s_cbranch_execz .LBB337_29
; %bb.26:                               ;   in Loop: Header=BB337_5 Depth=1
	v_mov_b64_e32 v[28:29], 0
	v_cmp_neq_f64_e32 vcc, 0, v[10:11]
	s_and_saveexec_b64 s[26:27], vcc
	s_cbranch_execz .LBB337_28
; %bb.27:                               ;   in Loop: Header=BB337_5 Depth=1
	v_div_scale_f64 v[28:29], s[34:35], v[32:33], v[32:33], v[30:31]
	v_rcp_f64_e32 v[34:35], v[28:29]
	v_div_scale_f64 v[36:37], vcc, v[30:31], v[32:33], v[30:31]
	v_fma_f64 v[38:39], -v[28:29], v[34:35], 1.0
	v_fmac_f64_e32 v[34:35], v[34:35], v[38:39]
	v_fma_f64 v[38:39], -v[28:29], v[34:35], 1.0
	v_fmac_f64_e32 v[34:35], v[34:35], v[38:39]
	v_mul_f64 v[38:39], v[36:37], v[34:35]
	v_fma_f64 v[28:29], -v[28:29], v[38:39], v[36:37]
	v_div_fmas_f64 v[28:29], v[28:29], v[34:35], v[38:39]
	v_div_fixup_f64 v[28:29], v[28:29], v[32:33], v[30:31]
	v_fma_f64 v[28:29], v[28:29], v[28:29], 1.0
	v_cmp_gt_f64_e32 vcc, s[22:23], v[28:29]
	s_nop 1
	v_cndmask_b32_e32 v30, 0, v62, vcc
	v_ldexp_f64 v[28:29], v[28:29], v30
	v_rsq_f64_e32 v[30:31], v[28:29]
	s_nop 0
	v_mul_f64 v[34:35], v[28:29], v[30:31]
	v_mul_f64 v[30:31], v[30:31], 0.5
	v_fma_f64 v[36:37], -v[30:31], v[34:35], 0.5
	v_fmac_f64_e32 v[34:35], v[34:35], v[36:37]
	v_fma_f64 v[38:39], -v[34:35], v[34:35], v[28:29]
	v_fmac_f64_e32 v[30:31], v[30:31], v[36:37]
	v_fmac_f64_e32 v[34:35], v[38:39], v[30:31]
	v_fma_f64 v[36:37], -v[34:35], v[34:35], v[28:29]
	v_fmac_f64_e32 v[34:35], v[36:37], v[30:31]
	v_cndmask_b32_e32 v30, 0, v63, vcc
	v_ldexp_f64 v[30:31], v[34:35], v30
	v_cmp_class_f64_e32 vcc, v[28:29], v59
	s_nop 1
	v_cndmask_b32_e32 v29, v31, v29, vcc
	v_cndmask_b32_e32 v28, v30, v28, vcc
	v_mul_f64 v[28:29], v[32:33], v[28:29]
.LBB337_28:                             ;   in Loop: Header=BB337_5 Depth=1
	s_or_b64 exec, exec, s[26:27]
                                        ; implicit-def: $vgpr30_vgpr31
                                        ; implicit-def: $vgpr32_vgpr33
.LBB337_29:                             ;   in Loop: Header=BB337_5 Depth=1
	s_andn2_saveexec_b64 s[4:5], s[4:5]
	s_cbranch_execz .LBB337_31
; %bb.30:                               ;   in Loop: Header=BB337_5 Depth=1
	v_div_scale_f64 v[28:29], s[26:27], v[30:31], v[30:31], v[32:33]
	v_rcp_f64_e32 v[34:35], v[28:29]
	v_div_scale_f64 v[36:37], vcc, v[32:33], v[30:31], v[32:33]
	v_fma_f64 v[38:39], -v[28:29], v[34:35], 1.0
	v_fmac_f64_e32 v[34:35], v[34:35], v[38:39]
	v_fma_f64 v[38:39], -v[28:29], v[34:35], 1.0
	v_fmac_f64_e32 v[34:35], v[34:35], v[38:39]
	v_mul_f64 v[38:39], v[36:37], v[34:35]
	v_fma_f64 v[28:29], -v[28:29], v[38:39], v[36:37]
	v_div_fmas_f64 v[28:29], v[28:29], v[34:35], v[38:39]
	v_div_fixup_f64 v[28:29], v[28:29], v[30:31], v[32:33]
	v_fma_f64 v[28:29], v[28:29], v[28:29], 1.0
	v_cmp_gt_f64_e32 vcc, s[22:23], v[28:29]
	s_nop 1
	v_cndmask_b32_e32 v32, 0, v62, vcc
	v_ldexp_f64 v[28:29], v[28:29], v32
	v_rsq_f64_e32 v[32:33], v[28:29]
	s_nop 0
	v_mul_f64 v[34:35], v[28:29], v[32:33]
	v_mul_f64 v[32:33], v[32:33], 0.5
	v_fma_f64 v[36:37], -v[32:33], v[34:35], 0.5
	v_fmac_f64_e32 v[34:35], v[34:35], v[36:37]
	v_fma_f64 v[38:39], -v[34:35], v[34:35], v[28:29]
	v_fmac_f64_e32 v[32:33], v[32:33], v[36:37]
	v_fmac_f64_e32 v[34:35], v[38:39], v[32:33]
	v_fma_f64 v[36:37], -v[34:35], v[34:35], v[28:29]
	v_fmac_f64_e32 v[34:35], v[36:37], v[32:33]
	v_cndmask_b32_e32 v32, 0, v63, vcc
	v_ldexp_f64 v[32:33], v[34:35], v32
	v_cmp_class_f64_e32 vcc, v[28:29], v59
	s_nop 1
	v_cndmask_b32_e32 v29, v33, v29, vcc
	v_cndmask_b32_e32 v28, v32, v28, vcc
	v_mul_f64 v[28:29], v[30:31], v[28:29]
.LBB337_31:                             ;   in Loop: Header=BB337_5 Depth=1
	s_or_b64 exec, exec, s[4:5]
	v_xor_b32_e32 v30, 0x80000000, v17
	v_cmp_gt_f64_e32 vcc, 0, v[16:17]
	v_mov_b32_e32 v32, v16
	v_mov_b32_e32 v34, v18
	v_cndmask_b32_e32 v33, v17, v30, vcc
	v_xor_b32_e32 v30, 0x80000000, v19
	v_cmp_gt_f64_e32 vcc, 0, v[18:19]
	s_nop 1
	v_cndmask_b32_e32 v35, v19, v30, vcc
	v_cmp_ngt_f64_e32 vcc, v[32:33], v[34:35]
                                        ; implicit-def: $vgpr30_vgpr31
	s_and_saveexec_b64 s[4:5], vcc
	s_xor_b64 s[4:5], exec, s[4:5]
	s_cbranch_execz .LBB337_35
; %bb.32:                               ;   in Loop: Header=BB337_5 Depth=1
	v_mov_b64_e32 v[30:31], 0
	v_cmp_neq_f64_e32 vcc, 0, v[18:19]
	s_and_saveexec_b64 s[26:27], vcc
	s_cbranch_execz .LBB337_34
; %bb.33:                               ;   in Loop: Header=BB337_5 Depth=1
	v_div_scale_f64 v[30:31], s[34:35], v[34:35], v[34:35], v[32:33]
	v_rcp_f64_e32 v[36:37], v[30:31]
	v_div_scale_f64 v[38:39], vcc, v[32:33], v[34:35], v[32:33]
	v_fma_f64 v[48:49], -v[30:31], v[36:37], 1.0
	v_fmac_f64_e32 v[36:37], v[36:37], v[48:49]
	v_fma_f64 v[48:49], -v[30:31], v[36:37], 1.0
	v_fmac_f64_e32 v[36:37], v[36:37], v[48:49]
	v_mul_f64 v[48:49], v[38:39], v[36:37]
	v_fma_f64 v[30:31], -v[30:31], v[48:49], v[38:39]
	v_div_fmas_f64 v[30:31], v[30:31], v[36:37], v[48:49]
	v_div_fixup_f64 v[30:31], v[30:31], v[34:35], v[32:33]
	v_fma_f64 v[30:31], v[30:31], v[30:31], 1.0
	v_cmp_gt_f64_e32 vcc, s[22:23], v[30:31]
	s_nop 1
	v_cndmask_b32_e32 v32, 0, v62, vcc
	v_ldexp_f64 v[30:31], v[30:31], v32
	v_rsq_f64_e32 v[32:33], v[30:31]
	s_nop 0
	v_mul_f64 v[36:37], v[30:31], v[32:33]
	v_mul_f64 v[32:33], v[32:33], 0.5
	v_fma_f64 v[38:39], -v[32:33], v[36:37], 0.5
	v_fmac_f64_e32 v[36:37], v[36:37], v[38:39]
	v_fma_f64 v[48:49], -v[36:37], v[36:37], v[30:31]
	v_fmac_f64_e32 v[32:33], v[32:33], v[38:39]
	v_fmac_f64_e32 v[36:37], v[48:49], v[32:33]
	v_fma_f64 v[38:39], -v[36:37], v[36:37], v[30:31]
	v_fmac_f64_e32 v[36:37], v[38:39], v[32:33]
	v_cndmask_b32_e32 v32, 0, v63, vcc
	v_ldexp_f64 v[32:33], v[36:37], v32
	v_cmp_class_f64_e32 vcc, v[30:31], v59
	s_nop 1
	v_cndmask_b32_e32 v31, v33, v31, vcc
	v_cndmask_b32_e32 v30, v32, v30, vcc
	v_mul_f64 v[30:31], v[34:35], v[30:31]
.LBB337_34:                             ;   in Loop: Header=BB337_5 Depth=1
	s_or_b64 exec, exec, s[26:27]
                                        ; implicit-def: $vgpr32_vgpr33
                                        ; implicit-def: $vgpr34_vgpr35
.LBB337_35:                             ;   in Loop: Header=BB337_5 Depth=1
	s_andn2_saveexec_b64 s[4:5], s[4:5]
	s_cbranch_execz .LBB337_37
; %bb.36:                               ;   in Loop: Header=BB337_5 Depth=1
	v_div_scale_f64 v[30:31], s[26:27], v[32:33], v[32:33], v[34:35]
	v_rcp_f64_e32 v[36:37], v[30:31]
	v_div_scale_f64 v[38:39], vcc, v[34:35], v[32:33], v[34:35]
	v_fma_f64 v[48:49], -v[30:31], v[36:37], 1.0
	v_fmac_f64_e32 v[36:37], v[36:37], v[48:49]
	v_fma_f64 v[48:49], -v[30:31], v[36:37], 1.0
	v_fmac_f64_e32 v[36:37], v[36:37], v[48:49]
	v_mul_f64 v[48:49], v[38:39], v[36:37]
	v_fma_f64 v[30:31], -v[30:31], v[48:49], v[38:39]
	v_div_fmas_f64 v[30:31], v[30:31], v[36:37], v[48:49]
	v_div_fixup_f64 v[30:31], v[30:31], v[32:33], v[34:35]
	v_fma_f64 v[30:31], v[30:31], v[30:31], 1.0
	v_cmp_gt_f64_e32 vcc, s[22:23], v[30:31]
	s_nop 1
	v_cndmask_b32_e32 v34, 0, v62, vcc
	v_ldexp_f64 v[30:31], v[30:31], v34
	v_rsq_f64_e32 v[34:35], v[30:31]
	s_nop 0
	v_mul_f64 v[36:37], v[30:31], v[34:35]
	v_mul_f64 v[34:35], v[34:35], 0.5
	v_fma_f64 v[38:39], -v[34:35], v[36:37], 0.5
	v_fmac_f64_e32 v[36:37], v[36:37], v[38:39]
	v_fma_f64 v[48:49], -v[36:37], v[36:37], v[30:31]
	v_fmac_f64_e32 v[34:35], v[34:35], v[38:39]
	v_fmac_f64_e32 v[36:37], v[48:49], v[34:35]
	v_fma_f64 v[38:39], -v[36:37], v[36:37], v[30:31]
	v_fmac_f64_e32 v[36:37], v[38:39], v[34:35]
	v_cndmask_b32_e32 v34, 0, v63, vcc
	v_ldexp_f64 v[34:35], v[36:37], v34
	v_cmp_class_f64_e32 vcc, v[30:31], v59
	s_nop 1
	v_cndmask_b32_e32 v31, v35, v31, vcc
	v_cndmask_b32_e32 v30, v34, v30, vcc
	v_mul_f64 v[30:31], v[32:33], v[30:31]
.LBB337_37:                             ;   in Loop: Header=BB337_5 Depth=1
	s_or_b64 exec, exec, s[4:5]
	v_xor_b32_e32 v32, 0x80000000, v13
	v_cmp_gt_f64_e32 vcc, 0, v[12:13]
	v_mov_b32_e32 v34, v12
	v_mov_b32_e32 v36, v14
	v_cndmask_b32_e32 v35, v13, v32, vcc
	v_xor_b32_e32 v32, 0x80000000, v15
	v_cmp_gt_f64_e32 vcc, 0, v[14:15]
	s_nop 1
	v_cndmask_b32_e32 v37, v15, v32, vcc
	v_cmp_ngt_f64_e32 vcc, v[34:35], v[36:37]
                                        ; implicit-def: $vgpr32_vgpr33
	s_and_saveexec_b64 s[4:5], vcc
	s_xor_b64 s[4:5], exec, s[4:5]
	s_cbranch_execz .LBB337_41
; %bb.38:                               ;   in Loop: Header=BB337_5 Depth=1
	v_mov_b64_e32 v[32:33], 0
	v_cmp_neq_f64_e32 vcc, 0, v[14:15]
	s_and_saveexec_b64 s[26:27], vcc
	s_cbranch_execz .LBB337_40
; %bb.39:                               ;   in Loop: Header=BB337_5 Depth=1
	v_div_scale_f64 v[32:33], s[34:35], v[36:37], v[36:37], v[34:35]
	v_rcp_f64_e32 v[38:39], v[32:33]
	v_div_scale_f64 v[48:49], vcc, v[34:35], v[36:37], v[34:35]
	v_fma_f64 v[50:51], -v[32:33], v[38:39], 1.0
	v_fmac_f64_e32 v[38:39], v[38:39], v[50:51]
	v_fma_f64 v[50:51], -v[32:33], v[38:39], 1.0
	v_fmac_f64_e32 v[38:39], v[38:39], v[50:51]
	v_mul_f64 v[50:51], v[48:49], v[38:39]
	v_fma_f64 v[32:33], -v[32:33], v[50:51], v[48:49]
	v_div_fmas_f64 v[32:33], v[32:33], v[38:39], v[50:51]
	v_div_fixup_f64 v[32:33], v[32:33], v[36:37], v[34:35]
	v_fma_f64 v[32:33], v[32:33], v[32:33], 1.0
	v_cmp_gt_f64_e32 vcc, s[22:23], v[32:33]
	s_nop 1
	v_cndmask_b32_e32 v34, 0, v62, vcc
	v_ldexp_f64 v[32:33], v[32:33], v34
	v_rsq_f64_e32 v[34:35], v[32:33]
	s_nop 0
	v_mul_f64 v[38:39], v[32:33], v[34:35]
	v_mul_f64 v[34:35], v[34:35], 0.5
	v_fma_f64 v[48:49], -v[34:35], v[38:39], 0.5
	v_fmac_f64_e32 v[38:39], v[38:39], v[48:49]
	v_fma_f64 v[50:51], -v[38:39], v[38:39], v[32:33]
	v_fmac_f64_e32 v[34:35], v[34:35], v[48:49]
	v_fmac_f64_e32 v[38:39], v[50:51], v[34:35]
	v_fma_f64 v[48:49], -v[38:39], v[38:39], v[32:33]
	v_fmac_f64_e32 v[38:39], v[48:49], v[34:35]
	v_cndmask_b32_e32 v34, 0, v63, vcc
	v_ldexp_f64 v[34:35], v[38:39], v34
	v_cmp_class_f64_e32 vcc, v[32:33], v59
	s_nop 1
	v_cndmask_b32_e32 v33, v35, v33, vcc
	v_cndmask_b32_e32 v32, v34, v32, vcc
	v_mul_f64 v[32:33], v[36:37], v[32:33]
.LBB337_40:                             ;   in Loop: Header=BB337_5 Depth=1
	s_or_b64 exec, exec, s[26:27]
                                        ; implicit-def: $vgpr34_vgpr35
                                        ; implicit-def: $vgpr36_vgpr37
.LBB337_41:                             ;   in Loop: Header=BB337_5 Depth=1
	s_andn2_saveexec_b64 s[4:5], s[4:5]
	s_cbranch_execz .LBB337_43
; %bb.42:                               ;   in Loop: Header=BB337_5 Depth=1
	v_div_scale_f64 v[32:33], s[26:27], v[34:35], v[34:35], v[36:37]
	v_rcp_f64_e32 v[38:39], v[32:33]
	v_div_scale_f64 v[48:49], vcc, v[36:37], v[34:35], v[36:37]
	v_fma_f64 v[50:51], -v[32:33], v[38:39], 1.0
	v_fmac_f64_e32 v[38:39], v[38:39], v[50:51]
	v_fma_f64 v[50:51], -v[32:33], v[38:39], 1.0
	v_fmac_f64_e32 v[38:39], v[38:39], v[50:51]
	v_mul_f64 v[50:51], v[48:49], v[38:39]
	v_fma_f64 v[32:33], -v[32:33], v[50:51], v[48:49]
	v_div_fmas_f64 v[32:33], v[32:33], v[38:39], v[50:51]
	v_div_fixup_f64 v[32:33], v[32:33], v[34:35], v[36:37]
	v_fma_f64 v[32:33], v[32:33], v[32:33], 1.0
	v_cmp_gt_f64_e32 vcc, s[22:23], v[32:33]
	s_nop 1
	v_cndmask_b32_e32 v36, 0, v62, vcc
	v_ldexp_f64 v[32:33], v[32:33], v36
	v_rsq_f64_e32 v[36:37], v[32:33]
	s_nop 0
	v_mul_f64 v[38:39], v[32:33], v[36:37]
	v_mul_f64 v[36:37], v[36:37], 0.5
	v_fma_f64 v[48:49], -v[36:37], v[38:39], 0.5
	v_fmac_f64_e32 v[38:39], v[38:39], v[48:49]
	v_fma_f64 v[50:51], -v[38:39], v[38:39], v[32:33]
	v_fmac_f64_e32 v[36:37], v[36:37], v[48:49]
	v_fmac_f64_e32 v[38:39], v[50:51], v[36:37]
	v_fma_f64 v[48:49], -v[38:39], v[38:39], v[32:33]
	v_fmac_f64_e32 v[38:39], v[48:49], v[36:37]
	v_cndmask_b32_e32 v36, 0, v63, vcc
	v_ldexp_f64 v[36:37], v[38:39], v36
	v_cmp_class_f64_e32 vcc, v[32:33], v59
	s_nop 1
	v_cndmask_b32_e32 v33, v37, v33, vcc
	v_cndmask_b32_e32 v32, v36, v32, vcc
	v_mul_f64 v[32:33], v[34:35], v[32:33]
.LBB337_43:                             ;   in Loop: Header=BB337_5 Depth=1
	s_or_b64 exec, exec, s[4:5]
	v_xor_b32_e32 v34, 0x80000000, v1
	v_cmp_gt_f64_e32 vcc, 0, v[0:1]
	v_mov_b32_e32 v36, v0
	v_mov_b32_e32 v38, v2
	v_cndmask_b32_e32 v37, v1, v34, vcc
	v_xor_b32_e32 v34, 0x80000000, v3
	v_cmp_gt_f64_e32 vcc, 0, v[2:3]
	s_nop 1
	v_cndmask_b32_e32 v39, v3, v34, vcc
	v_cmp_ngt_f64_e32 vcc, v[36:37], v[38:39]
                                        ; implicit-def: $vgpr34_vgpr35
	s_and_saveexec_b64 s[4:5], vcc
	s_xor_b64 s[4:5], exec, s[4:5]
	s_cbranch_execz .LBB337_47
; %bb.44:                               ;   in Loop: Header=BB337_5 Depth=1
	v_mov_b64_e32 v[34:35], 0
	v_cmp_neq_f64_e32 vcc, 0, v[2:3]
	s_and_saveexec_b64 s[26:27], vcc
	s_cbranch_execz .LBB337_46
; %bb.45:                               ;   in Loop: Header=BB337_5 Depth=1
	v_div_scale_f64 v[34:35], s[34:35], v[38:39], v[38:39], v[36:37]
	v_rcp_f64_e32 v[48:49], v[34:35]
	v_div_scale_f64 v[50:51], vcc, v[36:37], v[38:39], v[36:37]
	v_fma_f64 v[52:53], -v[34:35], v[48:49], 1.0
	v_fmac_f64_e32 v[48:49], v[48:49], v[52:53]
	v_fma_f64 v[52:53], -v[34:35], v[48:49], 1.0
	v_fmac_f64_e32 v[48:49], v[48:49], v[52:53]
	v_mul_f64 v[52:53], v[50:51], v[48:49]
	v_fma_f64 v[34:35], -v[34:35], v[52:53], v[50:51]
	v_div_fmas_f64 v[34:35], v[34:35], v[48:49], v[52:53]
	v_div_fixup_f64 v[34:35], v[34:35], v[38:39], v[36:37]
	v_fma_f64 v[34:35], v[34:35], v[34:35], 1.0
	v_cmp_gt_f64_e32 vcc, s[22:23], v[34:35]
	s_nop 1
	v_cndmask_b32_e32 v36, 0, v62, vcc
	v_ldexp_f64 v[34:35], v[34:35], v36
	v_rsq_f64_e32 v[36:37], v[34:35]
	s_nop 0
	v_mul_f64 v[48:49], v[34:35], v[36:37]
	v_mul_f64 v[36:37], v[36:37], 0.5
	v_fma_f64 v[50:51], -v[36:37], v[48:49], 0.5
	v_fmac_f64_e32 v[48:49], v[48:49], v[50:51]
	v_fma_f64 v[52:53], -v[48:49], v[48:49], v[34:35]
	v_fmac_f64_e32 v[36:37], v[36:37], v[50:51]
	v_fmac_f64_e32 v[48:49], v[52:53], v[36:37]
	v_fma_f64 v[50:51], -v[48:49], v[48:49], v[34:35]
	v_fmac_f64_e32 v[48:49], v[50:51], v[36:37]
	v_cndmask_b32_e32 v36, 0, v63, vcc
	v_ldexp_f64 v[36:37], v[48:49], v36
	v_cmp_class_f64_e32 vcc, v[34:35], v59
	s_nop 1
	v_cndmask_b32_e32 v35, v37, v35, vcc
	v_cndmask_b32_e32 v34, v36, v34, vcc
	v_mul_f64 v[34:35], v[38:39], v[34:35]
.LBB337_46:                             ;   in Loop: Header=BB337_5 Depth=1
	s_or_b64 exec, exec, s[26:27]
                                        ; implicit-def: $vgpr36_vgpr37
                                        ; implicit-def: $vgpr38_vgpr39
.LBB337_47:                             ;   in Loop: Header=BB337_5 Depth=1
	s_andn2_saveexec_b64 s[4:5], s[4:5]
	s_cbranch_execz .LBB337_49
; %bb.48:                               ;   in Loop: Header=BB337_5 Depth=1
	v_div_scale_f64 v[34:35], s[26:27], v[36:37], v[36:37], v[38:39]
	v_rcp_f64_e32 v[48:49], v[34:35]
	v_div_scale_f64 v[50:51], vcc, v[38:39], v[36:37], v[38:39]
	v_fma_f64 v[52:53], -v[34:35], v[48:49], 1.0
	v_fmac_f64_e32 v[48:49], v[48:49], v[52:53]
	v_fma_f64 v[52:53], -v[34:35], v[48:49], 1.0
	v_fmac_f64_e32 v[48:49], v[48:49], v[52:53]
	v_mul_f64 v[52:53], v[50:51], v[48:49]
	v_fma_f64 v[34:35], -v[34:35], v[52:53], v[50:51]
	v_div_fmas_f64 v[34:35], v[34:35], v[48:49], v[52:53]
	v_div_fixup_f64 v[34:35], v[34:35], v[36:37], v[38:39]
	v_fma_f64 v[34:35], v[34:35], v[34:35], 1.0
	v_cmp_gt_f64_e32 vcc, s[22:23], v[34:35]
	s_nop 1
	v_cndmask_b32_e32 v38, 0, v62, vcc
	v_ldexp_f64 v[34:35], v[34:35], v38
	v_rsq_f64_e32 v[38:39], v[34:35]
	s_nop 0
	v_mul_f64 v[48:49], v[34:35], v[38:39]
	v_mul_f64 v[38:39], v[38:39], 0.5
	v_fma_f64 v[50:51], -v[38:39], v[48:49], 0.5
	v_fmac_f64_e32 v[48:49], v[48:49], v[50:51]
	v_fma_f64 v[52:53], -v[48:49], v[48:49], v[34:35]
	v_fmac_f64_e32 v[38:39], v[38:39], v[50:51]
	v_fmac_f64_e32 v[48:49], v[52:53], v[38:39]
	v_fma_f64 v[50:51], -v[48:49], v[48:49], v[34:35]
	v_fmac_f64_e32 v[48:49], v[50:51], v[38:39]
	v_cndmask_b32_e32 v38, 0, v63, vcc
	v_ldexp_f64 v[38:39], v[48:49], v38
	v_cmp_class_f64_e32 vcc, v[34:35], v59
	s_nop 1
	v_cndmask_b32_e32 v35, v39, v35, vcc
	v_cndmask_b32_e32 v34, v38, v34, vcc
	v_mul_f64 v[34:35], v[36:37], v[34:35]
.LBB337_49:                             ;   in Loop: Header=BB337_5 Depth=1
	s_or_b64 exec, exec, s[4:5]
	v_mul_f64 v[48:49], v[18:19], -v[6:7]
	v_fmac_f64_e32 v[48:49], v[4:5], v[16:17]
	v_mul_f64 v[50:51], v[18:19], v[4:5]
	v_fmac_f64_e32 v[50:51], v[6:7], v[16:17]
	v_xor_b32_e32 v36, 0x80000000, v49
	v_cmp_gt_f64_e32 vcc, 0, v[48:49]
	v_xor_b32_e32 v38, 0x80000000, v51
                                        ; implicit-def: $vgpr52_vgpr53
	s_nop 0
	v_cndmask_b32_e32 v37, v49, v36, vcc
	v_cmp_gt_f64_e32 vcc, 0, v[50:51]
	v_mov_b32_e32 v36, v48
	s_nop 0
	v_cndmask_b32_e32 v39, v51, v38, vcc
	v_mov_b32_e32 v38, v50
	v_cmp_ngt_f64_e32 vcc, v[36:37], v[38:39]
	s_and_saveexec_b64 s[4:5], vcc
	s_xor_b64 s[4:5], exec, s[4:5]
	s_cbranch_execz .LBB337_53
; %bb.50:                               ;   in Loop: Header=BB337_5 Depth=1
	v_mov_b64_e32 v[52:53], 0
	v_cmp_neq_f64_e32 vcc, 0, v[50:51]
	s_and_saveexec_b64 s[26:27], vcc
	s_cbranch_execz .LBB337_52
; %bb.51:                               ;   in Loop: Header=BB337_5 Depth=1
	v_div_scale_f64 v[52:53], s[34:35], v[38:39], v[38:39], v[36:37]
	v_rcp_f64_e32 v[54:55], v[52:53]
	v_div_scale_f64 v[56:57], vcc, v[36:37], v[38:39], v[36:37]
	v_fma_f64 v[64:65], -v[52:53], v[54:55], 1.0
	v_fmac_f64_e32 v[54:55], v[54:55], v[64:65]
	v_fma_f64 v[64:65], -v[52:53], v[54:55], 1.0
	v_fmac_f64_e32 v[54:55], v[54:55], v[64:65]
	v_mul_f64 v[64:65], v[56:57], v[54:55]
	v_fma_f64 v[52:53], -v[52:53], v[64:65], v[56:57]
	v_div_fmas_f64 v[52:53], v[52:53], v[54:55], v[64:65]
	v_div_fixup_f64 v[36:37], v[52:53], v[38:39], v[36:37]
	v_fma_f64 v[36:37], v[36:37], v[36:37], 1.0
	v_cmp_gt_f64_e32 vcc, s[22:23], v[36:37]
	s_nop 1
	v_cndmask_b32_e32 v45, 0, v62, vcc
	v_ldexp_f64 v[36:37], v[36:37], v45
	v_rsq_f64_e32 v[52:53], v[36:37]
	v_cndmask_b32_e32 v45, 0, v63, vcc
	v_cmp_class_f64_e32 vcc, v[36:37], v59
	v_mul_f64 v[54:55], v[36:37], v[52:53]
	v_mul_f64 v[52:53], v[52:53], 0.5
	v_fma_f64 v[56:57], -v[52:53], v[54:55], 0.5
	v_fmac_f64_e32 v[54:55], v[54:55], v[56:57]
	v_fma_f64 v[64:65], -v[54:55], v[54:55], v[36:37]
	v_fmac_f64_e32 v[52:53], v[52:53], v[56:57]
	v_fmac_f64_e32 v[54:55], v[64:65], v[52:53]
	v_fma_f64 v[56:57], -v[54:55], v[54:55], v[36:37]
	v_fmac_f64_e32 v[54:55], v[56:57], v[52:53]
	v_ldexp_f64 v[52:53], v[54:55], v45
	v_cndmask_b32_e32 v37, v53, v37, vcc
	v_cndmask_b32_e32 v36, v52, v36, vcc
	v_mul_f64 v[52:53], v[38:39], v[36:37]
.LBB337_52:                             ;   in Loop: Header=BB337_5 Depth=1
	s_or_b64 exec, exec, s[26:27]
                                        ; implicit-def: $vgpr36_vgpr37
                                        ; implicit-def: $vgpr38_vgpr39
.LBB337_53:                             ;   in Loop: Header=BB337_5 Depth=1
	s_andn2_saveexec_b64 s[4:5], s[4:5]
	s_cbranch_execz .LBB337_55
; %bb.54:                               ;   in Loop: Header=BB337_5 Depth=1
	v_div_scale_f64 v[52:53], s[26:27], v[36:37], v[36:37], v[38:39]
	v_rcp_f64_e32 v[54:55], v[52:53]
	v_div_scale_f64 v[56:57], vcc, v[38:39], v[36:37], v[38:39]
	v_fma_f64 v[64:65], -v[52:53], v[54:55], 1.0
	v_fmac_f64_e32 v[54:55], v[54:55], v[64:65]
	v_fma_f64 v[64:65], -v[52:53], v[54:55], 1.0
	v_fmac_f64_e32 v[54:55], v[54:55], v[64:65]
	v_mul_f64 v[64:65], v[56:57], v[54:55]
	v_fma_f64 v[52:53], -v[52:53], v[64:65], v[56:57]
	v_div_fmas_f64 v[52:53], v[52:53], v[54:55], v[64:65]
	v_div_fixup_f64 v[38:39], v[52:53], v[36:37], v[38:39]
	v_fma_f64 v[38:39], v[38:39], v[38:39], 1.0
	v_cmp_gt_f64_e32 vcc, s[22:23], v[38:39]
	s_nop 1
	v_cndmask_b32_e32 v45, 0, v62, vcc
	v_ldexp_f64 v[38:39], v[38:39], v45
	v_rsq_f64_e32 v[52:53], v[38:39]
	v_cndmask_b32_e32 v45, 0, v63, vcc
	v_cmp_class_f64_e32 vcc, v[38:39], v59
	v_mul_f64 v[54:55], v[38:39], v[52:53]
	v_mul_f64 v[52:53], v[52:53], 0.5
	v_fma_f64 v[56:57], -v[52:53], v[54:55], 0.5
	v_fmac_f64_e32 v[54:55], v[54:55], v[56:57]
	v_fma_f64 v[64:65], -v[54:55], v[54:55], v[38:39]
	v_fmac_f64_e32 v[52:53], v[52:53], v[56:57]
	v_fmac_f64_e32 v[54:55], v[64:65], v[52:53]
	v_fma_f64 v[56:57], -v[54:55], v[54:55], v[38:39]
	v_fmac_f64_e32 v[54:55], v[56:57], v[52:53]
	v_ldexp_f64 v[52:53], v[54:55], v45
	v_cndmask_b32_e32 v39, v53, v39, vcc
	v_cndmask_b32_e32 v38, v52, v38, vcc
	v_mul_f64 v[52:53], v[36:37], v[38:39]
.LBB337_55:                             ;   in Loop: Header=BB337_5 Depth=1
	s_or_b64 exec, exec, s[4:5]
	v_cmp_lt_f64_e32 vcc, v[24:25], v[26:27]
	v_cmp_ne_u32_e64 s[4:5], s30, v44
	s_nop 0
	v_cndmask_b32_e32 v25, v25, v27, vcc
	v_cndmask_b32_e32 v24, v24, v26, vcc
	v_cmp_lt_f64_e32 vcc, v[28:29], v[24:25]
	v_mul_f64 v[26:27], v[52:53], s[24:25]
	s_nop 0
	v_cndmask_b32_e32 v25, v29, v25, vcc
	v_cndmask_b32_e32 v24, v28, v24, vcc
	v_cmp_lt_f64_e32 vcc, v[30:31], v[24:25]
	s_nop 1
	v_cndmask_b32_e32 v25, v31, v25, vcc
	v_cndmask_b32_e32 v24, v30, v24, vcc
	v_cmp_lt_f64_e32 vcc, v[32:33], v[24:25]
	s_nop 1
	v_cndmask_b32_e32 v25, v33, v25, vcc
	v_cndmask_b32_e32 v24, v32, v24, vcc
	v_mul_f64 v[24:25], v[24:25], v[34:35]
	v_cmp_nge_f64_e32 vcc, v[24:25], v[26:27]
	s_and_b64 s[4:5], s[4:5], vcc
	s_and_saveexec_b64 s[26:27], s[4:5]
	s_xor_b64 s[4:5], exec, s[26:27]
	s_cbranch_execz .LBB337_61
; %bb.56:                               ;   in Loop: Header=BB337_5 Depth=1
	v_add_u32_e32 v52, v58, v44
	v_ashrrev_i32_e32 v45, 31, v44
	v_lshlrev_b64 v[64:65], 4, v[46:47]
	v_ashrrev_i32_e32 v53, 31, v52
	v_lshl_add_u64 v[68:69], v[44:45], 4, v[42:43]
	v_lshl_add_u64 v[70:71], s[12:13], 0, v[64:65]
	v_lshlrev_b64 v[36:37], 4, v[52:53]
	global_load_dwordx4 v[24:27], v[68:69], off
	global_load_dwordx4 v[32:35], v[70:71], off
	v_lshl_add_u64 v[56:57], s[10:11], 0, v[36:37]
	global_load_dwordx4 v[28:31], v[56:57], off
	v_lshl_add_u64 v[54:55], s[12:13], 0, v[36:37]
	global_load_dwordx4 v[36:39], v[54:55], off
	v_mul_f64 v[66:67], v[10:11], -v[2:3]
	v_mul_f64 v[72:73], v[0:1], v[10:11]
	v_fmac_f64_e32 v[66:67], v[0:1], v[8:9]
	v_fmac_f64_e32 v[72:73], v[2:3], v[8:9]
	v_lshl_add_u64 v[78:79], v[46:47], 2, s[6:7]
	v_add_f64 v[46:47], v[66:67], -v[48:49]
	v_add_f64 v[48:49], v[72:73], -v[50:51]
	v_mul_f64 v[50:51], v[48:49], v[48:49]
	v_fmac_f64_e32 v[50:51], v[46:47], v[46:47]
	v_div_scale_f64 v[66:67], s[26:27], v[50:51], v[50:51], 1.0
	v_rcp_f64_e32 v[72:73], v[66:67]
	v_lshl_add_u64 v[80:81], s[14:15], 0, v[64:65]
	v_fma_f64 v[64:65], 0, v[48:49], v[46:47]
	v_fma_f64 v[48:49], v[46:47], 0, -v[48:49]
	v_fma_f64 v[82:83], -v[66:67], v[72:73], 1.0
	v_fmac_f64_e32 v[72:73], v[72:73], v[82:83]
	v_fma_f64 v[82:83], -v[66:67], v[72:73], 1.0
	v_div_scale_f64 v[46:47], vcc, 1.0, v[50:51], 1.0
	v_fmac_f64_e32 v[72:73], v[72:73], v[82:83]
	v_mul_f64 v[82:83], v[46:47], v[72:73]
	v_fma_f64 v[46:47], -v[66:67], v[82:83], v[46:47]
	s_nop 0
	v_div_fmas_f64 v[46:47], v[46:47], v[72:73], v[82:83]
	v_mul_f64 v[74:75], v[18:19], v[14:15]
	v_mul_f64 v[76:77], v[14:15], -v[16:17]
	v_div_fixup_f64 v[50:51], v[46:47], v[50:51], 1.0
	v_fma_f64 v[74:75], -v[16:17], v[12:13], v[74:75]
	v_fma_f64 v[76:77], -v[18:19], v[12:13], v[76:77]
	v_mul_f64 v[48:49], v[48:49], v[50:51]
	v_mul_f64 v[46:47], v[64:65], v[50:51]
	v_mul_f64 v[64:65], v[48:49], -v[76:77]
	v_mul_f64 v[66:67], v[48:49], v[74:75]
	v_fmac_f64_e32 v[64:65], v[74:75], v[46:47]
	v_fmac_f64_e32 v[66:67], v[76:77], v[46:47]
	global_store_dwordx4 v[80:81], v[64:67], off
	s_waitcnt vmcnt(4)
	v_mul_f64 v[50:51], v[26:27], -v[10:11]
	v_mul_f64 v[64:65], v[8:9], v[26:27]
	s_waitcnt vmcnt(3)
	v_mul_f64 v[66:67], v[34:35], -v[10:11]
	v_mul_f64 v[72:73], v[8:9], v[34:35]
	v_fmac_f64_e32 v[50:51], v[8:9], v[24:25]
	v_fmac_f64_e32 v[64:65], v[10:11], v[24:25]
	;; [unrolled: 1-line block ×4, first 2 shown]
	s_waitcnt vmcnt(2)
	v_mul_f64 v[8:9], v[30:31], -v[18:19]
	v_mul_f64 v[10:11], v[16:17], v[30:31]
	s_waitcnt vmcnt(1)
	v_mul_f64 v[74:75], v[38:39], -v[18:19]
	v_mul_f64 v[76:77], v[16:17], v[38:39]
	v_fmac_f64_e32 v[8:9], v[16:17], v[28:29]
	v_fmac_f64_e32 v[10:11], v[18:19], v[28:29]
	;; [unrolled: 1-line block ×4, first 2 shown]
	v_add_f64 v[50:51], v[50:51], -v[8:9]
	v_add_f64 v[64:65], v[64:65], -v[10:11]
	v_add_f64 v[66:67], v[66:67], -v[74:75]
	v_add_f64 v[72:73], v[72:73], -v[76:77]
	v_mul_f64 v[8:9], v[48:49], -v[64:65]
	v_mul_f64 v[10:11], v[48:49], v[50:51]
	v_mul_f64 v[16:17], v[48:49], -v[72:73]
	v_mul_f64 v[18:19], v[48:49], v[66:67]
	v_fmac_f64_e32 v[8:9], v[50:51], v[46:47]
	v_fmac_f64_e32 v[10:11], v[64:65], v[46:47]
	;; [unrolled: 1-line block ×4, first 2 shown]
	global_store_dwordx4 v[68:69], v[8:11], off
	global_store_dwordx4 v[70:71], v[16:19], off
	global_store_dword v[78:79], v60, off
	s_and_saveexec_b64 s[26:27], s[0:1]
	s_cbranch_execz .LBB337_58
; %bb.57:                               ;   in Loop: Header=BB337_5 Depth=1
	v_mul_f64 v[8:9], v[6:7], v[26:27]
	v_mul_f64 v[10:11], v[26:27], -v[4:5]
	v_mul_f64 v[16:17], v[30:31], -v[2:3]
	v_mul_f64 v[18:19], v[0:1], v[30:31]
	v_fma_f64 v[8:9], -v[4:5], v[24:25], v[8:9]
	v_fma_f64 v[10:11], -v[6:7], v[24:25], v[10:11]
	v_fmac_f64_e32 v[16:17], v[0:1], v[28:29]
	v_fmac_f64_e32 v[18:19], v[2:3], v[28:29]
	v_add_f64 v[16:17], v[8:9], v[16:17]
	v_add_f64 v[18:19], v[10:11], v[18:19]
	v_mul_f64 v[8:9], v[48:49], -v[18:19]
	v_mul_f64 v[10:11], v[48:49], v[16:17]
	v_fmac_f64_e32 v[8:9], v[16:17], v[46:47]
	v_fmac_f64_e32 v[10:11], v[18:19], v[46:47]
	global_store_dwordx4 v[56:57], v[8:11], off
	v_mul_f64 v[16:17], v[38:39], -v[2:3]
	v_mul_f64 v[18:19], v[0:1], v[38:39]
	v_mul_f64 v[8:9], v[6:7], v[34:35]
	v_mul_f64 v[10:11], v[34:35], -v[4:5]
	v_fma_f64 v[8:9], -v[4:5], v[32:33], v[8:9]
	v_fma_f64 v[10:11], -v[6:7], v[32:33], v[10:11]
	v_fmac_f64_e32 v[16:17], v[0:1], v[36:37]
	v_fmac_f64_e32 v[18:19], v[2:3], v[36:37]
	v_add_f64 v[16:17], v[8:9], v[16:17]
	v_add_f64 v[18:19], v[10:11], v[18:19]
	v_mul_f64 v[8:9], v[48:49], -v[18:19]
	v_mul_f64 v[10:11], v[48:49], v[16:17]
	v_fmac_f64_e32 v[8:9], v[16:17], v[46:47]
	v_fmac_f64_e32 v[10:11], v[18:19], v[46:47]
	v_mul_f64 v[16:17], v[0:1], v[14:15]
	global_store_dwordx4 v[54:55], v[8:11], off
	v_fmac_f64_e32 v[16:17], v[2:3], v[12:13]
	s_nop 0
	v_mul_f64 v[10:11], v[14:15], -v[2:3]
	v_fmac_f64_e32 v[10:11], v[0:1], v[12:13]
	v_mul_f64 v[8:9], v[48:49], -v[16:17]
	v_fmac_f64_e32 v[8:9], v[10:11], v[46:47]
	v_mul_f64 v[10:11], v[48:49], v[10:11]
	v_fmac_f64_e32 v[10:11], v[16:17], v[46:47]
	v_lshl_add_u64 v[16:17], v[52:53], 4, s[14:15]
	global_store_dwordx4 v[16:17], v[8:11], off
	s_nop 1
	v_lshl_add_u64 v[8:9], v[52:53], 2, s[6:7]
	global_store_dword v[8:9], v60, off
.LBB337_58:                             ;   in Loop: Header=BB337_5 Depth=1
	s_or_b64 exec, exec, s[26:27]
	v_mov_b64_e32 v[10:11], 0
	v_mov_b64_e32 v[8:9], 0
	s_and_saveexec_b64 s[26:27], s[2:3]
	s_cbranch_execz .LBB337_60
; %bb.59:                               ;   in Loop: Header=BB337_5 Depth=1
	v_add_u32_e32 v8, v41, v44
	v_ashrrev_i32_e32 v9, 31, v8
	v_lshlrev_b64 v[16:17], 4, v[8:9]
	v_lshl_add_u64 v[32:33], s[10:11], 0, v[16:17]
	v_lshl_add_u64 v[16:17], s[18:19], 0, v[16:17]
	global_load_dwordx4 v[8:11], v[32:33], off
	v_mul_f64 v[34:35], v[6:7], v[22:23]
	global_load_dwordx4 v[16:19], v[16:17], off
	v_mul_f64 v[36:37], v[22:23], -v[4:5]
	v_mul_f64 v[38:39], v[22:23], -v[2:3]
	v_mul_f64 v[50:51], v[0:1], v[22:23]
	v_mul_f64 v[52:53], v[2:3], -v[22:23]
	v_mul_f64 v[54:55], v[2:3], v[20:21]
	v_fma_f64 v[4:5], -v[4:5], v[20:21], v[34:35]
	v_fma_f64 v[6:7], -v[6:7], v[20:21], v[36:37]
	v_fmac_f64_e32 v[38:39], v[0:1], v[20:21]
	v_fmac_f64_e32 v[50:51], v[2:3], v[20:21]
	;; [unrolled: 1-line block ×4, first 2 shown]
	v_mul_f64 v[0:1], v[48:49], -v[6:7]
	v_mul_f64 v[2:3], v[48:49], v[4:5]
	v_mul_f64 v[20:21], v[48:49], -v[50:51]
	v_mul_f64 v[22:23], v[48:49], v[38:39]
	;; [unrolled: 2-line block ×3, first 2 shown]
	v_fmac_f64_e32 v[0:1], v[4:5], v[46:47]
	v_fmac_f64_e32 v[2:3], v[6:7], v[46:47]
	;; [unrolled: 1-line block ×6, first 2 shown]
	v_mul_f64 v[4:5], v[2:3], v[26:27]
	v_mul_f64 v[6:7], v[26:27], -v[0:1]
	v_mul_f64 v[12:13], v[30:31], -v[22:23]
	v_mul_f64 v[26:27], v[20:21], v[30:31]
	v_mul_f64 v[30:31], v[48:49], -v[14:15]
	v_mul_f64 v[36:37], v[48:49], v[34:35]
	v_fma_f64 v[0:1], -v[0:1], v[24:25], v[4:5]
	v_fma_f64 v[2:3], -v[2:3], v[24:25], v[6:7]
	v_fmac_f64_e32 v[12:13], v[20:21], v[28:29]
	v_fmac_f64_e32 v[26:27], v[22:23], v[28:29]
	;; [unrolled: 1-line block ×4, first 2 shown]
	v_add_f64 v[0:1], v[0:1], -v[12:13]
	v_add_f64 v[2:3], v[2:3], -v[26:27]
	s_waitcnt vmcnt(1)
	v_add_f64 v[0:1], v[0:1], v[8:9]
	v_add_f64 v[2:3], v[2:3], v[10:11]
	s_waitcnt vmcnt(0)
	v_add_f64 v[8:9], v[16:17], -v[30:31]
	v_add_f64 v[10:11], v[18:19], -v[36:37]
	global_store_dwordx4 v[32:33], v[0:3], off
.LBB337_60:                             ;   in Loop: Header=BB337_5 Depth=1
	s_or_b64 exec, exec, s[26:27]
	s_nop 0
	v_mov_b64_e32 v[2:3], v[10:11]
	v_mov_b64_e32 v[0:1], v[8:9]
                                        ; implicit-def: $vgpr4_vgpr5
                                        ; implicit-def: $vgpr8_vgpr9
                                        ; implicit-def: $vgpr48_vgpr49
                                        ; implicit-def: $vgpr50_vgpr51
                                        ; implicit-def: $vgpr46_vgpr47
                                        ; implicit-def: $vgpr18_vgpr19
.LBB337_61:                             ;   in Loop: Header=BB337_5 Depth=1
	s_or_saveexec_b64 s[2:3], s[4:5]
	v_mov_b32_e32 v12, s33
	s_xor_b64 exec, exec, s[2:3]
	s_cbranch_execz .LBB337_4
; %bb.62:                               ;   in Loop: Header=BB337_5 Depth=1
	v_ashrrev_i32_e32 v45, 31, v44
	v_lshl_add_u64 v[28:29], v[44:45], 4, v[42:43]
	v_lshlrev_b64 v[24:25], 4, v[46:47]
	global_load_dwordx4 v[12:15], v[28:29], off
	v_lshl_add_u64 v[30:31], s[12:13], 0, v[24:25]
	global_load_dwordx4 v[20:23], v[30:31], off
	v_mul_f64 v[26:27], v[2:3], v[2:3]
	v_fmac_f64_e32 v[26:27], v[0:1], v[0:1]
	v_fma_f64 v[32:33], 0, v[2:3], v[0:1]
	v_fma_f64 v[2:3], v[0:1], 0, -v[2:3]
	v_div_scale_f64 v[0:1], s[4:5], v[26:27], v[26:27], 1.0
	v_rcp_f64_e32 v[36:37], v[0:1]
	v_lshl_add_u64 v[34:35], v[46:47], 2, s[6:7]
	v_lshl_add_u64 v[38:39], s[14:15], 0, v[24:25]
	v_div_scale_f64 v[24:25], vcc, 1.0, v[26:27], 1.0
	v_fma_f64 v[46:47], -v[0:1], v[36:37], 1.0
	v_fmac_f64_e32 v[36:37], v[36:37], v[46:47]
	v_fma_f64 v[46:47], -v[0:1], v[36:37], 1.0
	v_fmac_f64_e32 v[36:37], v[36:37], v[46:47]
	v_mul_f64 v[46:47], v[24:25], v[36:37]
	v_fma_f64 v[0:1], -v[0:1], v[46:47], v[24:25]
	v_div_fmas_f64 v[0:1], v[0:1], v[36:37], v[46:47]
	v_div_fixup_f64 v[24:25], v[0:1], v[26:27], 1.0
	v_mul_f64 v[2:3], v[2:3], v[24:25]
	v_mul_f64 v[0:1], v[32:33], v[24:25]
	v_mul_f64 v[24:25], v[2:3], -v[18:19]
	v_mul_f64 v[26:27], v[2:3], v[16:17]
	v_fmac_f64_e32 v[24:25], v[16:17], v[0:1]
	v_fmac_f64_e32 v[26:27], v[18:19], v[0:1]
	global_store_dwordx4 v[38:39], v[24:27], off
	s_waitcnt vmcnt(2)
	v_mul_f64 v[16:17], v[2:3], -v[14:15]
	v_mul_f64 v[18:19], v[2:3], v[12:13]
	s_waitcnt vmcnt(1)
	v_mul_f64 v[24:25], v[2:3], -v[22:23]
	v_mul_f64 v[26:27], v[2:3], v[20:21]
	v_fmac_f64_e32 v[16:17], v[12:13], v[0:1]
	v_fmac_f64_e32 v[18:19], v[14:15], v[0:1]
	;; [unrolled: 1-line block ×4, first 2 shown]
	global_store_dwordx4 v[28:29], v[16:19], off
	global_store_dwordx4 v[30:31], v[24:27], off
	global_store_dword v[34:35], v61, off
	s_and_saveexec_b64 s[4:5], s[0:1]
	s_cbranch_execz .LBB337_3
; %bb.63:                               ;   in Loop: Header=BB337_5 Depth=1
	v_add_u32_e32 v16, v58, v44
	v_ashrrev_i32_e32 v17, 31, v16
	v_lshl_add_u64 v[20:21], v[16:17], 4, s[10:11]
	global_load_dwordx4 v[16:19], v[20:21], off
	v_mul_f64 v[22:23], v[2:3], v[4:5]
	v_mul_f64 v[24:25], v[2:3], -v[6:7]
	v_fmac_f64_e32 v[22:23], v[6:7], v[0:1]
	v_fmac_f64_e32 v[24:25], v[4:5], v[0:1]
	v_mul_f64 v[4:5], v[22:23], v[14:15]
	v_mul_f64 v[6:7], v[14:15], -v[24:25]
	v_fma_f64 v[4:5], -v[24:25], v[12:13], v[4:5]
	v_fma_f64 v[6:7], -v[22:23], v[12:13], v[6:7]
	s_waitcnt vmcnt(0)
	v_add_f64 v[4:5], v[4:5], v[16:17]
	v_add_f64 v[6:7], v[6:7], v[18:19]
	global_store_dwordx4 v[20:21], v[4:7], off
	s_branch .LBB337_3
.LBB337_64:
	s_or_b64 exec, exec, s[20:21]
.LBB337_65:
	v_subrev_u32_e32 v2, s28, v44
	v_add_u32_e32 v0, v2, v40
	v_ashrrev_i32_e32 v1, 31, v0
	s_waitcnt lgkmcnt(0)
	v_lshl_add_u64 v[0:1], v[0:1], 2, s[6:7]
	buffer_wbl2 sc1
	s_waitcnt vmcnt(0)
	buffer_inv sc1
	global_load_dword v0, v[0:1], off
	s_waitcnt vmcnt(0)
	v_mul_lo_u32 v0, v0, s28
	v_sub_u32_e32 v4, v2, v0
	v_cmp_lt_i32_e32 vcc, -1, v4
	s_and_b64 exec, exec, vcc
	s_cbranch_execz .LBB337_72
; %bb.66:
	v_subrev_u32_e32 v12, s28, v40
	s_lshl_b32 s4, s28, 1
	s_mov_b64 s[0:1], 0
	s_branch .LBB337_68
.LBB337_67:                             ;   in Loop: Header=BB337_68 Depth=1
	s_or_b64 exec, exec, s[2:3]
	v_lshl_add_u64 v[6:7], v[6:7], 4, s[12:13]
	global_load_dwordx4 v[0:3], v[6:7], off
	v_sub_u32_e32 v4, v4, v5
	v_cmp_gt_i32_e32 vcc, 0, v4
	s_or_b64 s[0:1], vcc, s[0:1]
	s_waitcnt vmcnt(0)
	v_add_f64 v[0:1], v[0:1], v[8:9]
	v_add_f64 v[2:3], v[10:11], v[2:3]
	global_store_dwordx4 v[6:7], v[0:3], off
	s_andn2_b64 exec, exec, s[0:1]
	s_cbranch_execz .LBB337_72
.LBB337_68:                             ; =>This Inner Loop Header: Depth=1
	v_add_u32_e32 v6, v4, v40
	v_ashrrev_i32_e32 v7, 31, v6
	v_lshl_add_u64 v[0:1], v[6:7], 2, s[6:7]
	global_load_dword v5, v[0:1], off
	v_lshl_add_u64 v[0:1], v[6:7], 4, s[14:15]
	global_load_dwordx4 v[0:3], v[0:1], off
                                        ; implicit-def: $vgpr10_vgpr11
                                        ; implicit-def: $vgpr8_vgpr9
	s_waitcnt vmcnt(1)
	v_cmp_ne_u32_e32 vcc, 1, v5
	s_and_saveexec_b64 s[2:3], vcc
	s_xor_b64 s[2:3], exec, s[2:3]
	s_cbranch_execz .LBB337_70
; %bb.69:                               ;   in Loop: Header=BB337_68 Depth=1
	v_add_u32_e32 v8, v58, v4
	v_ashrrev_i32_e32 v9, 31, v8
	v_lshlrev_b64 v[14:15], 4, v[8:9]
	v_lshl_add_u64 v[30:31], s[10:11], 0, v[14:15]
	global_load_dwordx4 v[8:11], v[30:31], off
	v_lshl_add_u64 v[32:33], s[12:13], 0, v[14:15]
	v_ashrrev_i32_e32 v5, 31, v4
	global_load_dwordx4 v[14:17], v[32:33], off
	v_lshl_add_u64 v[34:35], v[4:5], 4, v[42:43]
	global_load_dwordx4 v[18:21], v[34:35], off
	v_lshl_add_u64 v[36:37], v[6:7], 4, s[12:13]
	global_load_dwordx4 v[22:25], v[36:37], off
	v_add_u32_e32 v38, v12, v4
	v_ashrrev_i32_e32 v39, 31, v38
	v_lshlrev_b64 v[44:45], 4, v[38:39]
	v_lshl_add_u64 v[6:7], s[14:15], 0, v[44:45]
	global_load_dwordx4 v[26:29], v[6:7], off
	s_waitcnt vmcnt(4)
	v_mul_f64 v[6:7], v[2:3], v[10:11]
	v_mul_f64 v[10:11], v[10:11], -v[0:1]
	v_fma_f64 v[6:7], -v[0:1], v[8:9], v[6:7]
	s_waitcnt vmcnt(3)
	v_mul_f64 v[46:47], v[2:3], v[16:17]
	v_mul_f64 v[16:17], v[16:17], -v[0:1]
	v_fma_f64 v[8:9], -v[2:3], v[8:9], v[10:11]
	v_fma_f64 v[10:11], -v[0:1], v[14:15], v[46:47]
	;; [unrolled: 1-line block ×3, first 2 shown]
	s_waitcnt vmcnt(2)
	v_add_f64 v[0:1], v[18:19], v[6:7]
	v_add_f64 v[2:3], v[8:9], v[20:21]
	global_store_dwordx4 v[34:35], v[0:3], off
	s_waitcnt vmcnt(2)
	v_add_f64 v[6:7], v[22:23], v[10:11]
	v_add_f64 v[8:9], v[14:15], v[24:25]
	global_load_dwordx4 v[0:3], v[30:31], off
	v_lshl_add_u64 v[18:19], s[10:11], 0, v[44:45]
	global_store_dwordx4 v[36:37], v[6:9], off
	global_load_dwordx4 v[6:9], v[32:33], off
	s_waitcnt vmcnt(0)
	v_mul_f64 v[20:21], v[28:29], v[8:9]
	global_load_dwordx4 v[14:17], v[18:19], off
	v_mul_f64 v[10:11], v[28:29], v[2:3]
	v_mul_f64 v[2:3], v[2:3], -v[26:27]
	v_fma_f64 v[24:25], -v[26:27], v[0:1], v[10:11]
	v_fma_f64 v[2:3], -v[28:29], v[0:1], v[2:3]
	v_mul_f64 v[22:23], v[8:9], -v[26:27]
	v_fma_f64 v[8:9], -v[26:27], v[6:7], v[20:21]
	v_fma_f64 v[10:11], -v[28:29], v[6:7], v[22:23]
	v_mov_b64_e32 v[6:7], v[38:39]
	s_waitcnt vmcnt(0)
	v_add_f64 v[0:1], v[14:15], v[24:25]
	v_add_f64 v[2:3], v[2:3], v[16:17]
	global_store_dwordx4 v[18:19], v[0:3], off
                                        ; implicit-def: $vgpr2_vgpr3
.LBB337_70:                             ;   in Loop: Header=BB337_68 Depth=1
	s_or_saveexec_b64 s[2:3], s[2:3]
	v_mov_b32_e32 v5, s4
	s_xor_b64 exec, exec, s[2:3]
	s_cbranch_execz .LBB337_67
; %bb.71:                               ;   in Loop: Header=BB337_68 Depth=1
	v_add_u32_e32 v8, v58, v4
	v_ashrrev_i32_e32 v9, 31, v8
	v_lshlrev_b64 v[14:15], 4, v[8:9]
	v_lshl_add_u64 v[8:9], s[10:11], 0, v[14:15]
	global_load_dwordx4 v[8:11], v[8:9], off
	v_lshl_add_u64 v[14:15], s[12:13], 0, v[14:15]
	v_ashrrev_i32_e32 v5, 31, v4
	global_load_dwordx4 v[14:17], v[14:15], off
	v_lshl_add_u64 v[22:23], v[4:5], 4, v[42:43]
	global_load_dwordx4 v[18:21], v[22:23], off
	v_mov_b32_e32 v5, s28
	s_waitcnt vmcnt(2)
	v_mul_f64 v[24:25], v[2:3], v[10:11]
	v_mul_f64 v[10:11], v[10:11], -v[0:1]
	v_fma_f64 v[24:25], -v[0:1], v[8:9], v[24:25]
	s_waitcnt vmcnt(1)
	v_mul_f64 v[26:27], v[2:3], v[16:17]
	v_mul_f64 v[16:17], v[16:17], -v[0:1]
	v_fma_f64 v[28:29], -v[2:3], v[8:9], v[10:11]
	v_fma_f64 v[8:9], -v[0:1], v[14:15], v[26:27]
	;; [unrolled: 1-line block ×3, first 2 shown]
	s_waitcnt vmcnt(0)
	v_add_f64 v[0:1], v[18:19], v[24:25]
	v_add_f64 v[2:3], v[28:29], v[20:21]
	global_store_dwordx4 v[22:23], v[0:3], off
	s_branch .LBB337_67
.LBB337_72:
	s_endpgm
	.section	.rodata,"a",@progbits
	.p2align	6, 0x0
	.amdhsa_kernel _ZN9rocsparseL18gtsv_LBM_wv_kernelILj256ELj128E21rocsparse_complex_numIdEEEviiiPKT1_S5_S5_PS3_S6_S6_Pi
		.amdhsa_group_segment_fixed_size 0
		.amdhsa_private_segment_fixed_size 0
		.amdhsa_kernarg_size 72
		.amdhsa_user_sgpr_count 2
		.amdhsa_user_sgpr_dispatch_ptr 0
		.amdhsa_user_sgpr_queue_ptr 0
		.amdhsa_user_sgpr_kernarg_segment_ptr 1
		.amdhsa_user_sgpr_dispatch_id 0
		.amdhsa_user_sgpr_kernarg_preload_length 0
		.amdhsa_user_sgpr_kernarg_preload_offset 0
		.amdhsa_user_sgpr_private_segment_size 0
		.amdhsa_uses_dynamic_stack 0
		.amdhsa_enable_private_segment 0
		.amdhsa_system_sgpr_workgroup_id_x 1
		.amdhsa_system_sgpr_workgroup_id_y 0
		.amdhsa_system_sgpr_workgroup_id_z 0
		.amdhsa_system_sgpr_workgroup_info 0
		.amdhsa_system_vgpr_workitem_id 0
		.amdhsa_next_free_vgpr 84
		.amdhsa_next_free_sgpr 36
		.amdhsa_accum_offset 84
		.amdhsa_reserve_vcc 1
		.amdhsa_float_round_mode_32 0
		.amdhsa_float_round_mode_16_64 0
		.amdhsa_float_denorm_mode_32 3
		.amdhsa_float_denorm_mode_16_64 3
		.amdhsa_dx10_clamp 1
		.amdhsa_ieee_mode 1
		.amdhsa_fp16_overflow 0
		.amdhsa_tg_split 0
		.amdhsa_exception_fp_ieee_invalid_op 0
		.amdhsa_exception_fp_denorm_src 0
		.amdhsa_exception_fp_ieee_div_zero 0
		.amdhsa_exception_fp_ieee_overflow 0
		.amdhsa_exception_fp_ieee_underflow 0
		.amdhsa_exception_fp_ieee_inexact 0
		.amdhsa_exception_int_div_zero 0
	.end_amdhsa_kernel
	.section	.text._ZN9rocsparseL18gtsv_LBM_wv_kernelILj256ELj128E21rocsparse_complex_numIdEEEviiiPKT1_S5_S5_PS3_S6_S6_Pi,"axG",@progbits,_ZN9rocsparseL18gtsv_LBM_wv_kernelILj256ELj128E21rocsparse_complex_numIdEEEviiiPKT1_S5_S5_PS3_S6_S6_Pi,comdat
.Lfunc_end337:
	.size	_ZN9rocsparseL18gtsv_LBM_wv_kernelILj256ELj128E21rocsparse_complex_numIdEEEviiiPKT1_S5_S5_PS3_S6_S6_Pi, .Lfunc_end337-_ZN9rocsparseL18gtsv_LBM_wv_kernelILj256ELj128E21rocsparse_complex_numIdEEEviiiPKT1_S5_S5_PS3_S6_S6_Pi
                                        ; -- End function
	.set _ZN9rocsparseL18gtsv_LBM_wv_kernelILj256ELj128E21rocsparse_complex_numIdEEEviiiPKT1_S5_S5_PS3_S6_S6_Pi.num_vgpr, 84
	.set _ZN9rocsparseL18gtsv_LBM_wv_kernelILj256ELj128E21rocsparse_complex_numIdEEEviiiPKT1_S5_S5_PS3_S6_S6_Pi.num_agpr, 0
	.set _ZN9rocsparseL18gtsv_LBM_wv_kernelILj256ELj128E21rocsparse_complex_numIdEEEviiiPKT1_S5_S5_PS3_S6_S6_Pi.numbered_sgpr, 36
	.set _ZN9rocsparseL18gtsv_LBM_wv_kernelILj256ELj128E21rocsparse_complex_numIdEEEviiiPKT1_S5_S5_PS3_S6_S6_Pi.num_named_barrier, 0
	.set _ZN9rocsparseL18gtsv_LBM_wv_kernelILj256ELj128E21rocsparse_complex_numIdEEEviiiPKT1_S5_S5_PS3_S6_S6_Pi.private_seg_size, 0
	.set _ZN9rocsparseL18gtsv_LBM_wv_kernelILj256ELj128E21rocsparse_complex_numIdEEEviiiPKT1_S5_S5_PS3_S6_S6_Pi.uses_vcc, 1
	.set _ZN9rocsparseL18gtsv_LBM_wv_kernelILj256ELj128E21rocsparse_complex_numIdEEEviiiPKT1_S5_S5_PS3_S6_S6_Pi.uses_flat_scratch, 0
	.set _ZN9rocsparseL18gtsv_LBM_wv_kernelILj256ELj128E21rocsparse_complex_numIdEEEviiiPKT1_S5_S5_PS3_S6_S6_Pi.has_dyn_sized_stack, 0
	.set _ZN9rocsparseL18gtsv_LBM_wv_kernelILj256ELj128E21rocsparse_complex_numIdEEEviiiPKT1_S5_S5_PS3_S6_S6_Pi.has_recursion, 0
	.set _ZN9rocsparseL18gtsv_LBM_wv_kernelILj256ELj128E21rocsparse_complex_numIdEEEviiiPKT1_S5_S5_PS3_S6_S6_Pi.has_indirect_call, 0
	.section	.AMDGPU.csdata,"",@progbits
; Kernel info:
; codeLenInByte = 6676
; TotalNumSgprs: 42
; NumVgprs: 84
; NumAgprs: 0
; TotalNumVgprs: 84
; ScratchSize: 0
; MemoryBound: 1
; FloatMode: 240
; IeeeMode: 1
; LDSByteSize: 0 bytes/workgroup (compile time only)
; SGPRBlocks: 5
; VGPRBlocks: 10
; NumSGPRsForWavesPerEU: 42
; NumVGPRsForWavesPerEU: 84
; AccumOffset: 84
; Occupancy: 5
; WaveLimiterHint : 0
; COMPUTE_PGM_RSRC2:SCRATCH_EN: 0
; COMPUTE_PGM_RSRC2:USER_SGPR: 2
; COMPUTE_PGM_RSRC2:TRAP_HANDLER: 0
; COMPUTE_PGM_RSRC2:TGID_X_EN: 1
; COMPUTE_PGM_RSRC2:TGID_Y_EN: 0
; COMPUTE_PGM_RSRC2:TGID_Z_EN: 0
; COMPUTE_PGM_RSRC2:TIDIG_COMP_CNT: 0
; COMPUTE_PGM_RSRC3_GFX90A:ACCUM_OFFSET: 20
; COMPUTE_PGM_RSRC3_GFX90A:TG_SPLIT: 0
	.section	.text._ZN9rocsparseL19gtsv_LBM_rhs_kernelILj256ELj128ELj8E21rocsparse_complex_numIdEEEviiiPKT2_S5_S5_PS3_S5_PKi,"axG",@progbits,_ZN9rocsparseL19gtsv_LBM_rhs_kernelILj256ELj128ELj8E21rocsparse_complex_numIdEEEviiiPKT2_S5_S5_PS3_S5_PKi,comdat
	.globl	_ZN9rocsparseL19gtsv_LBM_rhs_kernelILj256ELj128ELj8E21rocsparse_complex_numIdEEEviiiPKT2_S5_S5_PS3_S5_PKi ; -- Begin function _ZN9rocsparseL19gtsv_LBM_rhs_kernelILj256ELj128ELj8E21rocsparse_complex_numIdEEEviiiPKT2_S5_S5_PS3_S5_PKi
	.p2align	8
	.type	_ZN9rocsparseL19gtsv_LBM_rhs_kernelILj256ELj128ELj8E21rocsparse_complex_numIdEEEviiiPKT2_S5_S5_PS3_S5_PKi,@function
_ZN9rocsparseL19gtsv_LBM_rhs_kernelILj256ELj128ELj8E21rocsparse_complex_numIdEEEviiiPKT2_S5_S5_PS3_S5_PKi: ; @_ZN9rocsparseL19gtsv_LBM_rhs_kernelILj256ELj128ELj8E21rocsparse_complex_numIdEEEviiiPKT2_S5_S5_PS3_S5_PKi
; %bb.0:
	s_load_dword s23, s[0:1], 0x0
	v_lshl_or_b32 v44, s2, 8, v0
	s_waitcnt lgkmcnt(0)
	s_lshr_b32 s22, s23, 7
	v_cmp_gt_i32_e32 vcc, s22, v44
	s_and_saveexec_b64 s[4:5], vcc
	s_cbranch_execz .LBB338_29
; %bb.1:
	s_load_dwordx4 s[8:11], s[0:1], 0x28
	s_load_dwordx2 s[6:7], s[0:1], 0x38
	s_cmp_lt_i32 s23, 1
	v_add_u32_e32 v114, s22, v44
	s_mul_i32 s24, s3, s23
	s_cbranch_scc1 .LBB338_21
; %bb.2:
	s_load_dwordx4 s[12:15], s[0:1], 0x10
	s_load_dwordx2 s[16:17], s[0:1], 0x20
	v_ashrrev_i32_e32 v45, 31, v44
	s_lshl_b32 s28, s24, 3
	s_add_i32 s29, s28, s23
	s_waitcnt lgkmcnt(0)
	v_lshl_add_u64 v[0:1], v[44:45], 4, s[14:15]
	global_load_dwordx4 v[0:3], v[0:1], off
	s_add_i32 s30, s29, s23
	s_add_i32 s31, s30, s23
	;; [unrolled: 1-line block ×5, first 2 shown]
	s_mul_i32 s25, s22, 0x7f
	s_mul_i32 s26, s22, 0x7e
	s_lshl_b32 s27, s22, 1
	v_add_u32_e32 v45, s22, v114
	s_add_i32 s36, s35, s23
	v_mov_b32_e32 v47, 0
	s_mov_b64 s[18:19], 0
	v_mov_b32_e32 v115, 0
	s_branch .LBB338_5
.LBB338_3:                              ;   in Loop: Header=BB338_5 Depth=1
	s_or_b64 exec, exec, s[4:5]
	v_fmac_f64_e32 v[50:51], v[4:5], v[8:9]
	v_fmac_f64_e32 v[48:49], v[6:7], v[8:9]
	v_mul_f64 v[0:1], v[52:53], -v[48:49]
	v_mul_f64 v[2:3], v[52:53], v[50:51]
	v_fmac_f64_e32 v[0:1], v[50:51], v[10:11]
	v_fmac_f64_e32 v[2:3], v[48:49], v[10:11]
	v_add_f64 v[0:1], v[12:13], -v[0:1]
	v_add_f64 v[2:3], v[14:15], -v[2:3]
	v_mov_b32_e32 v10, s22
.LBB338_4:                              ;   in Loop: Header=BB338_5 Depth=1
	s_or_b64 exec, exec, s[2:3]
	v_add_u32_e32 v115, v10, v115
	v_cmp_le_i32_e32 vcc, s23, v115
	s_or_b64 s[18:19], vcc, s[18:19]
	s_andn2_b64 exec, exec, s[18:19]
	s_cbranch_execz .LBB338_20
.LBB338_5:                              ; =>This Inner Loop Header: Depth=1
	v_add_u32_e32 v24, v115, v44
	v_ashrrev_i32_e32 v25, 31, v24
	v_lshl_add_u64 v[4:5], v[24:25], 4, s[16:17]
	global_load_dwordx4 v[8:11], v[4:5], off
	v_cmp_gt_u32_e64 s[0:1], s25, v115
	v_mov_b64_e32 v[12:13], 0
	v_mov_b64_e32 v[4:5], 0
	;; [unrolled: 1-line block ×3, first 2 shown]
	s_and_saveexec_b64 s[2:3], s[0:1]
	s_cbranch_execz .LBB338_7
; %bb.6:                                ;   in Loop: Header=BB338_5 Depth=1
	v_add_u32_e32 v4, v114, v115
	v_ashrrev_i32_e32 v5, 31, v4
	v_lshl_add_u64 v[4:5], v[4:5], 4, s[12:13]
	global_load_dwordx4 v[4:7], v[4:5], off
.LBB338_7:                              ;   in Loop: Header=BB338_5 Depth=1
	s_or_b64 exec, exec, s[2:3]
	v_mov_b64_e32 v[14:15], 0
	s_and_saveexec_b64 s[2:3], s[0:1]
	s_cbranch_execz .LBB338_9
; %bb.8:                                ;   in Loop: Header=BB338_5 Depth=1
	v_add_u32_e32 v12, v114, v115
	v_ashrrev_i32_e32 v13, 31, v12
	v_lshl_add_u64 v[12:13], v[12:13], 4, s[14:15]
	global_load_dwordx4 v[12:15], v[12:13], off
.LBB338_9:                              ;   in Loop: Header=BB338_5 Depth=1
	s_or_b64 exec, exec, s[2:3]
	v_mov_b64_e32 v[20:21], 0
	v_mov_b64_e32 v[16:17], 0
	;; [unrolled: 1-line block ×3, first 2 shown]
	s_and_saveexec_b64 s[2:3], s[0:1]
	s_cbranch_execz .LBB338_11
; %bb.10:                               ;   in Loop: Header=BB338_5 Depth=1
	v_add_u32_e32 v16, v114, v115
	v_ashrrev_i32_e32 v17, 31, v16
	v_lshl_add_u64 v[16:17], v[16:17], 4, s[16:17]
	global_load_dwordx4 v[16:19], v[16:17], off
.LBB338_11:                             ;   in Loop: Header=BB338_5 Depth=1
	s_or_b64 exec, exec, s[2:3]
	v_cmp_gt_u32_e64 s[2:3], s26, v115
	v_mov_b64_e32 v[22:23], 0
	s_and_saveexec_b64 s[4:5], s[2:3]
	s_cbranch_execz .LBB338_13
; %bb.12:                               ;   in Loop: Header=BB338_5 Depth=1
	v_add_u32_e32 v20, v45, v115
	v_ashrrev_i32_e32 v21, 31, v20
	v_lshl_add_u64 v[20:21], v[20:21], 4, s[12:13]
	global_load_dwordx4 v[20:23], v[20:21], off
.LBB338_13:                             ;   in Loop: Header=BB338_5 Depth=1
	s_or_b64 exec, exec, s[4:5]
	v_lshl_add_u64 v[26:27], v[24:25], 2, s[6:7]
	global_load_dword v25, v[26:27], off
	v_cmp_ne_u32_e32 vcc, s25, v115
	s_waitcnt vmcnt(1)
	v_mul_f64 v[50:51], v[10:11], -v[6:7]
	v_mul_f64 v[48:49], v[10:11], v[4:5]
	v_add_u32_e32 v46, s28, v24
	v_add_u32_e32 v42, s29, v24
	;; [unrolled: 1-line block ×8, first 2 shown]
	s_waitcnt vmcnt(0)
	v_cmp_ne_u32_e64 s[4:5], 1, v25
	s_and_b64 s[4:5], vcc, s[4:5]
	s_and_saveexec_b64 s[20:21], s[4:5]
	s_xor_b64 s[4:5], exec, s[20:21]
	s_cbranch_execz .LBB338_17
; %bb.14:                               ;   in Loop: Header=BB338_5 Depth=1
	v_add_u32_e32 v82, v114, v115
	v_lshl_add_u64 v[34:35], v[46:47], 4, s[8:9]
	v_add_u32_e32 v46, s28, v82
	v_lshl_add_u64 v[54:55], v[46:47], 4, s[8:9]
	global_load_dwordx4 v[24:27], v[34:35], off
	global_load_dwordx4 v[56:59], v[54:55], off
	v_mov_b32_e32 v43, v47
	v_add_u32_e32 v46, s29, v82
	v_lshl_add_u64 v[42:43], v[42:43], 4, s[8:9]
	v_lshl_add_u64 v[72:73], v[46:47], 4, s[8:9]
	global_load_dwordx4 v[60:63], v[42:43], off
	global_load_dwordx4 v[64:67], v[72:73], off
	v_mul_f64 v[68:69], v[14:15], -v[2:3]
	v_mul_f64 v[70:71], v[0:1], v[14:15]
	v_mov_b32_e32 v41, v47
	v_add_u32_e32 v46, s30, v82
	v_fmac_f64_e32 v[50:51], v[4:5], v[8:9]
	v_fmac_f64_e32 v[48:49], v[6:7], v[8:9]
	v_mov_b32_e32 v39, v47
	v_mov_b32_e32 v37, v47
	v_mov_b32_e32 v31, v47
	v_mov_b32_e32 v29, v47
	v_fmac_f64_e32 v[68:69], v[0:1], v[12:13]
	v_fmac_f64_e32 v[70:71], v[2:3], v[12:13]
	v_lshl_add_u64 v[52:53], v[40:41], 4, s[8:9]
	v_lshl_add_u64 v[112:113], v[46:47], 4, s[8:9]
	v_lshl_add_u64 v[40:41], v[38:39], 4, s[8:9]
	v_lshl_add_u64 v[38:39], v[36:37], 4, s[8:9]
	v_lshl_add_u64 v[36:37], v[30:31], 4, s[8:9]
	v_lshl_add_u64 v[100:101], v[28:29], 4, s[8:9]
	v_add_f64 v[28:29], v[68:69], -v[50:51]
	v_add_f64 v[30:31], v[70:71], -v[48:49]
	global_load_dwordx4 v[48:51], v[52:53], off
	global_load_dwordx4 v[76:79], v[40:41], off
	;; [unrolled: 1-line block ×4, first 2 shown]
	v_add_u32_e32 v46, s31, v82
	v_lshl_add_u64 v[110:111], v[46:47], 4, s[8:9]
	global_load_dwordx4 v[124:127], v[110:111], off
	v_add_u32_e32 v46, s33, v82
	v_lshl_add_u64 v[108:109], v[46:47], 4, s[8:9]
	global_load_dwordx4 v[128:131], v[108:109], off
	v_add_u32_e32 v46, s34, v82
	v_mov_b32_e32 v33, v47
	v_lshl_add_u64 v[106:107], v[46:47], 4, s[8:9]
	v_add_u32_e32 v46, s35, v82
	v_lshl_add_u64 v[32:33], v[32:33], 4, s[8:9]
	v_lshl_add_u64 v[104:105], v[46:47], 4, s[8:9]
	v_add_u32_e32 v46, s36, v82
	v_lshl_add_u64 v[102:103], v[46:47], 4, s[8:9]
	global_load_dwordx4 v[132:135], v[32:33], off
	global_load_dwordx4 v[136:139], v[36:37], off
	;; [unrolled: 1-line block ×6, first 2 shown]
	v_mul_f64 v[68:69], v[30:31], v[30:31]
	v_fmac_f64_e32 v[68:69], v[28:29], v[28:29]
	v_fma_f64 v[70:71], 0, v[30:31], v[28:29]
	v_fma_f64 v[30:31], v[28:29], 0, -v[30:31]
	v_div_scale_f64 v[28:29], s[20:21], v[68:69], v[68:69], 1.0
	v_rcp_f64_e32 v[80:81], v[28:29]
	v_div_scale_f64 v[74:75], vcc, 1.0, v[68:69], 1.0
	v_fma_f64 v[82:83], -v[28:29], v[80:81], 1.0
	v_fmac_f64_e32 v[80:81], v[80:81], v[82:83]
	v_fma_f64 v[82:83], -v[28:29], v[80:81], 1.0
	v_fmac_f64_e32 v[80:81], v[80:81], v[82:83]
	v_mul_f64 v[82:83], v[74:75], v[80:81]
	v_fma_f64 v[28:29], -v[28:29], v[82:83], v[74:75]
	v_div_fmas_f64 v[28:29], v[28:29], v[80:81], v[82:83]
	v_div_fixup_f64 v[68:69], v[28:29], v[68:69], 1.0
	v_mul_f64 v[30:31], v[30:31], v[68:69]
	v_mul_f64 v[28:29], v[70:71], v[68:69]
	s_waitcnt vmcnt(15)
	v_mul_f64 v[96:97], v[30:31], v[24:25]
	s_waitcnt vmcnt(14)
	v_mul_f64 v[98:99], v[30:31], v[56:57]
	v_mul_f64 v[84:85], v[30:31], -v[26:27]
	v_fmac_f64_e32 v[96:97], v[26:27], v[28:29]
	v_mul_f64 v[88:89], v[30:31], -v[58:59]
	v_fmac_f64_e32 v[98:99], v[58:59], v[28:29]
	v_fmac_f64_e32 v[84:85], v[24:25], v[28:29]
	v_mul_f64 v[24:25], v[96:97], -v[14:15]
	v_mul_f64 v[26:27], v[12:13], v[96:97]
	v_fmac_f64_e32 v[88:89], v[56:57], v[28:29]
	v_mul_f64 v[56:57], v[98:99], -v[10:11]
	v_mul_f64 v[58:59], v[8:9], v[98:99]
	v_fmac_f64_e32 v[24:25], v[12:13], v[84:85]
	v_fmac_f64_e32 v[26:27], v[14:15], v[84:85]
	;; [unrolled: 1-line block ×4, first 2 shown]
	s_waitcnt vmcnt(13)
	v_mul_f64 v[80:81], v[30:31], v[60:61]
	s_waitcnt vmcnt(12)
	v_mul_f64 v[82:83], v[30:31], v[64:65]
	v_add_f64 v[24:25], v[24:25], -v[56:57]
	v_add_f64 v[26:27], v[26:27], -v[58:59]
	v_mul_f64 v[70:71], v[30:31], -v[62:63]
	v_fmac_f64_e32 v[80:81], v[62:63], v[28:29]
	v_mul_f64 v[74:75], v[30:31], -v[66:67]
	v_fmac_f64_e32 v[82:83], v[66:67], v[28:29]
	global_store_dwordx4 v[34:35], v[24:27], off
	v_fmac_f64_e32 v[70:71], v[60:61], v[28:29]
	v_fmac_f64_e32 v[74:75], v[64:65], v[28:29]
	v_mul_f64 v[24:25], v[80:81], -v[14:15]
	v_mul_f64 v[26:27], v[12:13], v[80:81]
	v_mul_f64 v[34:35], v[82:83], -v[10:11]
	v_mul_f64 v[56:57], v[8:9], v[82:83]
	v_fmac_f64_e32 v[24:25], v[12:13], v[70:71]
	v_fmac_f64_e32 v[26:27], v[14:15], v[70:71]
	;; [unrolled: 1-line block ×4, first 2 shown]
	s_waitcnt vmcnt(12)
	v_mul_f64 v[92:93], v[30:31], v[48:49]
	s_waitcnt vmcnt(9)
	v_mul_f64 v[94:95], v[30:31], v[120:121]
	v_add_f64 v[24:25], v[24:25], -v[34:35]
	v_add_f64 v[26:27], v[26:27], -v[56:57]
	v_mul_f64 v[86:87], v[30:31], -v[50:51]
	v_fmac_f64_e32 v[92:93], v[50:51], v[28:29]
	v_mul_f64 v[90:91], v[30:31], -v[122:123]
	v_fmac_f64_e32 v[94:95], v[122:123], v[28:29]
	global_store_dwordx4 v[42:43], v[24:27], off
	v_fmac_f64_e32 v[86:87], v[48:49], v[28:29]
	v_fmac_f64_e32 v[90:91], v[120:121], v[28:29]
	v_mul_f64 v[24:25], v[92:93], -v[14:15]
	v_mul_f64 v[26:27], v[12:13], v[92:93]
	v_mul_f64 v[34:35], v[94:95], -v[10:11]
	v_mul_f64 v[42:43], v[8:9], v[94:95]
	v_fmac_f64_e32 v[24:25], v[12:13], v[86:87]
	v_fmac_f64_e32 v[26:27], v[14:15], v[86:87]
	v_fmac_f64_e32 v[34:35], v[8:9], v[90:91]
	v_fmac_f64_e32 v[42:43], v[10:11], v[90:91]
	v_mul_f64 v[58:59], v[30:31], v[76:77]
	s_waitcnt vmcnt(9)
	v_mul_f64 v[62:63], v[30:31], v[124:125]
	v_add_f64 v[24:25], v[24:25], -v[34:35]
	v_add_f64 v[26:27], v[26:27], -v[42:43]
	v_mul_f64 v[48:49], v[30:31], -v[78:79]
	v_fmac_f64_e32 v[58:59], v[78:79], v[28:29]
	v_mul_f64 v[50:51], v[30:31], -v[126:127]
	v_fmac_f64_e32 v[62:63], v[126:127], v[28:29]
	global_store_dwordx4 v[52:53], v[24:27], off
	v_fmac_f64_e32 v[48:49], v[76:77], v[28:29]
	v_fmac_f64_e32 v[50:51], v[124:125], v[28:29]
	v_mul_f64 v[24:25], v[58:59], -v[14:15]
	v_mul_f64 v[26:27], v[12:13], v[58:59]
	v_mul_f64 v[34:35], v[62:63], -v[10:11]
	v_mul_f64 v[42:43], v[8:9], v[62:63]
	v_fmac_f64_e32 v[24:25], v[12:13], v[48:49]
	v_fmac_f64_e32 v[26:27], v[14:15], v[48:49]
	v_fmac_f64_e32 v[34:35], v[8:9], v[50:51]
	v_fmac_f64_e32 v[42:43], v[10:11], v[50:51]
	;; [unrolled: 20-line block ×3, first 2 shown]
	s_waitcnt vmcnt(9)
	v_mul_f64 v[60:61], v[30:31], v[132:133]
	s_waitcnt vmcnt(6)
	v_mul_f64 v[64:65], v[30:31], v[144:145]
	v_add_f64 v[24:25], v[24:25], -v[34:35]
	v_add_f64 v[26:27], v[26:27], -v[40:41]
	v_mul_f64 v[52:53], v[30:31], -v[134:135]
	v_fmac_f64_e32 v[60:61], v[134:135], v[28:29]
	v_mul_f64 v[56:57], v[30:31], -v[146:147]
	v_fmac_f64_e32 v[64:65], v[146:147], v[28:29]
	global_store_dwordx4 v[38:39], v[24:27], off
	v_fmac_f64_e32 v[52:53], v[132:133], v[28:29]
	v_fmac_f64_e32 v[56:57], v[144:145], v[28:29]
	v_mul_f64 v[24:25], v[60:61], -v[14:15]
	v_mul_f64 v[26:27], v[12:13], v[60:61]
	v_mul_f64 v[34:35], v[64:65], -v[10:11]
	v_mul_f64 v[38:39], v[8:9], v[64:65]
	v_fmac_f64_e32 v[24:25], v[12:13], v[52:53]
	v_fmac_f64_e32 v[26:27], v[14:15], v[52:53]
	;; [unrolled: 1-line block ×4, first 2 shown]
	v_add_f64 v[24:25], v[24:25], -v[34:35]
	v_add_f64 v[26:27], v[26:27], -v[38:39]
	v_mul_f64 v[40:41], v[30:31], v[136:137]
	s_waitcnt vmcnt(6)
	v_mul_f64 v[42:43], v[30:31], v[148:149]
	global_store_dwordx4 v[32:33], v[24:27], off
	v_mul_f64 v[32:33], v[30:31], -v[138:139]
	v_fmac_f64_e32 v[40:41], v[138:139], v[28:29]
	v_mul_f64 v[34:35], v[30:31], -v[150:151]
	v_fmac_f64_e32 v[42:43], v[150:151], v[28:29]
	v_fmac_f64_e32 v[32:33], v[136:137], v[28:29]
	;; [unrolled: 1-line block ×3, first 2 shown]
	v_mul_f64 v[24:25], v[40:41], -v[14:15]
	v_mul_f64 v[26:27], v[12:13], v[40:41]
	v_mul_f64 v[38:39], v[42:43], -v[10:11]
	v_mul_f64 v[116:117], v[8:9], v[42:43]
	v_fmac_f64_e32 v[24:25], v[12:13], v[32:33]
	v_fmac_f64_e32 v[26:27], v[14:15], v[32:33]
	;; [unrolled: 1-line block ×4, first 2 shown]
	v_add_f64 v[24:25], v[24:25], -v[38:39]
	v_add_f64 v[26:27], v[26:27], -v[116:117]
	global_store_dwordx4 v[36:37], v[24:27], off
	v_mul_f64 v[36:37], v[30:31], v[140:141]
	v_fmac_f64_e32 v[36:37], v[142:143], v[28:29]
	v_mul_f64 v[24:25], v[30:31], -v[142:143]
	v_fmac_f64_e32 v[24:25], v[140:141], v[28:29]
	s_waitcnt vmcnt(7)
	v_mul_f64 v[38:39], v[30:31], v[152:153]
	v_mul_f64 v[116:117], v[36:37], -v[14:15]
	v_mul_f64 v[26:27], v[30:31], -v[154:155]
	v_fmac_f64_e32 v[38:39], v[154:155], v[28:29]
	v_fmac_f64_e32 v[116:117], v[12:13], v[24:25]
	v_mul_f64 v[12:13], v[12:13], v[36:37]
	v_fmac_f64_e32 v[26:27], v[152:153], v[28:29]
	v_fmac_f64_e32 v[12:13], v[14:15], v[24:25]
	v_mul_f64 v[14:15], v[38:39], -v[10:11]
	v_mul_f64 v[118:119], v[8:9], v[38:39]
	v_fmac_f64_e32 v[14:15], v[8:9], v[26:27]
	v_fmac_f64_e32 v[118:119], v[10:11], v[26:27]
	v_add_f64 v[8:9], v[116:117], -v[14:15]
	v_add_f64 v[10:11], v[12:13], -v[118:119]
	global_store_dwordx4 v[100:101], v[8:11], off
	v_mul_f64 v[12:13], v[98:99], -v[2:3]
	v_mul_f64 v[14:15], v[0:1], v[98:99]
	v_mul_f64 v[8:9], v[6:7], v[96:97]
	v_mul_f64 v[10:11], v[96:97], -v[4:5]
	v_fma_f64 v[8:9], -v[4:5], v[84:85], v[8:9]
	v_fma_f64 v[10:11], -v[6:7], v[84:85], v[10:11]
	v_fmac_f64_e32 v[12:13], v[0:1], v[88:89]
	v_fmac_f64_e32 v[14:15], v[2:3], v[88:89]
	v_add_f64 v[8:9], v[8:9], v[12:13]
	v_add_f64 v[10:11], v[10:11], v[14:15]
	global_store_dwordx4 v[54:55], v[8:11], off
	v_mul_f64 v[12:13], v[82:83], -v[2:3]
	v_mul_f64 v[14:15], v[0:1], v[82:83]
	v_mul_f64 v[8:9], v[6:7], v[80:81]
	v_mul_f64 v[10:11], v[80:81], -v[4:5]
	v_fma_f64 v[8:9], -v[4:5], v[70:71], v[8:9]
	v_fma_f64 v[10:11], -v[6:7], v[70:71], v[10:11]
	v_fmac_f64_e32 v[12:13], v[0:1], v[74:75]
	v_fmac_f64_e32 v[14:15], v[2:3], v[74:75]
	v_add_f64 v[8:9], v[8:9], v[12:13]
	v_add_f64 v[10:11], v[10:11], v[14:15]
	;; [unrolled: 11-line block ×8, first 2 shown]
	global_store_dwordx4 v[102:103], v[8:11], off
	s_nop 1
	v_mov_b64_e32 v[10:11], 0
	v_mov_b64_e32 v[8:9], 0
	s_and_saveexec_b64 s[20:21], s[2:3]
	s_cbranch_execz .LBB338_16
; %bb.15:                               ;   in Loop: Header=BB338_5 Depth=1
	v_add_u32_e32 v12, v45, v115
	v_add_u32_e32 v46, s28, v12
	v_lshl_add_u64 v[14:15], v[46:47], 4, s[8:9]
	global_load_dwordx4 v[100:103], v[14:15], off
	v_mul_f64 v[54:55], v[6:7], v[22:23]
	v_mul_f64 v[72:73], v[22:23], -v[4:5]
	v_mul_f64 v[8:9], v[22:23], -v[2:3]
	v_mul_f64 v[10:11], v[0:1], v[22:23]
	v_fma_f64 v[4:5], -v[4:5], v[20:21], v[54:55]
	v_fma_f64 v[6:7], -v[6:7], v[20:21], v[72:73]
	v_fmac_f64_e32 v[8:9], v[0:1], v[20:21]
	v_fmac_f64_e32 v[10:11], v[2:3], v[20:21]
	v_mul_f64 v[54:55], v[6:7], v[96:97]
	v_mul_f64 v[72:73], v[96:97], -v[4:5]
	v_mul_f64 v[96:97], v[98:99], -v[10:11]
	v_mul_f64 v[98:99], v[8:9], v[98:99]
	v_add_u32_e32 v46, s29, v12
	v_fma_f64 v[54:55], -v[4:5], v[84:85], v[54:55]
	v_fma_f64 v[72:73], -v[6:7], v[84:85], v[72:73]
	v_fmac_f64_e32 v[96:97], v[8:9], v[88:89]
	v_fmac_f64_e32 v[98:99], v[10:11], v[88:89]
	v_lshl_add_u64 v[84:85], v[46:47], 4, s[8:9]
	v_add_f64 v[54:55], v[54:55], -v[96:97]
	v_add_f64 v[72:73], v[72:73], -v[98:99]
	v_add_u32_e32 v46, s30, v12
	global_load_dwordx4 v[96:99], v[84:85], off
	v_lshl_add_u64 v[88:89], v[46:47], 4, s[8:9]
	v_mul_f64 v[104:105], v[94:95], -v[10:11]
	v_mul_f64 v[94:95], v[8:9], v[94:95]
	v_fmac_f64_e32 v[104:105], v[8:9], v[90:91]
	v_fmac_f64_e32 v[94:95], v[10:11], v[90:91]
	v_add_u32_e32 v46, s31, v12
	v_ashrrev_i32_e32 v13, 31, v12
	s_waitcnt vmcnt(1)
	v_add_f64 v[100:101], v[54:55], v[100:101]
	v_add_f64 v[102:103], v[72:73], v[102:103]
	global_store_dwordx4 v[14:15], v[100:103], off
	global_load_dwordx4 v[100:103], v[88:89], off
	v_mul_f64 v[14:15], v[6:7], v[80:81]
	v_mul_f64 v[54:55], v[80:81], -v[4:5]
	v_mul_f64 v[72:73], v[82:83], -v[10:11]
	v_mul_f64 v[80:81], v[8:9], v[82:83]
	v_mul_f64 v[82:83], v[6:7], v[92:93]
	v_fma_f64 v[14:15], -v[4:5], v[70:71], v[14:15]
	v_fma_f64 v[54:55], -v[6:7], v[70:71], v[54:55]
	v_fmac_f64_e32 v[72:73], v[8:9], v[74:75]
	v_fmac_f64_e32 v[80:81], v[10:11], v[74:75]
	v_mul_f64 v[92:93], v[92:93], -v[4:5]
	v_fma_f64 v[70:71], -v[4:5], v[86:87], v[82:83]
	v_add_f64 v[14:15], v[14:15], -v[72:73]
	v_add_f64 v[54:55], v[54:55], -v[80:81]
	v_fma_f64 v[74:75], -v[6:7], v[86:87], v[92:93]
	v_add_f64 v[80:81], v[70:71], -v[104:105]
	v_add_f64 v[74:75], v[74:75], -v[94:95]
	v_lshl_add_u64 v[86:87], v[46:47], 4, s[8:9]
	v_add_u32_e32 v46, s33, v12
	s_waitcnt vmcnt(2)
	v_add_f64 v[70:71], v[14:15], v[96:97]
	v_add_f64 v[72:73], v[54:55], v[98:99]
	global_store_dwordx4 v[84:85], v[70:73], off
	global_load_dwordx4 v[70:73], v[86:87], off
	v_lshl_add_u64 v[90:91], v[46:47], 4, s[8:9]
	v_mul_f64 v[14:15], v[6:7], v[58:59]
	v_mul_f64 v[54:55], v[58:59], -v[4:5]
	v_mul_f64 v[58:59], v[62:63], -v[10:11]
	v_mul_f64 v[62:63], v[8:9], v[62:63]
	v_mul_f64 v[84:85], v[78:79], -v[10:11]
	v_mul_f64 v[78:79], v[8:9], v[78:79]
	v_fma_f64 v[14:15], -v[4:5], v[48:49], v[14:15]
	v_fma_f64 v[48:49], -v[6:7], v[48:49], v[54:55]
	v_fmac_f64_e32 v[58:59], v[8:9], v[50:51]
	v_fmac_f64_e32 v[62:63], v[10:11], v[50:51]
	;; [unrolled: 1-line block ×4, first 2 shown]
	v_add_f64 v[14:15], v[14:15], -v[58:59]
	v_add_f64 v[58:59], v[48:49], -v[62:63]
	v_add_u32_e32 v46, s34, v12
	s_waitcnt vmcnt(2)
	v_add_f64 v[80:81], v[80:81], v[100:101]
	v_add_f64 v[82:83], v[74:75], v[102:103]
	global_store_dwordx4 v[88:89], v[80:83], off
	global_load_dwordx4 v[80:83], v[90:91], off
	v_mul_f64 v[74:75], v[6:7], v[76:77]
	v_mul_f64 v[76:77], v[76:77], -v[4:5]
	v_fma_f64 v[50:51], -v[4:5], v[66:67], v[74:75]
	v_fma_f64 v[54:55], -v[6:7], v[66:67], v[76:77]
	v_add_f64 v[62:63], v[50:51], -v[84:85]
	v_add_f64 v[54:55], v[54:55], -v[78:79]
	v_lshl_add_u64 v[66:67], v[46:47], 4, s[8:9]
	v_add_u32_e32 v46, s35, v12
	s_waitcnt vmcnt(2)
	v_add_f64 v[48:49], v[14:15], v[70:71]
	v_add_f64 v[50:51], v[58:59], v[72:73]
	global_store_dwordx4 v[86:87], v[48:51], off
	v_mul_f64 v[14:15], v[6:7], v[60:61]
	v_mul_f64 v[58:59], v[64:65], -v[10:11]
	v_fma_f64 v[14:15], -v[4:5], v[52:53], v[14:15]
	v_fmac_f64_e32 v[58:59], v[8:9], v[56:57]
	v_add_f64 v[14:15], v[14:15], -v[58:59]
	s_waitcnt vmcnt(1)
	v_add_f64 v[48:49], v[62:63], v[80:81]
	v_add_f64 v[50:51], v[54:55], v[82:83]
	global_store_dwordx4 v[90:91], v[48:51], off
	global_load_dwordx4 v[48:51], v[66:67], off
	v_mul_f64 v[54:55], v[60:61], -v[4:5]
	v_mul_f64 v[60:61], v[8:9], v[64:65]
	v_fma_f64 v[52:53], -v[6:7], v[52:53], v[54:55]
	v_fmac_f64_e32 v[60:61], v[10:11], v[56:57]
	v_add_f64 v[52:53], v[52:53], -v[60:61]
	v_lshl_add_u64 v[54:55], v[46:47], 4, s[8:9]
	v_lshl_add_u64 v[56:57], v[12:13], 4, s[14:15]
	v_add_u32_e32 v46, s36, v12
	s_waitcnt vmcnt(0)
	v_add_f64 v[48:49], v[14:15], v[48:49]
	v_add_f64 v[50:51], v[52:53], v[50:51]
	global_store_dwordx4 v[66:67], v[48:51], off
	global_load_dwordx4 v[48:51], v[54:55], off
	v_mul_f64 v[14:15], v[6:7], v[40:41]
	v_mul_f64 v[40:41], v[40:41], -v[4:5]
	v_mul_f64 v[52:53], v[42:43], -v[10:11]
	v_mul_f64 v[42:43], v[8:9], v[42:43]
	v_fma_f64 v[14:15], -v[4:5], v[32:33], v[14:15]
	v_fma_f64 v[40:41], -v[6:7], v[32:33], v[40:41]
	v_fmac_f64_e32 v[52:53], v[8:9], v[34:35]
	v_fmac_f64_e32 v[42:43], v[10:11], v[34:35]
	v_add_f64 v[14:15], v[14:15], -v[52:53]
	v_add_f64 v[40:41], v[40:41], -v[42:43]
	v_lshl_add_u64 v[42:43], v[46:47], 4, s[8:9]
	global_load_dwordx4 v[32:35], v[56:57], off
	s_waitcnt vmcnt(1)
	v_add_f64 v[12:13], v[14:15], v[48:49]
	v_add_f64 v[14:15], v[40:41], v[50:51]
	global_store_dwordx4 v[54:55], v[12:15], off
	global_load_dwordx4 v[12:15], v[42:43], off
	v_mul_f64 v[40:41], v[2:3], -v[22:23]
	v_mul_f64 v[2:3], v[2:3], v[20:21]
	v_fmac_f64_e32 v[40:41], v[20:21], v[0:1]
	v_fmac_f64_e32 v[2:3], v[22:23], v[0:1]
	v_mul_f64 v[0:1], v[6:7], v[36:37]
	v_mul_f64 v[20:21], v[36:37], -v[4:5]
	v_mul_f64 v[22:23], v[38:39], -v[10:11]
	v_mul_f64 v[36:37], v[8:9], v[38:39]
	v_mul_f64 v[38:39], v[18:19], -v[2:3]
	v_mul_f64 v[18:19], v[18:19], v[40:41]
	v_fma_f64 v[0:1], -v[4:5], v[24:25], v[0:1]
	v_fma_f64 v[4:5], -v[6:7], v[24:25], v[20:21]
	v_fmac_f64_e32 v[36:37], v[10:11], v[26:27]
	v_fmac_f64_e32 v[38:39], v[40:41], v[16:17]
	;; [unrolled: 1-line block ×4, first 2 shown]
	v_add_f64 v[2:3], v[4:5], -v[36:37]
	v_mul_f64 v[4:5], v[30:31], -v[18:19]
	v_mul_f64 v[6:7], v[30:31], v[38:39]
	v_add_f64 v[0:1], v[0:1], -v[22:23]
	v_fmac_f64_e32 v[4:5], v[38:39], v[28:29]
	v_fmac_f64_e32 v[6:7], v[18:19], v[28:29]
	s_waitcnt vmcnt(2)
	v_add_f64 v[8:9], v[32:33], -v[4:5]
	v_add_f64 v[10:11], v[34:35], -v[6:7]
	s_waitcnt vmcnt(0)
	v_add_f64 v[0:1], v[0:1], v[12:13]
	v_add_f64 v[2:3], v[2:3], v[14:15]
	global_store_dwordx4 v[42:43], v[0:3], off
.LBB338_16:                             ;   in Loop: Header=BB338_5 Depth=1
	s_or_b64 exec, exec, s[20:21]
	s_nop 0
	v_mov_b64_e32 v[2:3], v[10:11]
	v_mov_b64_e32 v[0:1], v[8:9]
                                        ; implicit-def: $vgpr4_vgpr5
                                        ; implicit-def: $vgpr12_vgpr13
                                        ; implicit-def: $vgpr8_vgpr9
                                        ; implicit-def: $vgpr50_vgpr51
                                        ; implicit-def: $vgpr48_vgpr49
                                        ; implicit-def: $vgpr42
                                        ; implicit-def: $vgpr40
                                        ; implicit-def: $vgpr38
                                        ; implicit-def: $vgpr36
                                        ; implicit-def: $vgpr32
                                        ; implicit-def: $vgpr30
                                        ; implicit-def: $vgpr28
.LBB338_17:                             ;   in Loop: Header=BB338_5 Depth=1
	s_or_saveexec_b64 s[2:3], s[4:5]
	v_mov_b32_e32 v10, s27
	s_xor_b64 exec, exec, s[2:3]
	s_cbranch_execz .LBB338_4
; %bb.18:                               ;   in Loop: Header=BB338_5 Depth=1
	v_mov_b32_e32 v41, v47
	v_mov_b32_e32 v37, v47
	;; [unrolled: 1-line block ×4, first 2 shown]
	v_lshl_add_u64 v[82:83], v[46:47], 4, s[8:9]
	v_mov_b32_e32 v43, v47
	v_lshl_add_u64 v[86:87], v[40:41], 4, s[8:9]
	v_mov_b32_e32 v39, v47
	;; [unrolled: 2-line block ×3, first 2 shown]
	v_lshl_add_u64 v[94:95], v[30:31], 4, s[8:9]
	v_lshl_add_u64 v[96:97], v[28:29], 4, s[8:9]
	;; [unrolled: 1-line block ×3, first 2 shown]
	global_load_dwordx4 v[16:19], v[82:83], off
	global_load_dwordx4 v[54:57], v[84:85], off
	v_lshl_add_u64 v[88:89], v[38:39], 4, s[8:9]
	global_load_dwordx4 v[58:61], v[86:87], off
	global_load_dwordx4 v[62:65], v[88:89], off
	v_lshl_add_u64 v[92:93], v[32:33], 4, s[8:9]
	global_load_dwordx4 v[66:69], v[90:91], off
	global_load_dwordx4 v[70:73], v[92:93], off
	;; [unrolled: 1-line block ×4, first 2 shown]
	v_mul_f64 v[10:11], v[2:3], v[2:3]
	v_fmac_f64_e32 v[10:11], v[0:1], v[0:1]
	v_div_scale_f64 v[22:23], s[4:5], v[10:11], v[10:11], 1.0
	v_rcp_f64_e32 v[24:25], v[22:23]
	v_fma_f64 v[20:21], 0, v[2:3], v[0:1]
	v_fma_f64 v[0:1], v[0:1], 0, -v[2:3]
	v_div_scale_f64 v[2:3], vcc, 1.0, v[10:11], 1.0
	v_fma_f64 v[26:27], -v[22:23], v[24:25], 1.0
	v_fmac_f64_e32 v[24:25], v[24:25], v[26:27]
	v_fma_f64 v[26:27], -v[22:23], v[24:25], 1.0
	v_fmac_f64_e32 v[24:25], v[24:25], v[26:27]
	v_mul_f64 v[26:27], v[2:3], v[24:25]
	v_fma_f64 v[2:3], -v[22:23], v[26:27], v[2:3]
	v_div_fmas_f64 v[2:3], v[2:3], v[24:25], v[26:27]
	v_div_fixup_f64 v[2:3], v[2:3], v[10:11], 1.0
	v_mul_f64 v[52:53], v[0:1], v[2:3]
	v_mul_f64 v[10:11], v[20:21], v[2:3]
	s_waitcnt vmcnt(7)
	v_mul_f64 v[40:41], v[52:53], -v[18:19]
	v_mul_f64 v[42:43], v[52:53], v[16:17]
	v_fmac_f64_e32 v[40:41], v[16:17], v[10:11]
	v_fmac_f64_e32 v[42:43], v[18:19], v[10:11]
	s_waitcnt vmcnt(6)
	v_mul_f64 v[36:37], v[52:53], -v[56:57]
	v_mul_f64 v[38:39], v[52:53], v[54:55]
	s_waitcnt vmcnt(5)
	v_mul_f64 v[32:33], v[52:53], -v[60:61]
	v_mul_f64 v[34:35], v[52:53], v[58:59]
	s_waitcnt vmcnt(4)
	v_mul_f64 v[28:29], v[52:53], -v[64:65]
	v_mul_f64 v[30:31], v[52:53], v[62:63]
	s_waitcnt vmcnt(3)
	v_mul_f64 v[24:25], v[52:53], -v[68:69]
	v_mul_f64 v[26:27], v[52:53], v[66:67]
	s_waitcnt vmcnt(2)
	v_mul_f64 v[20:21], v[52:53], -v[72:73]
	v_mul_f64 v[22:23], v[52:53], v[70:71]
	s_waitcnt vmcnt(1)
	v_mul_f64 v[16:17], v[52:53], -v[76:77]
	v_mul_f64 v[18:19], v[52:53], v[74:75]
	s_waitcnt vmcnt(0)
	v_mul_f64 v[0:1], v[52:53], -v[80:81]
	v_mul_f64 v[2:3], v[52:53], v[78:79]
	v_fmac_f64_e32 v[36:37], v[54:55], v[10:11]
	v_fmac_f64_e32 v[38:39], v[56:57], v[10:11]
	;; [unrolled: 1-line block ×14, first 2 shown]
	global_store_dwordx4 v[82:83], v[40:43], off
	global_store_dwordx4 v[84:85], v[36:39], off
	;; [unrolled: 1-line block ×8, first 2 shown]
	s_and_saveexec_b64 s[4:5], s[0:1]
	s_cbranch_execz .LBB338_3
; %bb.19:                               ;   in Loop: Header=BB338_5 Depth=1
	v_add_u32_e32 v70, v114, v115
	v_add_u32_e32 v46, s28, v70
	v_lshl_add_u64 v[62:63], v[46:47], 4, s[8:9]
	global_load_dwordx4 v[54:57], v[62:63], off
	v_add_u32_e32 v46, s29, v70
	v_lshl_add_u64 v[64:65], v[46:47], 4, s[8:9]
	global_load_dwordx4 v[58:61], v[64:65], off
	v_add_u32_e32 v46, s30, v70
	v_lshl_add_u64 v[66:67], v[46:47], 4, s[8:9]
	v_add_u32_e32 v46, s31, v70
	s_waitcnt vmcnt(1)
	v_fma_f64 v[54:55], -v[4:5], v[40:41], v[54:55]
	v_fma_f64 v[40:41], -v[6:7], v[40:41], v[56:57]
	v_fmac_f64_e32 v[54:55], v[6:7], v[42:43]
	v_fma_f64 v[56:57], -v[4:5], v[42:43], v[40:41]
	global_store_dwordx4 v[62:63], v[54:57], off
	global_load_dwordx4 v[40:43], v[66:67], off
	v_lshl_add_u64 v[62:63], v[46:47], 4, s[8:9]
	s_waitcnt vmcnt(2)
	v_fma_f64 v[54:55], -v[4:5], v[36:37], v[58:59]
	v_fma_f64 v[36:37], -v[6:7], v[36:37], v[60:61]
	v_fmac_f64_e32 v[54:55], v[6:7], v[38:39]
	v_fma_f64 v[56:57], -v[4:5], v[38:39], v[36:37]
	global_store_dwordx4 v[64:65], v[54:57], off
	global_load_dwordx4 v[36:39], v[62:63], off
	v_add_u32_e32 v46, s33, v70
	v_lshl_add_u64 v[68:69], v[46:47], 4, s[8:9]
	v_add_u32_e32 v46, s34, v70
	s_waitcnt vmcnt(2)
	v_fma_f64 v[40:41], -v[4:5], v[32:33], v[40:41]
	v_fma_f64 v[32:33], -v[6:7], v[32:33], v[42:43]
	v_fmac_f64_e32 v[40:41], v[6:7], v[34:35]
	v_fma_f64 v[42:43], -v[4:5], v[34:35], v[32:33]
	global_store_dwordx4 v[66:67], v[40:43], off
	global_load_dwordx4 v[32:35], v[68:69], off
	s_waitcnt vmcnt(2)
	v_fma_f64 v[36:37], -v[4:5], v[28:29], v[36:37]
	v_fma_f64 v[28:29], -v[6:7], v[28:29], v[38:39]
	;; [unrolled: 1-line block ×3, first 2 shown]
	v_fmac_f64_e32 v[36:37], v[6:7], v[30:31]
	v_lshl_add_u64 v[40:41], v[46:47], 4, s[8:9]
	global_store_dwordx4 v[62:63], v[36:39], off
	v_add_u32_e32 v46, s35, v70
	s_waitcnt vmcnt(1)
	v_fma_f64 v[28:29], -v[4:5], v[24:25], v[32:33]
	v_fma_f64 v[24:25], -v[6:7], v[24:25], v[34:35]
	v_fmac_f64_e32 v[28:29], v[6:7], v[26:27]
	v_fma_f64 v[30:31], -v[4:5], v[26:27], v[24:25]
	global_store_dwordx4 v[68:69], v[28:31], off
	global_load_dwordx4 v[24:27], v[40:41], off
	s_waitcnt vmcnt(0)
	v_fma_f64 v[24:25], -v[4:5], v[20:21], v[24:25]
	v_fma_f64 v[20:21], -v[6:7], v[20:21], v[26:27]
	v_fmac_f64_e32 v[24:25], v[6:7], v[22:23]
	v_fma_f64 v[26:27], -v[4:5], v[22:23], v[20:21]
	v_lshl_add_u64 v[28:29], v[46:47], 4, s[8:9]
	global_store_dwordx4 v[40:41], v[24:27], off
	global_load_dwordx4 v[20:23], v[28:29], off
	v_add_u32_e32 v46, s36, v70
	v_lshl_add_u64 v[24:25], v[46:47], 4, s[8:9]
	s_waitcnt vmcnt(0)
	v_fma_f64 v[20:21], -v[4:5], v[16:17], v[20:21]
	v_fma_f64 v[16:17], -v[6:7], v[16:17], v[22:23]
	v_fmac_f64_e32 v[20:21], v[6:7], v[18:19]
	v_fma_f64 v[22:23], -v[4:5], v[18:19], v[16:17]
	global_store_dwordx4 v[28:29], v[20:23], off
	global_load_dwordx4 v[16:19], v[24:25], off
	s_waitcnt vmcnt(0)
	v_fma_f64 v[16:17], -v[4:5], v[0:1], v[16:17]
	v_fma_f64 v[0:1], -v[6:7], v[0:1], v[18:19]
	v_fmac_f64_e32 v[16:17], v[6:7], v[2:3]
	v_fma_f64 v[18:19], -v[4:5], v[2:3], v[0:1]
	global_store_dwordx4 v[24:25], v[16:19], off
	s_branch .LBB338_3
.LBB338_20:
	s_or_b64 exec, exec, s[18:19]
	s_branch .LBB338_22
.LBB338_21:
	v_mov_b32_e32 v115, 0
.LBB338_22:
	v_subrev_u32_e32 v2, s22, v115
	v_add_u32_e32 v0, v2, v44
	v_ashrrev_i32_e32 v1, 31, v0
	s_waitcnt lgkmcnt(0)
	v_lshl_add_u64 v[0:1], v[0:1], 2, s[6:7]
	buffer_wbl2 sc1
	s_waitcnt vmcnt(0)
	buffer_inv sc1
	global_load_dword v0, v[0:1], off
	s_waitcnt vmcnt(0)
	v_mul_lo_u32 v0, v0, s22
	v_sub_u32_e32 v36, v2, v0
	v_cmp_lt_i32_e32 vcc, -1, v36
	s_and_b64 exec, exec, vcc
	s_cbranch_execz .LBB338_29
; %bb.23:
	s_lshl_b32 s4, s24, 3
	s_add_i32 s5, s4, s23
	s_add_i32 s12, s5, s23
	;; [unrolled: 1-line block ×7, first 2 shown]
	s_lshl_b32 s18, s22, 1
	s_mov_b64 s[0:1], 0
	v_mov_b32_e32 v33, 0
	s_branch .LBB338_25
.LBB338_24:                             ;   in Loop: Header=BB338_25 Depth=1
	s_or_b64 exec, exec, s[2:3]
	v_sub_u32_e32 v36, v36, v4
	v_cmp_gt_i32_e32 vcc, 0, v36
	s_or_b64 s[0:1], vcc, s[0:1]
	s_andn2_b64 exec, exec, s[0:1]
	s_cbranch_execz .LBB338_29
.LBB338_25:                             ; =>This Inner Loop Header: Depth=1
	v_add_u32_e32 v34, v36, v44
	v_ashrrev_i32_e32 v35, 31, v34
	s_waitcnt vmcnt(0)
	v_lshl_add_u64 v[0:1], v[34:35], 2, s[6:7]
	global_load_dword v4, v[0:1], off
	v_lshl_add_u64 v[0:1], v[34:35], 4, s[10:11]
	global_load_dwordx4 v[0:3], v[0:1], off
	s_waitcnt vmcnt(1)
	v_cmp_ne_u32_e32 vcc, 1, v4
	s_and_saveexec_b64 s[2:3], vcc
	s_xor_b64 s[2:3], exec, s[2:3]
	s_cbranch_execz .LBB338_27
; %bb.26:                               ;   in Loop: Header=BB338_25 Depth=1
	v_add_u32_e32 v4, v114, v36
	v_add_u32_e32 v32, s4, v4
	v_lshl_add_u64 v[42:43], v[32:33], 4, s[8:9]
	v_add_u32_e32 v32, s5, v4
	v_lshl_add_u64 v[50:51], v[32:33], 4, s[8:9]
	;; [unrolled: 2-line block ×9, first 2 shown]
	global_load_dwordx4 v[38:41], v[64:65], off
	global_load_dwordx4 v[46:49], v[42:43], off
	;; [unrolled: 1-line block ×9, first 2 shown]
	v_add_u32_e32 v32, s5, v34
	v_lshl_add_u64 v[42:43], v[32:33], 4, s[8:9]
	v_add_u32_e32 v32, s12, v34
	v_lshl_add_u64 v[50:51], v[32:33], 4, s[8:9]
	v_add_u32_e32 v32, s13, v34
	s_waitcnt vmcnt(7)
	v_fma_f64 v[38:39], -v[0:1], v[46:47], v[38:39]
	v_fma_f64 v[40:41], -v[2:3], v[46:47], v[40:41]
	v_fmac_f64_e32 v[38:39], v[2:3], v[48:49]
	v_fma_f64 v[40:41], -v[0:1], v[48:49], v[40:41]
	global_store_dwordx4 v[64:65], v[38:41], off
	global_load_dwordx4 v[38:41], v[42:43], off
	s_waitcnt vmcnt(0)
	v_fma_f64 v[38:39], -v[0:1], v[28:29], v[38:39]
	v_fma_f64 v[40:41], -v[2:3], v[28:29], v[40:41]
	v_fmac_f64_e32 v[38:39], v[2:3], v[30:31]
	v_fma_f64 v[40:41], -v[0:1], v[30:31], v[40:41]
	global_store_dwordx4 v[42:43], v[38:41], off
	global_load_dwordx4 v[38:41], v[50:51], off
	v_lshl_add_u64 v[42:43], v[32:33], 4, s[8:9]
	v_add_u32_e32 v32, s14, v34
	s_waitcnt vmcnt(0)
	v_fma_f64 v[38:39], -v[0:1], v[24:25], v[38:39]
	v_fma_f64 v[40:41], -v[2:3], v[24:25], v[40:41]
	v_fmac_f64_e32 v[38:39], v[2:3], v[26:27]
	v_fma_f64 v[40:41], -v[0:1], v[26:27], v[40:41]
	global_store_dwordx4 v[50:51], v[38:41], off
	global_load_dwordx4 v[38:41], v[42:43], off
	v_lshl_add_u64 v[50:51], v[32:33], 4, s[8:9]
	v_add_u32_e32 v32, s15, v34
	;; [unrolled: 9-line block ×4, first 2 shown]
	v_lshl_add_u64 v[34:35], v[32:33], 4, s[8:9]
	v_subrev_u32_e32 v32, s22, v36
	s_waitcnt vmcnt(0)
	v_fma_f64 v[38:39], -v[0:1], v[12:13], v[38:39]
	v_fma_f64 v[40:41], -v[2:3], v[12:13], v[40:41]
	v_fmac_f64_e32 v[38:39], v[2:3], v[14:15]
	v_fma_f64 v[40:41], -v[0:1], v[14:15], v[40:41]
	global_store_dwordx4 v[42:43], v[38:41], off
	global_load_dwordx4 v[38:41], v[50:51], off
	v_add_u32_e32 v42, v32, v44
	v_ashrrev_i32_e32 v43, 31, v42
	v_add_u32_e32 v32, s4, v42
	v_lshl_add_u64 v[54:55], v[32:33], 4, s[8:9]
	v_add_u32_e32 v32, s5, v42
	s_waitcnt vmcnt(0)
	v_fma_f64 v[38:39], -v[0:1], v[8:9], v[38:39]
	v_fma_f64 v[40:41], -v[2:3], v[8:9], v[40:41]
	v_fmac_f64_e32 v[38:39], v[2:3], v[10:11]
	v_fma_f64 v[40:41], -v[0:1], v[10:11], v[40:41]
	global_store_dwordx4 v[50:51], v[38:41], off
	global_load_dwordx4 v[38:41], v[34:35], off
	v_lshl_add_u64 v[50:51], v[42:43], 4, s[10:11]
	global_load_dwordx4 v[50:53], v[50:51], off
	s_waitcnt vmcnt(1)
	v_fma_f64 v[38:39], -v[0:1], v[4:5], v[38:39]
	v_fma_f64 v[40:41], -v[2:3], v[4:5], v[40:41]
	v_fmac_f64_e32 v[38:39], v[2:3], v[6:7]
	v_fma_f64 v[40:41], -v[0:1], v[6:7], v[40:41]
	global_store_dwordx4 v[34:35], v[38:41], off
	global_load_dwordx4 v[0:3], v[54:55], off
	v_lshl_add_u64 v[34:35], v[32:33], 4, s[8:9]
	v_add_u32_e32 v32, s12, v42
	v_lshl_add_u64 v[38:39], v[32:33], 4, s[8:9]
	v_add_u32_e32 v32, s13, v42
	s_waitcnt vmcnt(0)
	v_fma_f64 v[0:1], -v[50:51], v[46:47], v[0:1]
	v_fma_f64 v[2:3], -v[52:53], v[46:47], v[2:3]
	v_fmac_f64_e32 v[0:1], v[52:53], v[48:49]
	v_fma_f64 v[2:3], -v[50:51], v[48:49], v[2:3]
	global_store_dwordx4 v[54:55], v[0:3], off
	global_load_dwordx4 v[0:3], v[34:35], off
	s_waitcnt vmcnt(0)
	v_fma_f64 v[0:1], -v[50:51], v[28:29], v[0:1]
	v_fma_f64 v[2:3], -v[52:53], v[28:29], v[2:3]
	v_fmac_f64_e32 v[0:1], v[52:53], v[30:31]
	v_fma_f64 v[2:3], -v[50:51], v[30:31], v[2:3]
	global_store_dwordx4 v[34:35], v[0:3], off
	global_load_dwordx4 v[0:3], v[38:39], off
	v_lshl_add_u64 v[28:29], v[32:33], 4, s[8:9]
	v_add_u32_e32 v32, s14, v42
                                        ; implicit-def: $vgpr34
	s_waitcnt vmcnt(0)
	v_fma_f64 v[0:1], -v[50:51], v[24:25], v[0:1]
	v_fma_f64 v[2:3], -v[52:53], v[24:25], v[2:3]
	v_fmac_f64_e32 v[0:1], v[52:53], v[26:27]
	v_fma_f64 v[2:3], -v[50:51], v[26:27], v[2:3]
	global_store_dwordx4 v[38:39], v[0:3], off
	global_load_dwordx4 v[0:3], v[28:29], off
	v_lshl_add_u64 v[24:25], v[32:33], 4, s[8:9]
	v_add_u32_e32 v32, s15, v42
	s_waitcnt vmcnt(0)
	v_fma_f64 v[0:1], -v[50:51], v[20:21], v[0:1]
	v_fma_f64 v[2:3], -v[52:53], v[20:21], v[2:3]
	v_fmac_f64_e32 v[0:1], v[52:53], v[22:23]
	v_fma_f64 v[2:3], -v[50:51], v[22:23], v[2:3]
	global_store_dwordx4 v[28:29], v[0:3], off
	global_load_dwordx4 v[0:3], v[24:25], off
	v_lshl_add_u64 v[20:21], v[32:33], 4, s[8:9]
	v_add_u32_e32 v32, s16, v42
	;; [unrolled: 9-line block ×3, first 2 shown]
	s_waitcnt vmcnt(0)
	v_fma_f64 v[0:1], -v[50:51], v[12:13], v[0:1]
	v_fma_f64 v[2:3], -v[52:53], v[12:13], v[2:3]
	v_fmac_f64_e32 v[0:1], v[52:53], v[14:15]
	v_fma_f64 v[2:3], -v[50:51], v[14:15], v[2:3]
	global_store_dwordx4 v[20:21], v[0:3], off
	global_load_dwordx4 v[0:3], v[16:17], off
	v_lshl_add_u64 v[12:13], v[32:33], 4, s[8:9]
	s_waitcnt vmcnt(0)
	v_fma_f64 v[0:1], -v[50:51], v[8:9], v[0:1]
	v_fma_f64 v[2:3], -v[52:53], v[8:9], v[2:3]
	v_fmac_f64_e32 v[0:1], v[52:53], v[10:11]
	v_fma_f64 v[2:3], -v[50:51], v[10:11], v[2:3]
	global_store_dwordx4 v[16:17], v[0:3], off
	global_load_dwordx4 v[0:3], v[12:13], off
	s_waitcnt vmcnt(0)
	v_fma_f64 v[0:1], -v[50:51], v[4:5], v[0:1]
	v_fma_f64 v[2:3], -v[52:53], v[4:5], v[2:3]
	v_fmac_f64_e32 v[0:1], v[52:53], v[6:7]
	v_fma_f64 v[2:3], -v[50:51], v[6:7], v[2:3]
	global_store_dwordx4 v[12:13], v[0:3], off
                                        ; implicit-def: $vgpr0_vgpr1
.LBB338_27:                             ;   in Loop: Header=BB338_25 Depth=1
	s_or_saveexec_b64 s[2:3], s[2:3]
	v_mov_b32_e32 v4, s18
	s_xor_b64 exec, exec, s[2:3]
	s_cbranch_execz .LBB338_24
; %bb.28:                               ;   in Loop: Header=BB338_25 Depth=1
	v_add_u32_e32 v18, v114, v36
	v_add_u32_e32 v32, s4, v18
	v_lshl_add_u64 v[12:13], v[32:33], 4, s[8:9]
	v_add_u32_e32 v32, s4, v34
	v_lshl_add_u64 v[14:15], v[32:33], 4, s[8:9]
	global_load_dwordx4 v[4:7], v[12:13], off
	global_load_dwordx4 v[8:11], v[14:15], off
	v_add_u32_e32 v32, s5, v18
	v_lshl_add_u64 v[12:13], v[32:33], 4, s[8:9]
	v_add_u32_e32 v32, s5, v34
	v_lshl_add_u64 v[16:17], v[32:33], 4, s[8:9]
	v_add_u32_e32 v32, s12, v18
	s_waitcnt vmcnt(0)
	v_fma_f64 v[8:9], -v[0:1], v[4:5], v[8:9]
	v_fma_f64 v[4:5], -v[2:3], v[4:5], v[10:11]
	v_fmac_f64_e32 v[8:9], v[2:3], v[6:7]
	v_fma_f64 v[10:11], -v[0:1], v[6:7], v[4:5]
	global_store_dwordx4 v[14:15], v[8:11], off
	global_load_dwordx4 v[4:7], v[12:13], off
	s_nop 0
	global_load_dwordx4 v[8:11], v[16:17], off
	v_lshl_add_u64 v[12:13], v[32:33], 4, s[8:9]
	v_add_u32_e32 v32, s12, v34
	v_lshl_add_u64 v[14:15], v[32:33], 4, s[8:9]
	v_add_u32_e32 v32, s13, v18
	s_waitcnt vmcnt(0)
	v_fma_f64 v[8:9], -v[0:1], v[4:5], v[8:9]
	v_fma_f64 v[4:5], -v[2:3], v[4:5], v[10:11]
	v_fmac_f64_e32 v[8:9], v[2:3], v[6:7]
	v_fma_f64 v[10:11], -v[0:1], v[6:7], v[4:5]
	global_store_dwordx4 v[16:17], v[8:11], off
	global_load_dwordx4 v[4:7], v[12:13], off
	s_nop 0
	global_load_dwordx4 v[8:11], v[14:15], off
	;; [unrolled: 13-line block ×6, first 2 shown]
	v_lshl_add_u64 v[12:13], v[32:33], 4, s[8:9]
	v_add_u32_e32 v32, s17, v34
	v_lshl_add_u64 v[16:17], v[32:33], 4, s[8:9]
	s_waitcnt vmcnt(0)
	v_fma_f64 v[8:9], -v[0:1], v[4:5], v[8:9]
	v_fma_f64 v[4:5], -v[2:3], v[4:5], v[10:11]
	v_fmac_f64_e32 v[8:9], v[2:3], v[6:7]
	v_fma_f64 v[10:11], -v[0:1], v[6:7], v[4:5]
	global_store_dwordx4 v[14:15], v[8:11], off
	global_load_dwordx4 v[4:7], v[12:13], off
	s_nop 0
	global_load_dwordx4 v[8:11], v[16:17], off
	s_waitcnt vmcnt(0)
	v_fma_f64 v[8:9], -v[0:1], v[4:5], v[8:9]
	v_fma_f64 v[4:5], -v[2:3], v[4:5], v[10:11]
	v_fmac_f64_e32 v[8:9], v[2:3], v[6:7]
	v_fma_f64 v[10:11], -v[0:1], v[6:7], v[4:5]
	v_mov_b32_e32 v4, s22
	global_store_dwordx4 v[16:17], v[8:11], off
	s_branch .LBB338_24
.LBB338_29:
	s_endpgm
	.section	.rodata,"a",@progbits
	.p2align	6, 0x0
	.amdhsa_kernel _ZN9rocsparseL19gtsv_LBM_rhs_kernelILj256ELj128ELj8E21rocsparse_complex_numIdEEEviiiPKT2_S5_S5_PS3_S5_PKi
		.amdhsa_group_segment_fixed_size 0
		.amdhsa_private_segment_fixed_size 0
		.amdhsa_kernarg_size 64
		.amdhsa_user_sgpr_count 2
		.amdhsa_user_sgpr_dispatch_ptr 0
		.amdhsa_user_sgpr_queue_ptr 0
		.amdhsa_user_sgpr_kernarg_segment_ptr 1
		.amdhsa_user_sgpr_dispatch_id 0
		.amdhsa_user_sgpr_kernarg_preload_length 0
		.amdhsa_user_sgpr_kernarg_preload_offset 0
		.amdhsa_user_sgpr_private_segment_size 0
		.amdhsa_uses_dynamic_stack 0
		.amdhsa_enable_private_segment 0
		.amdhsa_system_sgpr_workgroup_id_x 1
		.amdhsa_system_sgpr_workgroup_id_y 1
		.amdhsa_system_sgpr_workgroup_id_z 0
		.amdhsa_system_sgpr_workgroup_info 0
		.amdhsa_system_vgpr_workitem_id 0
		.amdhsa_next_free_vgpr 156
		.amdhsa_next_free_sgpr 37
		.amdhsa_accum_offset 156
		.amdhsa_reserve_vcc 1
		.amdhsa_float_round_mode_32 0
		.amdhsa_float_round_mode_16_64 0
		.amdhsa_float_denorm_mode_32 3
		.amdhsa_float_denorm_mode_16_64 3
		.amdhsa_dx10_clamp 1
		.amdhsa_ieee_mode 1
		.amdhsa_fp16_overflow 0
		.amdhsa_tg_split 0
		.amdhsa_exception_fp_ieee_invalid_op 0
		.amdhsa_exception_fp_denorm_src 0
		.amdhsa_exception_fp_ieee_div_zero 0
		.amdhsa_exception_fp_ieee_overflow 0
		.amdhsa_exception_fp_ieee_underflow 0
		.amdhsa_exception_fp_ieee_inexact 0
		.amdhsa_exception_int_div_zero 0
	.end_amdhsa_kernel
	.section	.text._ZN9rocsparseL19gtsv_LBM_rhs_kernelILj256ELj128ELj8E21rocsparse_complex_numIdEEEviiiPKT2_S5_S5_PS3_S5_PKi,"axG",@progbits,_ZN9rocsparseL19gtsv_LBM_rhs_kernelILj256ELj128ELj8E21rocsparse_complex_numIdEEEviiiPKT2_S5_S5_PS3_S5_PKi,comdat
.Lfunc_end338:
	.size	_ZN9rocsparseL19gtsv_LBM_rhs_kernelILj256ELj128ELj8E21rocsparse_complex_numIdEEEviiiPKT2_S5_S5_PS3_S5_PKi, .Lfunc_end338-_ZN9rocsparseL19gtsv_LBM_rhs_kernelILj256ELj128ELj8E21rocsparse_complex_numIdEEEviiiPKT2_S5_S5_PS3_S5_PKi
                                        ; -- End function
	.set _ZN9rocsparseL19gtsv_LBM_rhs_kernelILj256ELj128ELj8E21rocsparse_complex_numIdEEEviiiPKT2_S5_S5_PS3_S5_PKi.num_vgpr, 156
	.set _ZN9rocsparseL19gtsv_LBM_rhs_kernelILj256ELj128ELj8E21rocsparse_complex_numIdEEEviiiPKT2_S5_S5_PS3_S5_PKi.num_agpr, 0
	.set _ZN9rocsparseL19gtsv_LBM_rhs_kernelILj256ELj128ELj8E21rocsparse_complex_numIdEEEviiiPKT2_S5_S5_PS3_S5_PKi.numbered_sgpr, 37
	.set _ZN9rocsparseL19gtsv_LBM_rhs_kernelILj256ELj128ELj8E21rocsparse_complex_numIdEEEviiiPKT2_S5_S5_PS3_S5_PKi.num_named_barrier, 0
	.set _ZN9rocsparseL19gtsv_LBM_rhs_kernelILj256ELj128ELj8E21rocsparse_complex_numIdEEEviiiPKT2_S5_S5_PS3_S5_PKi.private_seg_size, 0
	.set _ZN9rocsparseL19gtsv_LBM_rhs_kernelILj256ELj128ELj8E21rocsparse_complex_numIdEEEviiiPKT2_S5_S5_PS3_S5_PKi.uses_vcc, 1
	.set _ZN9rocsparseL19gtsv_LBM_rhs_kernelILj256ELj128ELj8E21rocsparse_complex_numIdEEEviiiPKT2_S5_S5_PS3_S5_PKi.uses_flat_scratch, 0
	.set _ZN9rocsparseL19gtsv_LBM_rhs_kernelILj256ELj128ELj8E21rocsparse_complex_numIdEEEviiiPKT2_S5_S5_PS3_S5_PKi.has_dyn_sized_stack, 0
	.set _ZN9rocsparseL19gtsv_LBM_rhs_kernelILj256ELj128ELj8E21rocsparse_complex_numIdEEEviiiPKT2_S5_S5_PS3_S5_PKi.has_recursion, 0
	.set _ZN9rocsparseL19gtsv_LBM_rhs_kernelILj256ELj128ELj8E21rocsparse_complex_numIdEEEviiiPKT2_S5_S5_PS3_S5_PKi.has_indirect_call, 0
	.section	.AMDGPU.csdata,"",@progbits
; Kernel info:
; codeLenInByte = 7036
; TotalNumSgprs: 43
; NumVgprs: 156
; NumAgprs: 0
; TotalNumVgprs: 156
; ScratchSize: 0
; MemoryBound: 1
; FloatMode: 240
; IeeeMode: 1
; LDSByteSize: 0 bytes/workgroup (compile time only)
; SGPRBlocks: 5
; VGPRBlocks: 19
; NumSGPRsForWavesPerEU: 43
; NumVGPRsForWavesPerEU: 156
; AccumOffset: 156
; Occupancy: 3
; WaveLimiterHint : 0
; COMPUTE_PGM_RSRC2:SCRATCH_EN: 0
; COMPUTE_PGM_RSRC2:USER_SGPR: 2
; COMPUTE_PGM_RSRC2:TRAP_HANDLER: 0
; COMPUTE_PGM_RSRC2:TGID_X_EN: 1
; COMPUTE_PGM_RSRC2:TGID_Y_EN: 1
; COMPUTE_PGM_RSRC2:TGID_Z_EN: 0
; COMPUTE_PGM_RSRC2:TIDIG_COMP_CNT: 0
; COMPUTE_PGM_RSRC3_GFX90A:ACCUM_OFFSET: 38
; COMPUTE_PGM_RSRC3_GFX90A:TG_SPLIT: 0
	.section	.text._ZN9rocsparseL19gtsv_LBM_rhs_kernelILj256ELj128ELj4E21rocsparse_complex_numIdEEEviiiPKT2_S5_S5_PS3_S5_PKi,"axG",@progbits,_ZN9rocsparseL19gtsv_LBM_rhs_kernelILj256ELj128ELj4E21rocsparse_complex_numIdEEEviiiPKT2_S5_S5_PS3_S5_PKi,comdat
	.globl	_ZN9rocsparseL19gtsv_LBM_rhs_kernelILj256ELj128ELj4E21rocsparse_complex_numIdEEEviiiPKT2_S5_S5_PS3_S5_PKi ; -- Begin function _ZN9rocsparseL19gtsv_LBM_rhs_kernelILj256ELj128ELj4E21rocsparse_complex_numIdEEEviiiPKT2_S5_S5_PS3_S5_PKi
	.p2align	8
	.type	_ZN9rocsparseL19gtsv_LBM_rhs_kernelILj256ELj128ELj4E21rocsparse_complex_numIdEEEviiiPKT2_S5_S5_PS3_S5_PKi,@function
_ZN9rocsparseL19gtsv_LBM_rhs_kernelILj256ELj128ELj4E21rocsparse_complex_numIdEEEviiiPKT2_S5_S5_PS3_S5_PKi: ; @_ZN9rocsparseL19gtsv_LBM_rhs_kernelILj256ELj128ELj4E21rocsparse_complex_numIdEEEviiiPKT2_S5_S5_PS3_S5_PKi
; %bb.0:
	s_load_dword s23, s[0:1], 0x0
	v_lshl_or_b32 v28, s2, 8, v0
	s_waitcnt lgkmcnt(0)
	s_lshr_b32 s22, s23, 7
	v_cmp_gt_i32_e32 vcc, s22, v28
	s_and_saveexec_b64 s[4:5], vcc
	s_cbranch_execz .LBB339_29
; %bb.1:
	s_load_dwordx4 s[8:11], s[0:1], 0x28
	s_load_dwordx2 s[6:7], s[0:1], 0x38
	s_cmp_lt_i32 s23, 1
	v_add_u32_e32 v64, s22, v28
	s_mul_i32 s24, s3, s23
	s_cbranch_scc1 .LBB339_21
; %bb.2:
	s_load_dwordx4 s[12:15], s[0:1], 0x10
	s_load_dwordx2 s[16:17], s[0:1], 0x20
	v_ashrrev_i32_e32 v29, 31, v28
	s_lshl_b32 s28, s24, 2
	s_add_i32 s29, s28, s23
	s_waitcnt lgkmcnt(0)
	v_lshl_add_u64 v[0:1], v[28:29], 4, s[14:15]
	global_load_dwordx4 v[0:3], v[0:1], off
	s_add_i32 s30, s29, s23
	s_mul_i32 s25, s22, 0x7f
	s_mul_i32 s26, s22, 0x7e
	s_lshl_b32 s27, s22, 1
	v_add_u32_e32 v65, s22, v64
	s_add_i32 s31, s30, s23
	v_mov_b32_e32 v31, 0
	s_mov_b64 s[18:19], 0
	v_mov_b32_e32 v29, 0
	s_branch .LBB339_5
.LBB339_3:                              ;   in Loop: Header=BB339_5 Depth=1
	s_or_b64 exec, exec, s[4:5]
	v_fmac_f64_e32 v[34:35], v[4:5], v[8:9]
	v_fmac_f64_e32 v[32:33], v[6:7], v[8:9]
	v_mul_f64 v[0:1], v[36:37], -v[32:33]
	v_mul_f64 v[2:3], v[36:37], v[34:35]
	v_fmac_f64_e32 v[0:1], v[34:35], v[10:11]
	v_fmac_f64_e32 v[2:3], v[32:33], v[10:11]
	v_add_f64 v[0:1], v[12:13], -v[0:1]
	v_add_f64 v[2:3], v[14:15], -v[2:3]
	v_mov_b32_e32 v10, s22
.LBB339_4:                              ;   in Loop: Header=BB339_5 Depth=1
	s_or_b64 exec, exec, s[2:3]
	v_add_u32_e32 v29, v10, v29
	v_cmp_le_i32_e32 vcc, s23, v29
	s_or_b64 s[18:19], vcc, s[18:19]
	s_andn2_b64 exec, exec, s[18:19]
	s_cbranch_execz .LBB339_20
.LBB339_5:                              ; =>This Inner Loop Header: Depth=1
	v_add_u32_e32 v24, v29, v28
	v_ashrrev_i32_e32 v25, 31, v24
	v_lshl_add_u64 v[4:5], v[24:25], 4, s[16:17]
	global_load_dwordx4 v[8:11], v[4:5], off
	v_cmp_gt_u32_e64 s[0:1], s25, v29
	v_mov_b64_e32 v[12:13], 0
	v_mov_b64_e32 v[4:5], 0
	;; [unrolled: 1-line block ×3, first 2 shown]
	s_and_saveexec_b64 s[2:3], s[0:1]
	s_cbranch_execz .LBB339_7
; %bb.6:                                ;   in Loop: Header=BB339_5 Depth=1
	v_add_u32_e32 v4, v64, v29
	v_ashrrev_i32_e32 v5, 31, v4
	v_lshl_add_u64 v[4:5], v[4:5], 4, s[12:13]
	global_load_dwordx4 v[4:7], v[4:5], off
.LBB339_7:                              ;   in Loop: Header=BB339_5 Depth=1
	s_or_b64 exec, exec, s[2:3]
	v_mov_b64_e32 v[14:15], 0
	s_and_saveexec_b64 s[2:3], s[0:1]
	s_cbranch_execz .LBB339_9
; %bb.8:                                ;   in Loop: Header=BB339_5 Depth=1
	v_add_u32_e32 v12, v64, v29
	v_ashrrev_i32_e32 v13, 31, v12
	v_lshl_add_u64 v[12:13], v[12:13], 4, s[14:15]
	global_load_dwordx4 v[12:15], v[12:13], off
.LBB339_9:                              ;   in Loop: Header=BB339_5 Depth=1
	s_or_b64 exec, exec, s[2:3]
	v_mov_b64_e32 v[20:21], 0
	v_mov_b64_e32 v[16:17], 0
	;; [unrolled: 1-line block ×3, first 2 shown]
	s_and_saveexec_b64 s[2:3], s[0:1]
	s_cbranch_execz .LBB339_11
; %bb.10:                               ;   in Loop: Header=BB339_5 Depth=1
	v_add_u32_e32 v16, v64, v29
	v_ashrrev_i32_e32 v17, 31, v16
	v_lshl_add_u64 v[16:17], v[16:17], 4, s[16:17]
	global_load_dwordx4 v[16:19], v[16:17], off
.LBB339_11:                             ;   in Loop: Header=BB339_5 Depth=1
	s_or_b64 exec, exec, s[2:3]
	v_cmp_gt_u32_e64 s[2:3], s26, v29
	v_mov_b64_e32 v[22:23], 0
	s_and_saveexec_b64 s[4:5], s[2:3]
	s_cbranch_execz .LBB339_13
; %bb.12:                               ;   in Loop: Header=BB339_5 Depth=1
	v_add_u32_e32 v20, v65, v29
	v_ashrrev_i32_e32 v21, 31, v20
	v_lshl_add_u64 v[20:21], v[20:21], 4, s[12:13]
	global_load_dwordx4 v[20:23], v[20:21], off
.LBB339_13:                             ;   in Loop: Header=BB339_5 Depth=1
	s_or_b64 exec, exec, s[4:5]
	v_lshl_add_u64 v[26:27], v[24:25], 2, s[6:7]
	global_load_dword v25, v[26:27], off
	v_cmp_ne_u32_e32 vcc, s25, v29
	s_waitcnt vmcnt(1)
	v_mul_f64 v[34:35], v[10:11], -v[6:7]
	v_mul_f64 v[32:33], v[10:11], v[4:5]
	v_add_u32_e32 v30, s28, v24
	v_add_u32_e32 v42, s29, v24
	;; [unrolled: 1-line block ×4, first 2 shown]
	s_waitcnt vmcnt(0)
	v_cmp_ne_u32_e64 s[4:5], 1, v25
	s_and_b64 s[4:5], vcc, s[4:5]
	s_and_saveexec_b64 s[20:21], s[4:5]
	s_xor_b64 s[4:5], exec, s[20:21]
	s_cbranch_execz .LBB339_17
; %bb.14:                               ;   in Loop: Header=BB339_5 Depth=1
	v_add_u32_e32 v44, v64, v29
	v_lshl_add_u64 v[40:41], v[30:31], 4, s[8:9]
	v_add_u32_e32 v30, s28, v44
	v_mov_b32_e32 v43, v31
	v_lshl_add_u64 v[48:49], v[42:43], 4, s[8:9]
	v_lshl_add_u64 v[82:83], v[30:31], 4, s[8:9]
	v_add_u32_e32 v30, s29, v44
	global_load_dwordx4 v[24:27], v[40:41], off
	global_load_dwordx4 v[52:55], v[48:49], off
	;; [unrolled: 1-line block ×3, first 2 shown]
	v_lshl_add_u64 v[84:85], v[30:31], 4, s[8:9]
	global_load_dwordx4 v[60:63], v[84:85], off
	v_mov_b32_e32 v39, v31
	v_add_u32_e32 v30, s30, v44
	v_lshl_add_u64 v[86:87], v[38:39], 4, s[8:9]
	v_lshl_add_u64 v[88:89], v[30:31], 4, s[8:9]
	global_load_dwordx4 v[66:69], v[86:87], off
	global_load_dwordx4 v[70:73], v[88:89], off
	v_mov_b32_e32 v37, v31
	v_lshl_add_u64 v[90:91], v[36:37], 4, s[8:9]
	global_load_dwordx4 v[74:77], v[90:91], off
	v_add_u32_e32 v30, s31, v44
	v_lshl_add_u64 v[92:93], v[30:31], 4, s[8:9]
	global_load_dwordx4 v[78:81], v[92:93], off
	v_mul_f64 v[42:43], v[0:1], v[14:15]
	v_mul_f64 v[38:39], v[14:15], -v[2:3]
	v_fmac_f64_e32 v[32:33], v[6:7], v[8:9]
	v_fmac_f64_e32 v[42:43], v[2:3], v[12:13]
	v_fmac_f64_e32 v[34:35], v[4:5], v[8:9]
	v_fmac_f64_e32 v[38:39], v[0:1], v[12:13]
	v_add_f64 v[32:33], v[42:43], -v[32:33]
	v_add_f64 v[34:35], v[38:39], -v[34:35]
	v_mul_f64 v[36:37], v[32:33], v[32:33]
	v_fmac_f64_e32 v[36:37], v[34:35], v[34:35]
	v_div_scale_f64 v[42:43], s[20:21], v[36:37], v[36:37], 1.0
	v_rcp_f64_e32 v[44:45], v[42:43]
	v_fma_f64 v[38:39], 0, v[32:33], v[34:35]
	v_fma_f64 v[34:35], v[34:35], 0, -v[32:33]
	v_div_scale_f64 v[32:33], vcc, 1.0, v[36:37], 1.0
	v_fma_f64 v[46:47], -v[42:43], v[44:45], 1.0
	v_fmac_f64_e32 v[44:45], v[44:45], v[46:47]
	v_fma_f64 v[46:47], -v[42:43], v[44:45], 1.0
	v_fmac_f64_e32 v[44:45], v[44:45], v[46:47]
	v_mul_f64 v[46:47], v[32:33], v[44:45]
	v_fma_f64 v[32:33], -v[42:43], v[46:47], v[32:33]
	v_div_fmas_f64 v[32:33], v[32:33], v[44:45], v[46:47]
	v_div_fixup_f64 v[36:37], v[32:33], v[36:37], 1.0
	v_mul_f64 v[34:35], v[34:35], v[36:37]
	v_mul_f64 v[32:33], v[38:39], v[36:37]
	s_waitcnt vmcnt(7)
	v_mul_f64 v[36:37], v[34:35], -v[26:27]
	v_mul_f64 v[42:43], v[34:35], v[24:25]
	s_waitcnt vmcnt(6)
	v_mul_f64 v[46:47], v[34:35], v[52:53]
	s_waitcnt vmcnt(5)
	v_mul_f64 v[50:51], v[34:35], v[56:57]
	v_fmac_f64_e32 v[36:37], v[24:25], v[32:33]
	v_fmac_f64_e32 v[42:43], v[26:27], v[32:33]
	v_mul_f64 v[24:25], v[34:35], -v[54:55]
	v_mul_f64 v[38:39], v[34:35], -v[58:59]
	v_fmac_f64_e32 v[46:47], v[54:55], v[32:33]
	v_fmac_f64_e32 v[50:51], v[58:59], v[32:33]
	s_waitcnt vmcnt(4)
	v_mul_f64 v[54:55], v[34:35], v[60:61]
	v_mul_f64 v[26:27], v[42:43], -v[14:15]
	v_mul_f64 v[94:95], v[12:13], v[42:43]
	v_fmac_f64_e32 v[38:39], v[56:57], v[32:33]
	v_mul_f64 v[44:45], v[34:35], -v[62:63]
	v_mul_f64 v[56:57], v[50:51], -v[10:11]
	v_mul_f64 v[58:59], v[8:9], v[50:51]
	v_fmac_f64_e32 v[54:55], v[62:63], v[32:33]
	v_fmac_f64_e32 v[24:25], v[52:53], v[32:33]
	;; [unrolled: 1-line block ×4, first 2 shown]
	v_mul_f64 v[52:53], v[46:47], -v[14:15]
	v_mul_f64 v[96:97], v[12:13], v[46:47]
	v_fmac_f64_e32 v[44:45], v[60:61], v[32:33]
	v_fmac_f64_e32 v[56:57], v[8:9], v[38:39]
	;; [unrolled: 1-line block ×3, first 2 shown]
	v_mul_f64 v[60:61], v[54:55], -v[10:11]
	v_mul_f64 v[62:63], v[8:9], v[54:55]
	v_fmac_f64_e32 v[52:53], v[12:13], v[24:25]
	v_fmac_f64_e32 v[96:97], v[14:15], v[24:25]
	v_add_f64 v[56:57], v[26:27], -v[56:57]
	v_add_f64 v[58:59], v[94:95], -v[58:59]
	v_fmac_f64_e32 v[60:61], v[8:9], v[44:45]
	v_fmac_f64_e32 v[62:63], v[10:11], v[44:45]
	global_store_dwordx4 v[40:41], v[56:59], off
	s_waitcnt vmcnt(4)
	v_mul_f64 v[26:27], v[34:35], -v[68:69]
	s_waitcnt vmcnt(3)
	v_mul_f64 v[40:41], v[34:35], -v[72:73]
	v_add_f64 v[56:57], v[52:53], -v[60:61]
	v_add_f64 v[58:59], v[96:97], -v[62:63]
	global_store_dwordx4 v[48:49], v[56:59], off
	v_mul_f64 v[48:49], v[34:35], v[66:67]
	v_mul_f64 v[52:53], v[34:35], v[70:71]
	v_fmac_f64_e32 v[48:49], v[68:69], v[32:33]
	v_fmac_f64_e32 v[52:53], v[72:73], v[32:33]
	;; [unrolled: 1-line block ×4, first 2 shown]
	v_mul_f64 v[56:57], v[48:49], -v[14:15]
	v_mul_f64 v[58:59], v[12:13], v[48:49]
	v_mul_f64 v[60:61], v[52:53], -v[10:11]
	v_mul_f64 v[62:63], v[8:9], v[52:53]
	v_fmac_f64_e32 v[56:57], v[12:13], v[26:27]
	v_fmac_f64_e32 v[58:59], v[14:15], v[26:27]
	;; [unrolled: 1-line block ×4, first 2 shown]
	v_add_f64 v[56:57], v[56:57], -v[60:61]
	v_add_f64 v[58:59], v[58:59], -v[62:63]
	s_waitcnt vmcnt(3)
	v_mul_f64 v[60:61], v[34:35], v[74:75]
	global_store_dwordx4 v[86:87], v[56:59], off
	v_fmac_f64_e32 v[60:61], v[76:77], v[32:33]
	s_waitcnt vmcnt(3)
	v_mul_f64 v[62:63], v[34:35], v[78:79]
	v_mul_f64 v[56:57], v[34:35], -v[76:77]
	v_fmac_f64_e32 v[56:57], v[74:75], v[32:33]
	v_mul_f64 v[66:67], v[60:61], -v[14:15]
	v_mul_f64 v[58:59], v[34:35], -v[80:81]
	v_fmac_f64_e32 v[62:63], v[80:81], v[32:33]
	v_fmac_f64_e32 v[66:67], v[12:13], v[56:57]
	v_mul_f64 v[12:13], v[12:13], v[60:61]
	v_fmac_f64_e32 v[58:59], v[78:79], v[32:33]
	v_fmac_f64_e32 v[12:13], v[14:15], v[56:57]
	v_mul_f64 v[14:15], v[62:63], -v[10:11]
	v_mul_f64 v[68:69], v[8:9], v[62:63]
	v_fmac_f64_e32 v[14:15], v[8:9], v[58:59]
	v_fmac_f64_e32 v[68:69], v[10:11], v[58:59]
	v_add_f64 v[8:9], v[66:67], -v[14:15]
	v_add_f64 v[10:11], v[12:13], -v[68:69]
	global_store_dwordx4 v[90:91], v[8:11], off
	v_mul_f64 v[12:13], v[50:51], -v[2:3]
	v_mul_f64 v[14:15], v[0:1], v[50:51]
	v_mul_f64 v[8:9], v[6:7], v[42:43]
	v_mul_f64 v[10:11], v[42:43], -v[4:5]
	v_fma_f64 v[8:9], -v[4:5], v[36:37], v[8:9]
	v_fma_f64 v[10:11], -v[6:7], v[36:37], v[10:11]
	v_fmac_f64_e32 v[12:13], v[0:1], v[38:39]
	v_fmac_f64_e32 v[14:15], v[2:3], v[38:39]
	v_add_f64 v[8:9], v[8:9], v[12:13]
	v_add_f64 v[10:11], v[10:11], v[14:15]
	global_store_dwordx4 v[82:83], v[8:11], off
	v_mul_f64 v[12:13], v[54:55], -v[2:3]
	v_mul_f64 v[14:15], v[0:1], v[54:55]
	v_mul_f64 v[8:9], v[6:7], v[46:47]
	v_mul_f64 v[10:11], v[46:47], -v[4:5]
	v_fma_f64 v[8:9], -v[4:5], v[24:25], v[8:9]
	v_fma_f64 v[10:11], -v[6:7], v[24:25], v[10:11]
	v_fmac_f64_e32 v[12:13], v[0:1], v[44:45]
	v_fmac_f64_e32 v[14:15], v[2:3], v[44:45]
	v_add_f64 v[8:9], v[8:9], v[12:13]
	v_add_f64 v[10:11], v[10:11], v[14:15]
	global_store_dwordx4 v[84:85], v[8:11], off
	v_mul_f64 v[14:15], v[0:1], v[52:53]
	v_fmac_f64_e32 v[14:15], v[2:3], v[40:41]
	v_mul_f64 v[10:11], v[48:49], -v[4:5]
	v_mul_f64 v[8:9], v[6:7], v[48:49]
	v_fma_f64 v[12:13], -v[6:7], v[26:27], v[10:11]
	v_mul_f64 v[10:11], v[52:53], -v[2:3]
	v_fma_f64 v[8:9], -v[4:5], v[26:27], v[8:9]
	v_fmac_f64_e32 v[10:11], v[0:1], v[40:41]
	v_add_f64 v[10:11], v[8:9], v[10:11]
	v_add_f64 v[12:13], v[12:13], v[14:15]
	global_store_dwordx4 v[88:89], v[10:13], off
	v_mul_f64 v[14:15], v[62:63], -v[2:3]
	v_mul_f64 v[66:67], v[0:1], v[62:63]
	v_mul_f64 v[10:11], v[6:7], v[60:61]
	v_mul_f64 v[12:13], v[60:61], -v[4:5]
	v_fma_f64 v[10:11], -v[4:5], v[56:57], v[10:11]
	v_fma_f64 v[12:13], -v[6:7], v[56:57], v[12:13]
	v_fmac_f64_e32 v[14:15], v[0:1], v[58:59]
	v_fmac_f64_e32 v[66:67], v[2:3], v[58:59]
	v_add_f64 v[10:11], v[10:11], v[14:15]
	v_add_f64 v[12:13], v[12:13], v[66:67]
	v_mov_b64_e32 v[8:9], 0
	global_store_dwordx4 v[92:93], v[10:13], off
	s_nop 1
	v_mov_b64_e32 v[10:11], 0
	s_and_saveexec_b64 s[20:21], s[2:3]
	s_cbranch_execz .LBB339_16
; %bb.15:                               ;   in Loop: Header=BB339_5 Depth=1
	v_add_u32_e32 v66, v65, v29
	v_add_u32_e32 v30, s28, v66
	v_lshl_add_u64 v[68:69], v[30:31], 4, s[8:9]
	v_add_u32_e32 v30, s29, v66
	global_load_dwordx4 v[8:11], v[68:69], off
	v_lshl_add_u64 v[70:71], v[30:31], 4, s[8:9]
	global_load_dwordx4 v[12:15], v[70:71], off
	v_mul_f64 v[72:73], v[6:7], v[22:23]
	v_mul_f64 v[74:75], v[22:23], -v[4:5]
	v_mul_f64 v[76:77], v[22:23], -v[2:3]
	v_mul_f64 v[78:79], v[0:1], v[22:23]
	v_fma_f64 v[72:73], -v[4:5], v[20:21], v[72:73]
	v_fma_f64 v[74:75], -v[6:7], v[20:21], v[74:75]
	v_fmac_f64_e32 v[76:77], v[0:1], v[20:21]
	v_fmac_f64_e32 v[78:79], v[2:3], v[20:21]
	v_mul_f64 v[4:5], v[74:75], v[42:43]
	v_mul_f64 v[6:7], v[42:43], -v[72:73]
	v_mul_f64 v[42:43], v[50:51], -v[78:79]
	v_mul_f64 v[50:51], v[76:77], v[50:51]
	v_mul_f64 v[80:81], v[74:75], v[46:47]
	v_mul_f64 v[46:47], v[46:47], -v[72:73]
	v_mul_f64 v[82:83], v[54:55], -v[78:79]
	v_mul_f64 v[54:55], v[76:77], v[54:55]
	v_fma_f64 v[86:87], -v[72:73], v[36:37], v[4:5]
	v_fma_f64 v[36:37], -v[74:75], v[36:37], v[6:7]
	v_fmac_f64_e32 v[42:43], v[76:77], v[38:39]
	v_fmac_f64_e32 v[50:51], v[78:79], v[38:39]
	v_fma_f64 v[38:39], -v[72:73], v[24:25], v[80:81]
	v_fma_f64 v[24:25], -v[74:75], v[24:25], v[46:47]
	v_fmac_f64_e32 v[82:83], v[76:77], v[44:45]
	v_fmac_f64_e32 v[54:55], v[78:79], v[44:45]
	v_add_f64 v[42:43], v[86:87], -v[42:43]
	v_add_f64 v[36:37], v[36:37], -v[50:51]
	v_add_u32_e32 v30, s30, v66
	v_add_f64 v[38:39], v[38:39], -v[82:83]
	v_add_f64 v[24:25], v[24:25], -v[54:55]
	v_ashrrev_i32_e32 v67, 31, v66
	v_lshl_add_u64 v[44:45], v[30:31], 4, s[8:9]
	v_add_u32_e32 v30, s31, v66
	v_lshl_add_u64 v[84:85], v[66:67], 4, s[14:15]
	v_lshl_add_u64 v[46:47], v[30:31], 4, s[8:9]
	global_load_dwordx4 v[4:7], v[84:85], off
	v_mul_f64 v[50:51], v[76:77], v[62:63]
	v_fmac_f64_e32 v[50:51], v[78:79], v[58:59]
	s_waitcnt vmcnt(2)
	v_add_f64 v[8:9], v[42:43], v[8:9]
	v_add_f64 v[10:11], v[36:37], v[10:11]
	global_store_dwordx4 v[68:69], v[8:11], off
	v_mul_f64 v[42:43], v[60:61], -v[72:73]
	s_waitcnt vmcnt(2)
	v_add_f64 v[8:9], v[38:39], v[12:13]
	v_add_f64 v[10:11], v[24:25], v[14:15]
	global_load_dwordx4 v[36:39], v[44:45], off
	v_mul_f64 v[24:25], v[74:75], v[60:61]
	global_store_dwordx4 v[70:71], v[8:11], off
	global_load_dwordx4 v[12:15], v[46:47], off
	v_fma_f64 v[24:25], -v[72:73], v[56:57], v[24:25]
	v_mul_f64 v[8:9], v[2:3], -v[22:23]
	v_mul_f64 v[2:3], v[2:3], v[20:21]
	v_fmac_f64_e32 v[8:9], v[20:21], v[0:1]
	v_fmac_f64_e32 v[2:3], v[22:23], v[0:1]
	v_mul_f64 v[0:1], v[74:75], v[48:49]
	v_mul_f64 v[10:11], v[48:49], -v[72:73]
	v_mul_f64 v[20:21], v[52:53], -v[78:79]
	v_mul_f64 v[22:23], v[76:77], v[52:53]
	v_mul_f64 v[52:53], v[18:19], -v[2:3]
	v_mul_f64 v[18:19], v[18:19], v[8:9]
	v_mul_f64 v[48:49], v[62:63], -v[78:79]
	v_fma_f64 v[0:1], -v[72:73], v[26:27], v[0:1]
	v_fma_f64 v[10:11], -v[74:75], v[26:27], v[10:11]
	v_fmac_f64_e32 v[20:21], v[76:77], v[40:41]
	v_fmac_f64_e32 v[22:23], v[78:79], v[40:41]
	;; [unrolled: 1-line block ×4, first 2 shown]
	v_fma_f64 v[26:27], -v[74:75], v[56:57], v[42:43]
	v_fmac_f64_e32 v[48:49], v[76:77], v[58:59]
	v_add_f64 v[0:1], v[0:1], -v[20:21]
	v_add_f64 v[2:3], v[10:11], -v[22:23]
	v_mul_f64 v[10:11], v[34:35], -v[18:19]
	v_mul_f64 v[20:21], v[34:35], v[52:53]
	v_add_f64 v[8:9], v[24:25], -v[48:49]
	v_add_f64 v[16:17], v[26:27], -v[50:51]
	v_fmac_f64_e32 v[10:11], v[52:53], v[32:33]
	v_fmac_f64_e32 v[20:21], v[18:19], v[32:33]
	s_waitcnt vmcnt(4)
	v_add_f64 v[10:11], v[4:5], -v[10:11]
	s_waitcnt vmcnt(2)
	v_add_f64 v[0:1], v[0:1], v[36:37]
	v_add_f64 v[2:3], v[2:3], v[38:39]
	global_store_dwordx4 v[44:45], v[0:3], off
	s_waitcnt vmcnt(1)
	s_nop 0
	v_add_f64 v[0:1], v[8:9], v[12:13]
	v_add_f64 v[2:3], v[16:17], v[14:15]
	v_add_f64 v[8:9], v[6:7], -v[20:21]
	global_store_dwordx4 v[46:47], v[0:3], off
.LBB339_16:                             ;   in Loop: Header=BB339_5 Depth=1
	s_or_b64 exec, exec, s[20:21]
	s_nop 0
	v_mov_b64_e32 v[2:3], v[8:9]
	v_mov_b64_e32 v[0:1], v[10:11]
                                        ; implicit-def: $vgpr4_vgpr5
                                        ; implicit-def: $vgpr12_vgpr13
                                        ; implicit-def: $vgpr8_vgpr9
                                        ; implicit-def: $vgpr34_vgpr35
                                        ; implicit-def: $vgpr32_vgpr33
                                        ; implicit-def: $vgpr42
                                        ; implicit-def: $vgpr38
                                        ; implicit-def: $vgpr36
.LBB339_17:                             ;   in Loop: Header=BB339_5 Depth=1
	s_or_saveexec_b64 s[2:3], s[4:5]
	v_mov_b32_e32 v10, s27
	s_xor_b64 exec, exec, s[2:3]
	s_cbranch_execz .LBB339_4
; %bb.18:                               ;   in Loop: Header=BB339_5 Depth=1
	v_lshl_add_u64 v[52:53], v[30:31], 4, s[8:9]
	v_mov_b32_e32 v43, v31
	v_mov_b32_e32 v39, v31
	;; [unrolled: 1-line block ×3, first 2 shown]
	global_load_dwordx4 v[16:19], v[52:53], off
	v_lshl_add_u64 v[54:55], v[42:43], 4, s[8:9]
	v_lshl_add_u64 v[38:39], v[38:39], 4, s[8:9]
	;; [unrolled: 1-line block ×3, first 2 shown]
	global_load_dwordx4 v[40:43], v[54:55], off
	global_load_dwordx4 v[48:51], v[56:57], off
	;; [unrolled: 1-line block ×3, first 2 shown]
	v_mul_f64 v[10:11], v[2:3], v[2:3]
	v_fmac_f64_e32 v[10:11], v[0:1], v[0:1]
	v_div_scale_f64 v[22:23], s[4:5], v[10:11], v[10:11], 1.0
	v_rcp_f64_e32 v[24:25], v[22:23]
	v_fma_f64 v[20:21], 0, v[2:3], v[0:1]
	v_fma_f64 v[0:1], v[0:1], 0, -v[2:3]
	v_div_scale_f64 v[2:3], vcc, 1.0, v[10:11], 1.0
	v_fma_f64 v[26:27], -v[22:23], v[24:25], 1.0
	v_fmac_f64_e32 v[24:25], v[24:25], v[26:27]
	v_fma_f64 v[26:27], -v[22:23], v[24:25], 1.0
	v_fmac_f64_e32 v[24:25], v[24:25], v[26:27]
	v_mul_f64 v[26:27], v[2:3], v[24:25]
	v_fma_f64 v[2:3], -v[22:23], v[26:27], v[2:3]
	v_div_fmas_f64 v[2:3], v[2:3], v[24:25], v[26:27]
	v_div_fixup_f64 v[2:3], v[2:3], v[10:11], 1.0
	v_mul_f64 v[36:37], v[0:1], v[2:3]
	v_mul_f64 v[10:11], v[20:21], v[2:3]
	s_waitcnt vmcnt(3)
	v_mul_f64 v[24:25], v[36:37], -v[18:19]
	v_mul_f64 v[26:27], v[36:37], v[16:17]
	v_fmac_f64_e32 v[24:25], v[16:17], v[10:11]
	v_fmac_f64_e32 v[26:27], v[18:19], v[10:11]
	s_waitcnt vmcnt(2)
	v_mul_f64 v[20:21], v[36:37], -v[42:43]
	v_mul_f64 v[22:23], v[36:37], v[40:41]
	s_waitcnt vmcnt(0)
	v_mul_f64 v[16:17], v[36:37], -v[46:47]
	v_mul_f64 v[18:19], v[36:37], v[44:45]
	v_mul_f64 v[0:1], v[36:37], -v[50:51]
	v_mul_f64 v[2:3], v[36:37], v[48:49]
	v_fmac_f64_e32 v[20:21], v[40:41], v[10:11]
	v_fmac_f64_e32 v[22:23], v[42:43], v[10:11]
	;; [unrolled: 1-line block ×6, first 2 shown]
	global_store_dwordx4 v[52:53], v[24:27], off
	global_store_dwordx4 v[54:55], v[20:23], off
	;; [unrolled: 1-line block ×4, first 2 shown]
	s_and_saveexec_b64 s[4:5], s[0:1]
	s_cbranch_execz .LBB339_3
; %bb.19:                               ;   in Loop: Header=BB339_5 Depth=1
	v_add_u32_e32 v52, v64, v29
	v_add_u32_e32 v30, s28, v52
	v_lshl_add_u64 v[46:47], v[30:31], 4, s[8:9]
	v_add_u32_e32 v30, s29, v52
	global_load_dwordx4 v[38:41], v[46:47], off
	v_lshl_add_u64 v[48:49], v[30:31], 4, s[8:9]
	global_load_dwordx4 v[42:45], v[48:49], off
	v_add_u32_e32 v30, s30, v52
	v_lshl_add_u64 v[50:51], v[30:31], 4, s[8:9]
	v_add_u32_e32 v30, s31, v52
	v_lshl_add_u64 v[52:53], v[30:31], 4, s[8:9]
	s_waitcnt vmcnt(1)
	v_fma_f64 v[38:39], -v[4:5], v[24:25], v[38:39]
	v_fma_f64 v[24:25], -v[6:7], v[24:25], v[40:41]
	v_fmac_f64_e32 v[38:39], v[6:7], v[26:27]
	v_fma_f64 v[40:41], -v[4:5], v[26:27], v[24:25]
	s_waitcnt vmcnt(0)
	v_fma_f64 v[24:25], -v[4:5], v[20:21], v[42:43]
	v_fma_f64 v[20:21], -v[6:7], v[20:21], v[44:45]
	global_store_dwordx4 v[46:47], v[38:41], off
	v_fmac_f64_e32 v[24:25], v[6:7], v[22:23]
	v_fma_f64 v[26:27], -v[4:5], v[22:23], v[20:21]
	global_load_dwordx4 v[38:41], v[50:51], off
	s_nop 0
	global_store_dwordx4 v[48:49], v[24:27], off
	global_load_dwordx4 v[20:23], v[52:53], off
	s_waitcnt vmcnt(2)
	v_fma_f64 v[24:25], -v[4:5], v[16:17], v[38:39]
	v_fma_f64 v[16:17], -v[6:7], v[16:17], v[40:41]
	;; [unrolled: 1-line block ×3, first 2 shown]
	s_waitcnt vmcnt(0)
	v_fma_f64 v[16:17], -v[4:5], v[0:1], v[20:21]
	v_fma_f64 v[0:1], -v[6:7], v[0:1], v[22:23]
	v_fmac_f64_e32 v[24:25], v[6:7], v[18:19]
	v_fmac_f64_e32 v[16:17], v[6:7], v[2:3]
	v_fma_f64 v[18:19], -v[4:5], v[2:3], v[0:1]
	global_store_dwordx4 v[50:51], v[24:27], off
	global_store_dwordx4 v[52:53], v[16:19], off
	s_branch .LBB339_3
.LBB339_20:
	s_or_b64 exec, exec, s[18:19]
	s_branch .LBB339_22
.LBB339_21:
	v_mov_b32_e32 v29, 0
.LBB339_22:
	v_subrev_u32_e32 v2, s22, v29
	v_add_u32_e32 v0, v2, v28
	v_ashrrev_i32_e32 v1, 31, v0
	s_waitcnt lgkmcnt(0)
	v_lshl_add_u64 v[0:1], v[0:1], 2, s[6:7]
	buffer_wbl2 sc1
	s_waitcnt vmcnt(0)
	buffer_inv sc1
	global_load_dword v0, v[0:1], off
	s_waitcnt vmcnt(0)
	v_mul_lo_u32 v0, v0, s22
	v_sub_u32_e32 v8, v2, v0
	v_cmp_lt_i32_e32 vcc, -1, v8
	s_and_b64 exec, exec, vcc
	s_cbranch_execz .LBB339_29
; %bb.23:
	s_lshl_b32 s4, s24, 2
	s_add_i32 s5, s4, s23
	s_add_i32 s12, s5, s23
	;; [unrolled: 1-line block ×3, first 2 shown]
	s_lshl_b32 s14, s22, 1
	s_mov_b64 s[0:1], 0
	v_mov_b32_e32 v5, 0
	s_branch .LBB339_25
.LBB339_24:                             ;   in Loop: Header=BB339_25 Depth=1
	s_or_b64 exec, exec, s[2:3]
	v_sub_u32_e32 v8, v8, v4
	v_cmp_gt_i32_e32 vcc, 0, v8
	s_or_b64 s[0:1], vcc, s[0:1]
	s_andn2_b64 exec, exec, s[0:1]
	s_cbranch_execz .LBB339_29
.LBB339_25:                             ; =>This Inner Loop Header: Depth=1
	v_add_u32_e32 v6, v8, v28
	v_ashrrev_i32_e32 v7, 31, v6
	s_waitcnt vmcnt(0)
	v_lshl_add_u64 v[0:1], v[6:7], 2, s[6:7]
	global_load_dword v4, v[0:1], off
	v_lshl_add_u64 v[0:1], v[6:7], 4, s[10:11]
	global_load_dwordx4 v[0:3], v[0:1], off
	s_waitcnt vmcnt(1)
	v_cmp_ne_u32_e32 vcc, 1, v4
	s_and_saveexec_b64 s[2:3], vcc
	s_xor_b64 s[2:3], exec, s[2:3]
	s_cbranch_execz .LBB339_27
; %bb.26:                               ;   in Loop: Header=BB339_25 Depth=1
	v_add_u32_e32 v7, v64, v8
	v_add_u32_e32 v4, s4, v7
	v_lshl_add_u64 v[26:27], v[4:5], 4, s[8:9]
	v_add_u32_e32 v4, s5, v7
	v_lshl_add_u64 v[34:35], v[4:5], 4, s[8:9]
	;; [unrolled: 2-line block ×5, first 2 shown]
	global_load_dwordx4 v[10:13], v[40:41], off
	global_load_dwordx4 v[14:17], v[26:27], off
	;; [unrolled: 1-line block ×5, first 2 shown]
	v_add_u32_e32 v4, s5, v6
	v_lshl_add_u64 v[26:27], v[4:5], 4, s[8:9]
	v_add_u32_e32 v4, s12, v6
	v_lshl_add_u64 v[34:35], v[4:5], 4, s[8:9]
	;; [unrolled: 2-line block ×3, first 2 shown]
	v_subrev_u32_e32 v4, s22, v8
	s_waitcnt vmcnt(3)
	v_fma_f64 v[10:11], -v[0:1], v[14:15], v[10:11]
	v_fma_f64 v[12:13], -v[2:3], v[14:15], v[12:13]
	v_fmac_f64_e32 v[10:11], v[2:3], v[16:17]
	v_fma_f64 v[12:13], -v[0:1], v[16:17], v[12:13]
	global_store_dwordx4 v[40:41], v[10:13], off
	global_load_dwordx4 v[10:13], v[26:27], off
	s_waitcnt vmcnt(0)
	v_fma_f64 v[10:11], -v[0:1], v[18:19], v[10:11]
	v_fma_f64 v[12:13], -v[2:3], v[18:19], v[12:13]
	v_fmac_f64_e32 v[10:11], v[2:3], v[20:21]
	v_fma_f64 v[12:13], -v[0:1], v[20:21], v[12:13]
	global_store_dwordx4 v[26:27], v[10:13], off
	global_load_dwordx4 v[10:13], v[34:35], off
	v_add_u32_e32 v26, v4, v28
	v_ashrrev_i32_e32 v27, 31, v26
	v_add_u32_e32 v4, s4, v26
	v_lshl_add_u64 v[38:39], v[4:5], 4, s[8:9]
	v_add_u32_e32 v4, s5, v26
	s_waitcnt vmcnt(0)
	v_fma_f64 v[10:11], -v[0:1], v[22:23], v[10:11]
	v_fma_f64 v[12:13], -v[2:3], v[22:23], v[12:13]
	v_fmac_f64_e32 v[10:11], v[2:3], v[24:25]
	v_fma_f64 v[12:13], -v[0:1], v[24:25], v[12:13]
	global_store_dwordx4 v[34:35], v[10:13], off
	global_load_dwordx4 v[10:13], v[6:7], off
	v_lshl_add_u64 v[34:35], v[26:27], 4, s[10:11]
	global_load_dwordx4 v[34:37], v[34:35], off
	s_waitcnt vmcnt(1)
	v_fma_f64 v[10:11], -v[0:1], v[30:31], v[10:11]
	v_fma_f64 v[12:13], -v[2:3], v[30:31], v[12:13]
	v_fmac_f64_e32 v[10:11], v[2:3], v[32:33]
	v_fma_f64 v[12:13], -v[0:1], v[32:33], v[12:13]
	global_store_dwordx4 v[6:7], v[10:13], off
	global_load_dwordx4 v[0:3], v[38:39], off
	v_lshl_add_u64 v[6:7], v[4:5], 4, s[8:9]
	v_add_u32_e32 v4, s12, v26
	v_lshl_add_u64 v[10:11], v[4:5], 4, s[8:9]
	v_add_u32_e32 v4, s13, v26
	s_waitcnt vmcnt(0)
	v_fma_f64 v[0:1], -v[34:35], v[14:15], v[0:1]
	v_fma_f64 v[2:3], -v[36:37], v[14:15], v[2:3]
	v_fmac_f64_e32 v[0:1], v[36:37], v[16:17]
	v_fma_f64 v[2:3], -v[34:35], v[16:17], v[2:3]
	global_store_dwordx4 v[38:39], v[0:3], off
	global_load_dwordx4 v[0:3], v[6:7], off
	s_waitcnt vmcnt(0)
	v_fma_f64 v[0:1], -v[34:35], v[18:19], v[0:1]
	v_fma_f64 v[2:3], -v[36:37], v[18:19], v[2:3]
	v_fmac_f64_e32 v[0:1], v[36:37], v[20:21]
	v_fma_f64 v[2:3], -v[34:35], v[20:21], v[2:3]
	global_store_dwordx4 v[6:7], v[0:3], off
	global_load_dwordx4 v[0:3], v[10:11], off
	v_lshl_add_u64 v[6:7], v[4:5], 4, s[8:9]
	s_waitcnt vmcnt(0)
	v_fma_f64 v[0:1], -v[34:35], v[22:23], v[0:1]
	v_fma_f64 v[2:3], -v[36:37], v[22:23], v[2:3]
	v_fmac_f64_e32 v[0:1], v[36:37], v[24:25]
	v_fma_f64 v[2:3], -v[34:35], v[24:25], v[2:3]
	global_store_dwordx4 v[10:11], v[0:3], off
	global_load_dwordx4 v[0:3], v[6:7], off
	s_waitcnt vmcnt(0)
	v_fma_f64 v[0:1], -v[34:35], v[30:31], v[0:1]
	v_fma_f64 v[2:3], -v[36:37], v[30:31], v[2:3]
	v_fmac_f64_e32 v[0:1], v[36:37], v[32:33]
	v_fma_f64 v[2:3], -v[34:35], v[32:33], v[2:3]
	global_store_dwordx4 v[6:7], v[0:3], off
                                        ; implicit-def: $vgpr6
                                        ; implicit-def: $vgpr0_vgpr1
.LBB339_27:                             ;   in Loop: Header=BB339_25 Depth=1
	s_or_saveexec_b64 s[2:3], s[2:3]
	v_mov_b32_e32 v4, s14
	s_xor_b64 exec, exec, s[2:3]
	s_cbranch_execz .LBB339_24
; %bb.28:                               ;   in Loop: Header=BB339_25 Depth=1
	v_add_u32_e32 v7, v64, v8
	v_add_u32_e32 v4, s4, v7
	v_lshl_add_u64 v[18:19], v[4:5], 4, s[8:9]
	v_add_u32_e32 v4, s4, v6
	v_lshl_add_u64 v[20:21], v[4:5], 4, s[8:9]
	global_load_dwordx4 v[10:13], v[18:19], off
	global_load_dwordx4 v[14:17], v[20:21], off
	v_add_u32_e32 v4, s5, v7
	v_lshl_add_u64 v[18:19], v[4:5], 4, s[8:9]
	v_add_u32_e32 v4, s5, v6
	v_lshl_add_u64 v[22:23], v[4:5], 4, s[8:9]
	v_add_u32_e32 v4, s12, v7
	s_waitcnt vmcnt(0)
	v_fma_f64 v[14:15], -v[0:1], v[10:11], v[14:15]
	v_fma_f64 v[10:11], -v[2:3], v[10:11], v[16:17]
	v_fmac_f64_e32 v[14:15], v[2:3], v[12:13]
	v_fma_f64 v[16:17], -v[0:1], v[12:13], v[10:11]
	global_store_dwordx4 v[20:21], v[14:17], off
	global_load_dwordx4 v[10:13], v[18:19], off
	s_nop 0
	global_load_dwordx4 v[14:17], v[22:23], off
	v_lshl_add_u64 v[18:19], v[4:5], 4, s[8:9]
	v_add_u32_e32 v4, s12, v6
	v_lshl_add_u64 v[20:21], v[4:5], 4, s[8:9]
	v_add_u32_e32 v4, s13, v7
	s_waitcnt vmcnt(0)
	v_fma_f64 v[14:15], -v[0:1], v[10:11], v[14:15]
	v_fma_f64 v[10:11], -v[2:3], v[10:11], v[16:17]
	v_fmac_f64_e32 v[14:15], v[2:3], v[12:13]
	v_fma_f64 v[16:17], -v[0:1], v[12:13], v[10:11]
	global_store_dwordx4 v[22:23], v[14:17], off
	global_load_dwordx4 v[10:13], v[18:19], off
	s_nop 0
	global_load_dwordx4 v[14:17], v[20:21], off
	v_lshl_add_u64 v[18:19], v[4:5], 4, s[8:9]
	v_add_u32_e32 v4, s13, v6
	v_lshl_add_u64 v[6:7], v[4:5], 4, s[8:9]
	v_mov_b32_e32 v4, s22
	s_waitcnt vmcnt(0)
	v_fma_f64 v[14:15], -v[0:1], v[10:11], v[14:15]
	v_fma_f64 v[10:11], -v[2:3], v[10:11], v[16:17]
	v_fmac_f64_e32 v[14:15], v[2:3], v[12:13]
	v_fma_f64 v[16:17], -v[0:1], v[12:13], v[10:11]
	global_store_dwordx4 v[20:21], v[14:17], off
	global_load_dwordx4 v[10:13], v[18:19], off
	s_nop 0
	global_load_dwordx4 v[14:17], v[6:7], off
	s_waitcnt vmcnt(0)
	v_fma_f64 v[14:15], -v[0:1], v[10:11], v[14:15]
	v_fma_f64 v[10:11], -v[2:3], v[10:11], v[16:17]
	v_fmac_f64_e32 v[14:15], v[2:3], v[12:13]
	v_fma_f64 v[16:17], -v[0:1], v[12:13], v[10:11]
	global_store_dwordx4 v[6:7], v[14:17], off
	s_branch .LBB339_24
.LBB339_29:
	s_endpgm
	.section	.rodata,"a",@progbits
	.p2align	6, 0x0
	.amdhsa_kernel _ZN9rocsparseL19gtsv_LBM_rhs_kernelILj256ELj128ELj4E21rocsparse_complex_numIdEEEviiiPKT2_S5_S5_PS3_S5_PKi
		.amdhsa_group_segment_fixed_size 0
		.amdhsa_private_segment_fixed_size 0
		.amdhsa_kernarg_size 64
		.amdhsa_user_sgpr_count 2
		.amdhsa_user_sgpr_dispatch_ptr 0
		.amdhsa_user_sgpr_queue_ptr 0
		.amdhsa_user_sgpr_kernarg_segment_ptr 1
		.amdhsa_user_sgpr_dispatch_id 0
		.amdhsa_user_sgpr_kernarg_preload_length 0
		.amdhsa_user_sgpr_kernarg_preload_offset 0
		.amdhsa_user_sgpr_private_segment_size 0
		.amdhsa_uses_dynamic_stack 0
		.amdhsa_enable_private_segment 0
		.amdhsa_system_sgpr_workgroup_id_x 1
		.amdhsa_system_sgpr_workgroup_id_y 1
		.amdhsa_system_sgpr_workgroup_id_z 0
		.amdhsa_system_sgpr_workgroup_info 0
		.amdhsa_system_vgpr_workitem_id 0
		.amdhsa_next_free_vgpr 98
		.amdhsa_next_free_sgpr 32
		.amdhsa_accum_offset 100
		.amdhsa_reserve_vcc 1
		.amdhsa_float_round_mode_32 0
		.amdhsa_float_round_mode_16_64 0
		.amdhsa_float_denorm_mode_32 3
		.amdhsa_float_denorm_mode_16_64 3
		.amdhsa_dx10_clamp 1
		.amdhsa_ieee_mode 1
		.amdhsa_fp16_overflow 0
		.amdhsa_tg_split 0
		.amdhsa_exception_fp_ieee_invalid_op 0
		.amdhsa_exception_fp_denorm_src 0
		.amdhsa_exception_fp_ieee_div_zero 0
		.amdhsa_exception_fp_ieee_overflow 0
		.amdhsa_exception_fp_ieee_underflow 0
		.amdhsa_exception_fp_ieee_inexact 0
		.amdhsa_exception_int_div_zero 0
	.end_amdhsa_kernel
	.section	.text._ZN9rocsparseL19gtsv_LBM_rhs_kernelILj256ELj128ELj4E21rocsparse_complex_numIdEEEviiiPKT2_S5_S5_PS3_S5_PKi,"axG",@progbits,_ZN9rocsparseL19gtsv_LBM_rhs_kernelILj256ELj128ELj4E21rocsparse_complex_numIdEEEviiiPKT2_S5_S5_PS3_S5_PKi,comdat
.Lfunc_end339:
	.size	_ZN9rocsparseL19gtsv_LBM_rhs_kernelILj256ELj128ELj4E21rocsparse_complex_numIdEEEviiiPKT2_S5_S5_PS3_S5_PKi, .Lfunc_end339-_ZN9rocsparseL19gtsv_LBM_rhs_kernelILj256ELj128ELj4E21rocsparse_complex_numIdEEEviiiPKT2_S5_S5_PS3_S5_PKi
                                        ; -- End function
	.set _ZN9rocsparseL19gtsv_LBM_rhs_kernelILj256ELj128ELj4E21rocsparse_complex_numIdEEEviiiPKT2_S5_S5_PS3_S5_PKi.num_vgpr, 98
	.set _ZN9rocsparseL19gtsv_LBM_rhs_kernelILj256ELj128ELj4E21rocsparse_complex_numIdEEEviiiPKT2_S5_S5_PS3_S5_PKi.num_agpr, 0
	.set _ZN9rocsparseL19gtsv_LBM_rhs_kernelILj256ELj128ELj4E21rocsparse_complex_numIdEEEviiiPKT2_S5_S5_PS3_S5_PKi.numbered_sgpr, 32
	.set _ZN9rocsparseL19gtsv_LBM_rhs_kernelILj256ELj128ELj4E21rocsparse_complex_numIdEEEviiiPKT2_S5_S5_PS3_S5_PKi.num_named_barrier, 0
	.set _ZN9rocsparseL19gtsv_LBM_rhs_kernelILj256ELj128ELj4E21rocsparse_complex_numIdEEEviiiPKT2_S5_S5_PS3_S5_PKi.private_seg_size, 0
	.set _ZN9rocsparseL19gtsv_LBM_rhs_kernelILj256ELj128ELj4E21rocsparse_complex_numIdEEEviiiPKT2_S5_S5_PS3_S5_PKi.uses_vcc, 1
	.set _ZN9rocsparseL19gtsv_LBM_rhs_kernelILj256ELj128ELj4E21rocsparse_complex_numIdEEEviiiPKT2_S5_S5_PS3_S5_PKi.uses_flat_scratch, 0
	.set _ZN9rocsparseL19gtsv_LBM_rhs_kernelILj256ELj128ELj4E21rocsparse_complex_numIdEEEviiiPKT2_S5_S5_PS3_S5_PKi.has_dyn_sized_stack, 0
	.set _ZN9rocsparseL19gtsv_LBM_rhs_kernelILj256ELj128ELj4E21rocsparse_complex_numIdEEEviiiPKT2_S5_S5_PS3_S5_PKi.has_recursion, 0
	.set _ZN9rocsparseL19gtsv_LBM_rhs_kernelILj256ELj128ELj4E21rocsparse_complex_numIdEEEviiiPKT2_S5_S5_PS3_S5_PKi.has_indirect_call, 0
	.section	.AMDGPU.csdata,"",@progbits
; Kernel info:
; codeLenInByte = 4176
; TotalNumSgprs: 38
; NumVgprs: 98
; NumAgprs: 0
; TotalNumVgprs: 98
; ScratchSize: 0
; MemoryBound: 1
; FloatMode: 240
; IeeeMode: 1
; LDSByteSize: 0 bytes/workgroup (compile time only)
; SGPRBlocks: 4
; VGPRBlocks: 12
; NumSGPRsForWavesPerEU: 38
; NumVGPRsForWavesPerEU: 98
; AccumOffset: 100
; Occupancy: 4
; WaveLimiterHint : 0
; COMPUTE_PGM_RSRC2:SCRATCH_EN: 0
; COMPUTE_PGM_RSRC2:USER_SGPR: 2
; COMPUTE_PGM_RSRC2:TRAP_HANDLER: 0
; COMPUTE_PGM_RSRC2:TGID_X_EN: 1
; COMPUTE_PGM_RSRC2:TGID_Y_EN: 1
; COMPUTE_PGM_RSRC2:TGID_Z_EN: 0
; COMPUTE_PGM_RSRC2:TIDIG_COMP_CNT: 0
; COMPUTE_PGM_RSRC3_GFX90A:ACCUM_OFFSET: 24
; COMPUTE_PGM_RSRC3_GFX90A:TG_SPLIT: 0
	.section	.text._ZN9rocsparseL19gtsv_LBM_rhs_kernelILj256ELj128ELj2E21rocsparse_complex_numIdEEEviiiPKT2_S5_S5_PS3_S5_PKi,"axG",@progbits,_ZN9rocsparseL19gtsv_LBM_rhs_kernelILj256ELj128ELj2E21rocsparse_complex_numIdEEEviiiPKT2_S5_S5_PS3_S5_PKi,comdat
	.globl	_ZN9rocsparseL19gtsv_LBM_rhs_kernelILj256ELj128ELj2E21rocsparse_complex_numIdEEEviiiPKT2_S5_S5_PS3_S5_PKi ; -- Begin function _ZN9rocsparseL19gtsv_LBM_rhs_kernelILj256ELj128ELj2E21rocsparse_complex_numIdEEEviiiPKT2_S5_S5_PS3_S5_PKi
	.p2align	8
	.type	_ZN9rocsparseL19gtsv_LBM_rhs_kernelILj256ELj128ELj2E21rocsparse_complex_numIdEEEviiiPKT2_S5_S5_PS3_S5_PKi,@function
_ZN9rocsparseL19gtsv_LBM_rhs_kernelILj256ELj128ELj2E21rocsparse_complex_numIdEEEviiiPKT2_S5_S5_PS3_S5_PKi: ; @_ZN9rocsparseL19gtsv_LBM_rhs_kernelILj256ELj128ELj2E21rocsparse_complex_numIdEEEviiiPKT2_S5_S5_PS3_S5_PKi
; %bb.0:
	s_load_dword s23, s[0:1], 0x0
	v_lshl_or_b32 v24, s2, 8, v0
	s_waitcnt lgkmcnt(0)
	s_lshr_b32 s22, s23, 7
	v_cmp_gt_i32_e32 vcc, s22, v24
	s_and_saveexec_b64 s[4:5], vcc
	s_cbranch_execz .LBB340_29
; %bb.1:
	s_load_dwordx4 s[8:11], s[0:1], 0x28
	s_load_dwordx2 s[6:7], s[0:1], 0x38
	s_cmp_lt_i32 s23, 1
	v_add_u32_e32 v58, s22, v24
	s_mul_i32 s24, s3, s23
	s_cbranch_scc1 .LBB340_21
; %bb.2:
	s_load_dwordx4 s[12:15], s[0:1], 0x10
	s_load_dwordx2 s[16:17], s[0:1], 0x20
	v_ashrrev_i32_e32 v25, 31, v24
	s_lshl_b32 s28, s24, 1
	s_mul_i32 s25, s22, 0x7f
	s_waitcnt lgkmcnt(0)
	v_lshl_add_u64 v[0:1], v[24:25], 4, s[14:15]
	global_load_dwordx4 v[4:7], v[0:1], off
	s_mul_i32 s26, s22, 0x7e
	s_lshl_b32 s27, s22, 1
	v_add_u32_e32 v59, s22, v58
	s_add_i32 s29, s28, s23
	v_mov_b32_e32 v27, 0
	s_mov_b64 s[18:19], 0
	v_mov_b32_e32 v25, 0
	s_branch .LBB340_5
.LBB340_3:                              ;   in Loop: Header=BB340_5 Depth=1
	s_or_b64 exec, exec, s[4:5]
	v_fmac_f64_e32 v[30:31], v[0:1], v[8:9]
	v_fmac_f64_e32 v[28:29], v[2:3], v[8:9]
	v_mul_f64 v[0:1], v[20:21], -v[28:29]
	v_mul_f64 v[2:3], v[20:21], v[30:31]
	v_fmac_f64_e32 v[0:1], v[30:31], v[10:11]
	v_fmac_f64_e32 v[2:3], v[28:29], v[10:11]
	v_add_f64 v[4:5], v[12:13], -v[0:1]
	v_add_f64 v[6:7], v[14:15], -v[2:3]
	v_mov_b32_e32 v10, s22
.LBB340_4:                              ;   in Loop: Header=BB340_5 Depth=1
	s_or_b64 exec, exec, s[2:3]
	v_add_u32_e32 v25, v10, v25
	v_cmp_le_i32_e32 vcc, s23, v25
	s_or_b64 s[18:19], vcc, s[18:19]
	s_andn2_b64 exec, exec, s[18:19]
	s_cbranch_execz .LBB340_20
.LBB340_5:                              ; =>This Inner Loop Header: Depth=1
	v_add_u32_e32 v32, v25, v24
	v_ashrrev_i32_e32 v33, 31, v32
	v_lshl_add_u64 v[0:1], v[32:33], 4, s[16:17]
	global_load_dwordx4 v[8:11], v[0:1], off
	v_cmp_gt_u32_e64 s[0:1], s25, v25
	v_mov_b64_e32 v[12:13], 0
	v_mov_b64_e32 v[0:1], 0
	;; [unrolled: 1-line block ×3, first 2 shown]
	s_and_saveexec_b64 s[2:3], s[0:1]
	s_cbranch_execz .LBB340_7
; %bb.6:                                ;   in Loop: Header=BB340_5 Depth=1
	v_add_u32_e32 v0, v58, v25
	v_ashrrev_i32_e32 v1, 31, v0
	v_lshl_add_u64 v[0:1], v[0:1], 4, s[12:13]
	global_load_dwordx4 v[0:3], v[0:1], off
.LBB340_7:                              ;   in Loop: Header=BB340_5 Depth=1
	s_or_b64 exec, exec, s[2:3]
	v_mov_b64_e32 v[14:15], 0
	s_and_saveexec_b64 s[2:3], s[0:1]
	s_cbranch_execz .LBB340_9
; %bb.8:                                ;   in Loop: Header=BB340_5 Depth=1
	v_add_u32_e32 v12, v58, v25
	v_ashrrev_i32_e32 v13, 31, v12
	v_lshl_add_u64 v[12:13], v[12:13], 4, s[14:15]
	global_load_dwordx4 v[12:15], v[12:13], off
.LBB340_9:                              ;   in Loop: Header=BB340_5 Depth=1
	s_or_b64 exec, exec, s[2:3]
	v_mov_b64_e32 v[20:21], 0
	v_mov_b64_e32 v[16:17], 0
	v_mov_b64_e32 v[18:19], 0
	s_and_saveexec_b64 s[2:3], s[0:1]
	s_cbranch_execz .LBB340_11
; %bb.10:                               ;   in Loop: Header=BB340_5 Depth=1
	v_add_u32_e32 v16, v58, v25
	v_ashrrev_i32_e32 v17, 31, v16
	v_lshl_add_u64 v[16:17], v[16:17], 4, s[16:17]
	global_load_dwordx4 v[16:19], v[16:17], off
.LBB340_11:                             ;   in Loop: Header=BB340_5 Depth=1
	s_or_b64 exec, exec, s[2:3]
	v_cmp_gt_u32_e64 s[2:3], s26, v25
	v_mov_b64_e32 v[22:23], 0
	s_and_saveexec_b64 s[4:5], s[2:3]
	s_cbranch_execz .LBB340_13
; %bb.12:                               ;   in Loop: Header=BB340_5 Depth=1
	v_add_u32_e32 v20, v59, v25
	v_ashrrev_i32_e32 v21, 31, v20
	v_lshl_add_u64 v[20:21], v[20:21], 4, s[12:13]
	global_load_dwordx4 v[20:23], v[20:21], off
.LBB340_13:                             ;   in Loop: Header=BB340_5 Depth=1
	s_or_b64 exec, exec, s[4:5]
	v_lshl_add_u64 v[28:29], v[32:33], 2, s[6:7]
	global_load_dword v33, v[28:29], off
	v_cmp_ne_u32_e32 vcc, s25, v25
	s_waitcnt vmcnt(1)
	v_mul_f64 v[30:31], v[10:11], -v[2:3]
	v_mul_f64 v[28:29], v[10:11], v[0:1]
	v_add_u32_e32 v26, s28, v32
	v_add_u32_e32 v32, s29, v32
	s_waitcnt vmcnt(0)
	v_cmp_ne_u32_e64 s[4:5], 1, v33
	s_and_b64 s[4:5], vcc, s[4:5]
	s_and_saveexec_b64 s[20:21], s[4:5]
	s_xor_b64 s[4:5], exec, s[20:21]
	s_cbranch_execz .LBB340_17
; %bb.14:                               ;   in Loop: Header=BB340_5 Depth=1
	v_mov_b32_e32 v33, v27
	v_lshl_add_u64 v[38:39], v[26:27], 4, s[8:9]
	v_lshl_add_u64 v[34:35], v[32:33], 4, s[8:9]
	v_add_u32_e32 v32, v58, v25
	global_load_dwordx4 v[42:45], v[38:39], off
	v_add_u32_e32 v26, s28, v32
	global_load_dwordx4 v[52:55], v[34:35], off
	v_lshl_add_u64 v[36:37], v[26:27], 4, s[8:9]
	global_load_dwordx4 v[60:63], v[36:37], off
	v_add_u32_e32 v26, s29, v32
	v_lshl_add_u64 v[32:33], v[26:27], 4, s[8:9]
	global_load_dwordx4 v[64:67], v[32:33], off
	v_mul_f64 v[46:47], v[4:5], v[14:15]
	v_mul_f64 v[40:41], v[14:15], -v[6:7]
	v_fmac_f64_e32 v[28:29], v[2:3], v[8:9]
	v_fmac_f64_e32 v[46:47], v[6:7], v[12:13]
	;; [unrolled: 1-line block ×4, first 2 shown]
	v_add_f64 v[28:29], v[46:47], -v[28:29]
	v_add_f64 v[30:31], v[40:41], -v[30:31]
	v_mul_f64 v[40:41], v[28:29], v[28:29]
	v_fmac_f64_e32 v[40:41], v[30:31], v[30:31]
	v_div_scale_f64 v[48:49], s[20:21], v[40:41], v[40:41], 1.0
	v_rcp_f64_e32 v[50:51], v[48:49]
	v_fma_f64 v[46:47], 0, v[28:29], v[30:31]
	v_fma_f64 v[30:31], v[30:31], 0, -v[28:29]
	v_div_scale_f64 v[28:29], vcc, 1.0, v[40:41], 1.0
	v_fma_f64 v[68:69], -v[48:49], v[50:51], 1.0
	v_fmac_f64_e32 v[50:51], v[50:51], v[68:69]
	v_fma_f64 v[68:69], -v[48:49], v[50:51], 1.0
	v_fmac_f64_e32 v[50:51], v[50:51], v[68:69]
	v_mul_f64 v[68:69], v[28:29], v[50:51]
	v_fma_f64 v[28:29], -v[48:49], v[68:69], v[28:29]
	v_div_fmas_f64 v[28:29], v[28:29], v[50:51], v[68:69]
	v_div_fixup_f64 v[40:41], v[28:29], v[40:41], 1.0
	v_mul_f64 v[30:31], v[30:31], v[40:41]
	v_mul_f64 v[28:29], v[46:47], v[40:41]
	v_mov_b64_e32 v[56:57], 0
	s_waitcnt vmcnt(3)
	v_mul_f64 v[40:41], v[30:31], -v[44:45]
	v_mul_f64 v[48:49], v[30:31], v[42:43]
	v_fmac_f64_e32 v[40:41], v[42:43], v[28:29]
	s_waitcnt vmcnt(2)
	v_mul_f64 v[42:43], v[30:31], -v[54:55]
	v_mul_f64 v[50:51], v[30:31], v[52:53]
	v_fmac_f64_e32 v[48:49], v[44:45], v[28:29]
	v_fmac_f64_e32 v[42:43], v[52:53], v[28:29]
	;; [unrolled: 1-line block ×3, first 2 shown]
	s_waitcnt vmcnt(1)
	v_mul_f64 v[44:45], v[30:31], -v[62:63]
	v_mul_f64 v[52:53], v[30:31], v[60:61]
	v_mul_f64 v[68:69], v[48:49], -v[14:15]
	v_fmac_f64_e32 v[44:45], v[60:61], v[28:29]
	v_fmac_f64_e32 v[52:53], v[62:63], v[28:29]
	v_mul_f64 v[60:61], v[50:51], -v[14:15]
	v_mul_f64 v[70:71], v[12:13], v[48:49]
	s_waitcnt vmcnt(0)
	v_mul_f64 v[54:55], v[30:31], v[64:65]
	v_fmac_f64_e32 v[68:69], v[12:13], v[40:41]
	v_mul_f64 v[62:63], v[12:13], v[50:51]
	v_fmac_f64_e32 v[60:61], v[12:13], v[42:43]
	v_mul_f64 v[12:13], v[52:53], -v[10:11]
	v_mul_f64 v[46:47], v[30:31], -v[66:67]
	v_fmac_f64_e32 v[70:71], v[14:15], v[40:41]
	v_fmac_f64_e32 v[54:55], v[66:67], v[28:29]
	;; [unrolled: 1-line block ×3, first 2 shown]
	v_mul_f64 v[14:15], v[8:9], v[52:53]
	v_fmac_f64_e32 v[12:13], v[8:9], v[44:45]
	v_mul_f64 v[72:73], v[2:3], v[48:49]
	v_mul_f64 v[74:75], v[48:49], -v[0:1]
	v_fmac_f64_e32 v[46:47], v[64:65], v[28:29]
	v_mul_f64 v[64:65], v[52:53], -v[6:7]
	v_mul_f64 v[66:67], v[4:5], v[52:53]
	v_fmac_f64_e32 v[14:15], v[10:11], v[44:45]
	v_mul_f64 v[76:77], v[54:55], -v[10:11]
	v_add_f64 v[12:13], v[68:69], -v[12:13]
	v_mul_f64 v[68:69], v[8:9], v[54:55]
	v_fma_f64 v[72:73], -v[0:1], v[40:41], v[72:73]
	v_fma_f64 v[74:75], -v[2:3], v[40:41], v[74:75]
	v_add_f64 v[14:15], v[70:71], -v[14:15]
	v_fmac_f64_e32 v[64:65], v[4:5], v[44:45]
	v_fmac_f64_e32 v[66:67], v[6:7], v[44:45]
	;; [unrolled: 1-line block ×4, first 2 shown]
	v_add_f64 v[8:9], v[72:73], v[64:65]
	v_add_f64 v[10:11], v[74:75], v[66:67]
	global_store_dwordx4 v[38:39], v[12:15], off
	s_nop 1
	v_add_f64 v[12:13], v[60:61], -v[76:77]
	v_add_f64 v[14:15], v[62:63], -v[68:69]
	global_store_dwordx4 v[34:35], v[12:15], off
	global_store_dwordx4 v[36:37], v[8:11], off
	s_nop 0
	v_mul_f64 v[12:13], v[54:55], -v[6:7]
	v_mul_f64 v[8:9], v[2:3], v[50:51]
	v_mul_f64 v[10:11], v[50:51], -v[0:1]
	v_mul_f64 v[14:15], v[4:5], v[54:55]
	v_fma_f64 v[8:9], -v[0:1], v[42:43], v[8:9]
	v_fma_f64 v[10:11], -v[2:3], v[42:43], v[10:11]
	v_fmac_f64_e32 v[12:13], v[4:5], v[46:47]
	v_fmac_f64_e32 v[14:15], v[6:7], v[46:47]
	v_add_f64 v[8:9], v[8:9], v[12:13]
	v_add_f64 v[10:11], v[10:11], v[14:15]
	global_store_dwordx4 v[32:33], v[8:11], off
	s_nop 1
	v_mov_b64_e32 v[8:9], 0
	s_and_saveexec_b64 s[20:21], s[2:3]
	s_cbranch_execz .LBB340_16
; %bb.15:                               ;   in Loop: Header=BB340_5 Depth=1
	v_add_u32_e32 v12, v59, v25
	v_add_u32_e32 v26, s28, v12
	v_lshl_add_u64 v[36:37], v[26:27], 4, s[8:9]
	v_add_u32_e32 v26, s29, v12
	v_ashrrev_i32_e32 v13, 31, v12
	global_load_dwordx4 v[8:11], v[36:37], off
	v_lshl_add_u64 v[12:13], v[12:13], 4, s[14:15]
	v_lshl_add_u64 v[38:39], v[26:27], 4, s[8:9]
	global_load_dwordx4 v[12:15], v[12:13], off
	v_mul_f64 v[56:57], v[2:3], v[22:23]
	global_load_dwordx4 v[32:35], v[38:39], off
	v_mul_f64 v[60:61], v[22:23], -v[0:1]
	v_mul_f64 v[62:63], v[22:23], -v[6:7]
	v_mul_f64 v[64:65], v[4:5], v[22:23]
	v_mul_f64 v[66:67], v[6:7], -v[22:23]
	v_mul_f64 v[68:69], v[6:7], v[20:21]
	v_fma_f64 v[0:1], -v[0:1], v[20:21], v[56:57]
	v_fma_f64 v[2:3], -v[2:3], v[20:21], v[60:61]
	v_fmac_f64_e32 v[62:63], v[4:5], v[20:21]
	v_fmac_f64_e32 v[64:65], v[6:7], v[20:21]
	;; [unrolled: 1-line block ×4, first 2 shown]
	v_mul_f64 v[4:5], v[2:3], v[48:49]
	v_mul_f64 v[6:7], v[48:49], -v[0:1]
	v_mul_f64 v[20:21], v[52:53], -v[64:65]
	v_mul_f64 v[22:23], v[62:63], v[52:53]
	v_mul_f64 v[56:57], v[18:19], -v[68:69]
	v_mul_f64 v[18:19], v[18:19], v[66:67]
	v_mul_f64 v[48:49], v[2:3], v[50:51]
	v_mul_f64 v[50:51], v[50:51], -v[0:1]
	v_mul_f64 v[52:53], v[54:55], -v[64:65]
	v_mul_f64 v[54:55], v[62:63], v[54:55]
	v_fma_f64 v[4:5], -v[0:1], v[40:41], v[4:5]
	v_fma_f64 v[6:7], -v[2:3], v[40:41], v[6:7]
	v_fmac_f64_e32 v[20:21], v[62:63], v[44:45]
	v_fmac_f64_e32 v[22:23], v[64:65], v[44:45]
	;; [unrolled: 1-line block ×4, first 2 shown]
	v_fma_f64 v[0:1], -v[0:1], v[42:43], v[48:49]
	v_fma_f64 v[2:3], -v[2:3], v[42:43], v[50:51]
	v_fmac_f64_e32 v[52:53], v[62:63], v[46:47]
	v_fmac_f64_e32 v[54:55], v[64:65], v[46:47]
	v_add_f64 v[4:5], v[4:5], -v[20:21]
	v_add_f64 v[6:7], v[6:7], -v[22:23]
	v_mul_f64 v[22:23], v[30:31], -v[18:19]
	v_mul_f64 v[30:31], v[30:31], v[56:57]
	v_add_f64 v[16:17], v[0:1], -v[52:53]
	v_add_f64 v[20:21], v[2:3], -v[54:55]
	v_fmac_f64_e32 v[22:23], v[56:57], v[28:29]
	v_fmac_f64_e32 v[30:31], v[18:19], v[28:29]
	s_waitcnt vmcnt(2)
	v_add_f64 v[0:1], v[4:5], v[8:9]
	v_add_f64 v[2:3], v[6:7], v[10:11]
	global_store_dwordx4 v[36:37], v[0:3], off
	s_waitcnt vmcnt(2)
	v_add_f64 v[8:9], v[12:13], -v[22:23]
	v_add_f64 v[56:57], v[14:15], -v[30:31]
	s_waitcnt vmcnt(1)
	v_add_f64 v[0:1], v[16:17], v[32:33]
	v_add_f64 v[2:3], v[20:21], v[34:35]
	global_store_dwordx4 v[38:39], v[0:3], off
.LBB340_16:                             ;   in Loop: Header=BB340_5 Depth=1
	s_or_b64 exec, exec, s[20:21]
	v_mov_b64_e32 v[6:7], v[56:57]
	v_mov_b64_e32 v[4:5], v[8:9]
                                        ; implicit-def: $vgpr0_vgpr1
                                        ; implicit-def: $vgpr12_vgpr13
                                        ; implicit-def: $vgpr8_vgpr9
                                        ; implicit-def: $vgpr30_vgpr31
                                        ; implicit-def: $vgpr28_vgpr29
                                        ; implicit-def: $vgpr32
.LBB340_17:                             ;   in Loop: Header=BB340_5 Depth=1
	s_or_saveexec_b64 s[2:3], s[4:5]
	v_mov_b32_e32 v10, s27
	s_xor_b64 exec, exec, s[2:3]
	s_cbranch_execz .LBB340_4
; %bb.18:                               ;   in Loop: Header=BB340_5 Depth=1
	v_mov_b32_e32 v33, v27
	v_lshl_add_u64 v[22:23], v[26:27], 4, s[8:9]
	v_lshl_add_u64 v[32:33], v[32:33], 4, s[8:9]
	global_load_dwordx4 v[34:37], v[22:23], off
	global_load_dwordx4 v[38:41], v[32:33], off
	v_mul_f64 v[10:11], v[6:7], v[6:7]
	v_fmac_f64_e32 v[10:11], v[4:5], v[4:5]
	v_div_scale_f64 v[18:19], s[4:5], v[10:11], v[10:11], 1.0
	v_rcp_f64_e32 v[20:21], v[18:19]
	v_fma_f64 v[16:17], 0, v[6:7], v[4:5]
	v_fma_f64 v[4:5], v[4:5], 0, -v[6:7]
	v_div_scale_f64 v[6:7], vcc, 1.0, v[10:11], 1.0
	v_fma_f64 v[42:43], -v[18:19], v[20:21], 1.0
	v_fmac_f64_e32 v[20:21], v[20:21], v[42:43]
	v_fma_f64 v[42:43], -v[18:19], v[20:21], 1.0
	v_fmac_f64_e32 v[20:21], v[20:21], v[42:43]
	v_mul_f64 v[42:43], v[6:7], v[20:21]
	v_fma_f64 v[6:7], -v[18:19], v[42:43], v[6:7]
	v_div_fmas_f64 v[6:7], v[6:7], v[20:21], v[42:43]
	v_div_fixup_f64 v[6:7], v[6:7], v[10:11], 1.0
	v_mul_f64 v[20:21], v[4:5], v[6:7]
	v_mul_f64 v[10:11], v[16:17], v[6:7]
	s_waitcnt vmcnt(1)
	v_mul_f64 v[16:17], v[20:21], -v[36:37]
	v_mul_f64 v[18:19], v[20:21], v[34:35]
	s_waitcnt vmcnt(0)
	v_mul_f64 v[4:5], v[20:21], -v[40:41]
	v_mul_f64 v[6:7], v[20:21], v[38:39]
	v_fmac_f64_e32 v[16:17], v[34:35], v[10:11]
	v_fmac_f64_e32 v[18:19], v[36:37], v[10:11]
	;; [unrolled: 1-line block ×4, first 2 shown]
	global_store_dwordx4 v[22:23], v[16:19], off
	global_store_dwordx4 v[32:33], v[4:7], off
	s_and_saveexec_b64 s[4:5], s[0:1]
	s_cbranch_execz .LBB340_3
; %bb.19:                               ;   in Loop: Header=BB340_5 Depth=1
	v_add_u32_e32 v36, v58, v25
	v_add_u32_e32 v26, s28, v36
	v_lshl_add_u64 v[22:23], v[26:27], 4, s[8:9]
	v_add_u32_e32 v26, s29, v36
	global_load_dwordx4 v[32:35], v[22:23], off
	v_lshl_add_u64 v[40:41], v[26:27], 4, s[8:9]
	global_load_dwordx4 v[36:39], v[40:41], off
	s_waitcnt vmcnt(1)
	v_fma_f64 v[32:33], -v[0:1], v[16:17], v[32:33]
	v_fma_f64 v[16:17], -v[2:3], v[16:17], v[34:35]
	;; [unrolled: 1-line block ×3, first 2 shown]
	s_waitcnt vmcnt(0)
	v_fma_f64 v[16:17], -v[0:1], v[4:5], v[36:37]
	v_fma_f64 v[4:5], -v[2:3], v[4:5], v[38:39]
	v_fmac_f64_e32 v[32:33], v[2:3], v[18:19]
	v_fmac_f64_e32 v[16:17], v[2:3], v[6:7]
	v_fma_f64 v[18:19], -v[0:1], v[6:7], v[4:5]
	global_store_dwordx4 v[22:23], v[32:35], off
	global_store_dwordx4 v[40:41], v[16:19], off
	s_branch .LBB340_3
.LBB340_20:
	s_or_b64 exec, exec, s[18:19]
	s_branch .LBB340_22
.LBB340_21:
	v_mov_b32_e32 v25, 0
.LBB340_22:
	v_subrev_u32_e32 v2, s22, v25
	v_add_u32_e32 v0, v2, v24
	v_ashrrev_i32_e32 v1, 31, v0
	s_waitcnt lgkmcnt(0)
	v_lshl_add_u64 v[0:1], v[0:1], 2, s[6:7]
	buffer_wbl2 sc1
	s_waitcnt vmcnt(0)
	buffer_inv sc1
	global_load_dword v0, v[0:1], off
	s_waitcnt vmcnt(0)
	v_mul_lo_u32 v0, v0, s22
	v_sub_u32_e32 v8, v2, v0
	v_cmp_lt_i32_e32 vcc, -1, v8
	s_and_b64 exec, exec, vcc
	s_cbranch_execz .LBB340_29
; %bb.23:
	s_lshl_b32 s4, s24, 1
	s_add_i32 s5, s4, s23
	s_lshl_b32 s12, s22, 1
	s_mov_b64 s[0:1], 0
	v_mov_b32_e32 v5, 0
	s_branch .LBB340_25
.LBB340_24:                             ;   in Loop: Header=BB340_25 Depth=1
	s_or_b64 exec, exec, s[2:3]
	v_sub_u32_e32 v8, v8, v4
	v_cmp_gt_i32_e32 vcc, 0, v8
	s_or_b64 s[0:1], vcc, s[0:1]
	s_andn2_b64 exec, exec, s[0:1]
	s_cbranch_execz .LBB340_29
.LBB340_25:                             ; =>This Inner Loop Header: Depth=1
	v_add_u32_e32 v6, v8, v24
	v_ashrrev_i32_e32 v7, 31, v6
	s_waitcnt vmcnt(0)
	v_lshl_add_u64 v[0:1], v[6:7], 2, s[6:7]
	global_load_dword v4, v[0:1], off
	v_lshl_add_u64 v[0:1], v[6:7], 4, s[10:11]
	global_load_dwordx4 v[0:3], v[0:1], off
	s_waitcnt vmcnt(1)
	v_cmp_ne_u32_e32 vcc, 1, v4
	s_and_saveexec_b64 s[2:3], vcc
	s_xor_b64 s[2:3], exec, s[2:3]
	s_cbranch_execz .LBB340_27
; %bb.26:                               ;   in Loop: Header=BB340_25 Depth=1
	v_add_u32_e32 v7, v58, v8
	v_add_u32_e32 v4, s4, v7
	v_lshl_add_u64 v[22:23], v[4:5], 4, s[8:9]
	v_add_u32_e32 v4, s5, v7
	v_lshl_add_u64 v[26:27], v[4:5], 4, s[8:9]
	v_add_u32_e32 v4, s4, v6
	v_lshl_add_u64 v[28:29], v[4:5], 4, s[8:9]
	global_load_dwordx4 v[10:13], v[28:29], off
	global_load_dwordx4 v[14:17], v[22:23], off
	;; [unrolled: 1-line block ×3, first 2 shown]
	v_add_u32_e32 v4, s5, v6
	v_lshl_add_u64 v[6:7], v[4:5], 4, s[8:9]
	v_subrev_u32_e32 v4, s22, v8
	v_add_u32_e32 v22, v4, v24
	v_ashrrev_i32_e32 v23, 31, v22
	v_add_u32_e32 v4, s4, v22
	v_lshl_add_u64 v[26:27], v[22:23], 4, s[10:11]
	v_lshl_add_u64 v[30:31], v[4:5], 4, s[8:9]
	v_add_u32_e32 v4, s5, v22
	s_waitcnt vmcnt(1)
	v_fma_f64 v[10:11], -v[0:1], v[14:15], v[10:11]
	v_fma_f64 v[12:13], -v[2:3], v[14:15], v[12:13]
	v_fmac_f64_e32 v[10:11], v[2:3], v[16:17]
	v_fma_f64 v[12:13], -v[0:1], v[16:17], v[12:13]
	global_store_dwordx4 v[28:29], v[10:13], off
	global_load_dwordx4 v[10:13], v[6:7], off
	s_nop 0
	global_load_dwordx4 v[26:29], v[26:27], off
	s_waitcnt vmcnt(1)
	v_fma_f64 v[10:11], -v[0:1], v[18:19], v[10:11]
	v_fma_f64 v[12:13], -v[2:3], v[18:19], v[12:13]
	v_fmac_f64_e32 v[10:11], v[2:3], v[20:21]
	v_fma_f64 v[12:13], -v[0:1], v[20:21], v[12:13]
	global_store_dwordx4 v[6:7], v[10:13], off
	global_load_dwordx4 v[0:3], v[30:31], off
	v_lshl_add_u64 v[6:7], v[4:5], 4, s[8:9]
	s_waitcnt vmcnt(0)
	v_fma_f64 v[0:1], -v[26:27], v[14:15], v[0:1]
	v_fma_f64 v[2:3], -v[28:29], v[14:15], v[2:3]
	v_fmac_f64_e32 v[0:1], v[28:29], v[16:17]
	v_fma_f64 v[2:3], -v[26:27], v[16:17], v[2:3]
	global_store_dwordx4 v[30:31], v[0:3], off
	global_load_dwordx4 v[0:3], v[6:7], off
	s_waitcnt vmcnt(0)
	v_fma_f64 v[0:1], -v[26:27], v[18:19], v[0:1]
	v_fma_f64 v[2:3], -v[28:29], v[18:19], v[2:3]
	v_fmac_f64_e32 v[0:1], v[28:29], v[20:21]
	v_fma_f64 v[2:3], -v[26:27], v[20:21], v[2:3]
	global_store_dwordx4 v[6:7], v[0:3], off
                                        ; implicit-def: $vgpr6
                                        ; implicit-def: $vgpr0_vgpr1
.LBB340_27:                             ;   in Loop: Header=BB340_25 Depth=1
	s_or_saveexec_b64 s[2:3], s[2:3]
	v_mov_b32_e32 v4, s12
	s_xor_b64 exec, exec, s[2:3]
	s_cbranch_execz .LBB340_24
; %bb.28:                               ;   in Loop: Header=BB340_25 Depth=1
	v_add_u32_e32 v7, v58, v8
	v_add_u32_e32 v4, s4, v7
	v_lshl_add_u64 v[18:19], v[4:5], 4, s[8:9]
	v_add_u32_e32 v4, s4, v6
	v_lshl_add_u64 v[20:21], v[4:5], 4, s[8:9]
	global_load_dwordx4 v[10:13], v[18:19], off
	global_load_dwordx4 v[14:17], v[20:21], off
	v_add_u32_e32 v4, s5, v7
	v_lshl_add_u64 v[18:19], v[4:5], 4, s[8:9]
	v_add_u32_e32 v4, s5, v6
	v_lshl_add_u64 v[6:7], v[4:5], 4, s[8:9]
	v_mov_b32_e32 v4, s22
	s_waitcnt vmcnt(0)
	v_fma_f64 v[14:15], -v[0:1], v[10:11], v[14:15]
	v_fma_f64 v[10:11], -v[2:3], v[10:11], v[16:17]
	v_fmac_f64_e32 v[14:15], v[2:3], v[12:13]
	v_fma_f64 v[16:17], -v[0:1], v[12:13], v[10:11]
	global_store_dwordx4 v[20:21], v[14:17], off
	global_load_dwordx4 v[10:13], v[18:19], off
	s_nop 0
	global_load_dwordx4 v[14:17], v[6:7], off
	s_waitcnt vmcnt(0)
	v_fma_f64 v[14:15], -v[0:1], v[10:11], v[14:15]
	v_fma_f64 v[10:11], -v[2:3], v[10:11], v[16:17]
	v_fmac_f64_e32 v[14:15], v[2:3], v[12:13]
	v_fma_f64 v[16:17], -v[0:1], v[12:13], v[10:11]
	global_store_dwordx4 v[6:7], v[14:17], off
	s_branch .LBB340_24
.LBB340_29:
	s_endpgm
	.section	.rodata,"a",@progbits
	.p2align	6, 0x0
	.amdhsa_kernel _ZN9rocsparseL19gtsv_LBM_rhs_kernelILj256ELj128ELj2E21rocsparse_complex_numIdEEEviiiPKT2_S5_S5_PS3_S5_PKi
		.amdhsa_group_segment_fixed_size 0
		.amdhsa_private_segment_fixed_size 0
		.amdhsa_kernarg_size 64
		.amdhsa_user_sgpr_count 2
		.amdhsa_user_sgpr_dispatch_ptr 0
		.amdhsa_user_sgpr_queue_ptr 0
		.amdhsa_user_sgpr_kernarg_segment_ptr 1
		.amdhsa_user_sgpr_dispatch_id 0
		.amdhsa_user_sgpr_kernarg_preload_length 0
		.amdhsa_user_sgpr_kernarg_preload_offset 0
		.amdhsa_user_sgpr_private_segment_size 0
		.amdhsa_uses_dynamic_stack 0
		.amdhsa_enable_private_segment 0
		.amdhsa_system_sgpr_workgroup_id_x 1
		.amdhsa_system_sgpr_workgroup_id_y 1
		.amdhsa_system_sgpr_workgroup_id_z 0
		.amdhsa_system_sgpr_workgroup_info 0
		.amdhsa_system_vgpr_workitem_id 0
		.amdhsa_next_free_vgpr 78
		.amdhsa_next_free_sgpr 30
		.amdhsa_accum_offset 80
		.amdhsa_reserve_vcc 1
		.amdhsa_float_round_mode_32 0
		.amdhsa_float_round_mode_16_64 0
		.amdhsa_float_denorm_mode_32 3
		.amdhsa_float_denorm_mode_16_64 3
		.amdhsa_dx10_clamp 1
		.amdhsa_ieee_mode 1
		.amdhsa_fp16_overflow 0
		.amdhsa_tg_split 0
		.amdhsa_exception_fp_ieee_invalid_op 0
		.amdhsa_exception_fp_denorm_src 0
		.amdhsa_exception_fp_ieee_div_zero 0
		.amdhsa_exception_fp_ieee_overflow 0
		.amdhsa_exception_fp_ieee_underflow 0
		.amdhsa_exception_fp_ieee_inexact 0
		.amdhsa_exception_int_div_zero 0
	.end_amdhsa_kernel
	.section	.text._ZN9rocsparseL19gtsv_LBM_rhs_kernelILj256ELj128ELj2E21rocsparse_complex_numIdEEEviiiPKT2_S5_S5_PS3_S5_PKi,"axG",@progbits,_ZN9rocsparseL19gtsv_LBM_rhs_kernelILj256ELj128ELj2E21rocsparse_complex_numIdEEEviiiPKT2_S5_S5_PS3_S5_PKi,comdat
.Lfunc_end340:
	.size	_ZN9rocsparseL19gtsv_LBM_rhs_kernelILj256ELj128ELj2E21rocsparse_complex_numIdEEEviiiPKT2_S5_S5_PS3_S5_PKi, .Lfunc_end340-_ZN9rocsparseL19gtsv_LBM_rhs_kernelILj256ELj128ELj2E21rocsparse_complex_numIdEEEviiiPKT2_S5_S5_PS3_S5_PKi
                                        ; -- End function
	.set _ZN9rocsparseL19gtsv_LBM_rhs_kernelILj256ELj128ELj2E21rocsparse_complex_numIdEEEviiiPKT2_S5_S5_PS3_S5_PKi.num_vgpr, 78
	.set _ZN9rocsparseL19gtsv_LBM_rhs_kernelILj256ELj128ELj2E21rocsparse_complex_numIdEEEviiiPKT2_S5_S5_PS3_S5_PKi.num_agpr, 0
	.set _ZN9rocsparseL19gtsv_LBM_rhs_kernelILj256ELj128ELj2E21rocsparse_complex_numIdEEEviiiPKT2_S5_S5_PS3_S5_PKi.numbered_sgpr, 30
	.set _ZN9rocsparseL19gtsv_LBM_rhs_kernelILj256ELj128ELj2E21rocsparse_complex_numIdEEEviiiPKT2_S5_S5_PS3_S5_PKi.num_named_barrier, 0
	.set _ZN9rocsparseL19gtsv_LBM_rhs_kernelILj256ELj128ELj2E21rocsparse_complex_numIdEEEviiiPKT2_S5_S5_PS3_S5_PKi.private_seg_size, 0
	.set _ZN9rocsparseL19gtsv_LBM_rhs_kernelILj256ELj128ELj2E21rocsparse_complex_numIdEEEviiiPKT2_S5_S5_PS3_S5_PKi.uses_vcc, 1
	.set _ZN9rocsparseL19gtsv_LBM_rhs_kernelILj256ELj128ELj2E21rocsparse_complex_numIdEEEviiiPKT2_S5_S5_PS3_S5_PKi.uses_flat_scratch, 0
	.set _ZN9rocsparseL19gtsv_LBM_rhs_kernelILj256ELj128ELj2E21rocsparse_complex_numIdEEEviiiPKT2_S5_S5_PS3_S5_PKi.has_dyn_sized_stack, 0
	.set _ZN9rocsparseL19gtsv_LBM_rhs_kernelILj256ELj128ELj2E21rocsparse_complex_numIdEEEviiiPKT2_S5_S5_PS3_S5_PKi.has_recursion, 0
	.set _ZN9rocsparseL19gtsv_LBM_rhs_kernelILj256ELj128ELj2E21rocsparse_complex_numIdEEEviiiPKT2_S5_S5_PS3_S5_PKi.has_indirect_call, 0
	.section	.AMDGPU.csdata,"",@progbits
; Kernel info:
; codeLenInByte = 2740
; TotalNumSgprs: 36
; NumVgprs: 78
; NumAgprs: 0
; TotalNumVgprs: 78
; ScratchSize: 0
; MemoryBound: 1
; FloatMode: 240
; IeeeMode: 1
; LDSByteSize: 0 bytes/workgroup (compile time only)
; SGPRBlocks: 4
; VGPRBlocks: 9
; NumSGPRsForWavesPerEU: 36
; NumVGPRsForWavesPerEU: 78
; AccumOffset: 80
; Occupancy: 6
; WaveLimiterHint : 0
; COMPUTE_PGM_RSRC2:SCRATCH_EN: 0
; COMPUTE_PGM_RSRC2:USER_SGPR: 2
; COMPUTE_PGM_RSRC2:TRAP_HANDLER: 0
; COMPUTE_PGM_RSRC2:TGID_X_EN: 1
; COMPUTE_PGM_RSRC2:TGID_Y_EN: 1
; COMPUTE_PGM_RSRC2:TGID_Z_EN: 0
; COMPUTE_PGM_RSRC2:TIDIG_COMP_CNT: 0
; COMPUTE_PGM_RSRC3_GFX90A:ACCUM_OFFSET: 19
; COMPUTE_PGM_RSRC3_GFX90A:TG_SPLIT: 0
	.section	.text._ZN9rocsparseL19gtsv_LBM_rhs_kernelILj256ELj128ELj1E21rocsparse_complex_numIdEEEviiiPKT2_S5_S5_PS3_S5_PKi,"axG",@progbits,_ZN9rocsparseL19gtsv_LBM_rhs_kernelILj256ELj128ELj1E21rocsparse_complex_numIdEEEviiiPKT2_S5_S5_PS3_S5_PKi,comdat
	.globl	_ZN9rocsparseL19gtsv_LBM_rhs_kernelILj256ELj128ELj1E21rocsparse_complex_numIdEEEviiiPKT2_S5_S5_PS3_S5_PKi ; -- Begin function _ZN9rocsparseL19gtsv_LBM_rhs_kernelILj256ELj128ELj1E21rocsparse_complex_numIdEEEviiiPKT2_S5_S5_PS3_S5_PKi
	.p2align	8
	.type	_ZN9rocsparseL19gtsv_LBM_rhs_kernelILj256ELj128ELj1E21rocsparse_complex_numIdEEEviiiPKT2_S5_S5_PS3_S5_PKi,@function
_ZN9rocsparseL19gtsv_LBM_rhs_kernelILj256ELj128ELj1E21rocsparse_complex_numIdEEEviiiPKT2_S5_S5_PS3_S5_PKi: ; @_ZN9rocsparseL19gtsv_LBM_rhs_kernelILj256ELj128ELj1E21rocsparse_complex_numIdEEEviiiPKT2_S5_S5_PS3_S5_PKi
; %bb.0:
	s_load_dword s24, s[0:1], 0x0
	v_lshl_or_b32 v24, s2, 8, v0
	s_waitcnt lgkmcnt(0)
	s_lshr_b32 s22, s24, 7
	v_cmp_gt_i32_e32 vcc, s22, v24
	s_and_saveexec_b64 s[4:5], vcc
	s_cbranch_execz .LBB341_29
; %bb.1:
	s_load_dwordx4 s[8:11], s[0:1], 0x28
	s_load_dwordx2 s[6:7], s[0:1], 0x38
	s_cmp_lt_i32 s24, 1
	s_mul_i32 s23, s24, s3
	s_cbranch_scc1 .LBB341_21
; %bb.2:
	s_load_dwordx4 s[12:15], s[0:1], 0x10
	s_load_dwordx2 s[16:17], s[0:1], 0x20
	v_ashrrev_i32_e32 v25, 31, v24
	v_add_u32_e32 v42, s22, v24
	s_mul_i32 s25, s22, 0x7f
	s_waitcnt lgkmcnt(0)
	v_lshl_add_u64 v[0:1], v[24:25], 4, s[14:15]
	global_load_dwordx4 v[0:3], v[0:1], off
	s_mul_i32 s26, s22, 0x7e
	s_lshl_b32 s27, s22, 1
	v_add_u32_e32 v43, s22, v42
	v_add_u32_e32 v44, s23, v42
	v_mov_b32_e32 v27, 0
	s_mov_b64 s[18:19], 0
	v_mov_b32_e32 v25, 0
	s_branch .LBB341_5
.LBB341_3:                              ;   in Loop: Header=BB341_5 Depth=1
	s_or_b64 exec, exec, s[4:5]
	v_fmac_f64_e32 v[30:31], v[4:5], v[8:9]
	v_fmac_f64_e32 v[28:29], v[6:7], v[8:9]
	v_mul_f64 v[0:1], v[16:17], -v[28:29]
	v_mul_f64 v[2:3], v[16:17], v[30:31]
	v_fmac_f64_e32 v[0:1], v[30:31], v[10:11]
	v_fmac_f64_e32 v[2:3], v[28:29], v[10:11]
	v_add_f64 v[0:1], v[12:13], -v[0:1]
	v_add_f64 v[2:3], v[14:15], -v[2:3]
	v_mov_b32_e32 v10, s22
.LBB341_4:                              ;   in Loop: Header=BB341_5 Depth=1
	s_or_b64 exec, exec, s[2:3]
	v_add_u32_e32 v25, v10, v25
	v_cmp_le_i32_e32 vcc, s24, v25
	s_or_b64 s[18:19], vcc, s[18:19]
	s_andn2_b64 exec, exec, s[18:19]
	s_cbranch_execz .LBB341_20
.LBB341_5:                              ; =>This Inner Loop Header: Depth=1
	v_add_u32_e32 v32, v25, v24
	v_ashrrev_i32_e32 v33, 31, v32
	v_lshl_add_u64 v[4:5], v[32:33], 4, s[16:17]
	global_load_dwordx4 v[8:11], v[4:5], off
	v_cmp_gt_u32_e64 s[0:1], s25, v25
	v_mov_b64_e32 v[12:13], 0
	v_add_u32_e32 v22, v42, v25
	v_mov_b64_e32 v[4:5], 0
	v_mov_b64_e32 v[6:7], 0
	s_and_saveexec_b64 s[2:3], s[0:1]
	s_cbranch_execz .LBB341_7
; %bb.6:                                ;   in Loop: Header=BB341_5 Depth=1
	v_ashrrev_i32_e32 v23, 31, v22
	v_lshl_add_u64 v[4:5], v[22:23], 4, s[12:13]
	global_load_dwordx4 v[4:7], v[4:5], off
.LBB341_7:                              ;   in Loop: Header=BB341_5 Depth=1
	s_or_b64 exec, exec, s[2:3]
	v_mov_b64_e32 v[14:15], 0
	s_and_saveexec_b64 s[2:3], s[0:1]
	s_cbranch_execz .LBB341_9
; %bb.8:                                ;   in Loop: Header=BB341_5 Depth=1
	v_ashrrev_i32_e32 v23, 31, v22
	v_lshl_add_u64 v[12:13], v[22:23], 4, s[14:15]
	global_load_dwordx4 v[12:15], v[12:13], off
.LBB341_9:                              ;   in Loop: Header=BB341_5 Depth=1
	s_or_b64 exec, exec, s[2:3]
	v_mov_b64_e32 v[20:21], 0
	v_mov_b64_e32 v[16:17], 0
	;; [unrolled: 1-line block ×3, first 2 shown]
	s_and_saveexec_b64 s[2:3], s[0:1]
	s_cbranch_execz .LBB341_11
; %bb.10:                               ;   in Loop: Header=BB341_5 Depth=1
	v_ashrrev_i32_e32 v23, 31, v22
	v_lshl_add_u64 v[16:17], v[22:23], 4, s[16:17]
	global_load_dwordx4 v[16:19], v[16:17], off
.LBB341_11:                             ;   in Loop: Header=BB341_5 Depth=1
	s_or_b64 exec, exec, s[2:3]
	v_cmp_gt_u32_e64 s[2:3], s26, v25
	v_mov_b64_e32 v[22:23], 0
	s_and_saveexec_b64 s[4:5], s[2:3]
	s_cbranch_execz .LBB341_13
; %bb.12:                               ;   in Loop: Header=BB341_5 Depth=1
	v_add_u32_e32 v20, v43, v25
	v_ashrrev_i32_e32 v21, 31, v20
	v_lshl_add_u64 v[20:21], v[20:21], 4, s[12:13]
	global_load_dwordx4 v[20:23], v[20:21], off
.LBB341_13:                             ;   in Loop: Header=BB341_5 Depth=1
	s_or_b64 exec, exec, s[4:5]
	v_lshl_add_u64 v[28:29], v[32:33], 2, s[6:7]
	global_load_dword v26, v[28:29], off
	v_cmp_ne_u32_e32 vcc, s25, v25
	s_waitcnt vmcnt(1)
	v_mul_f64 v[30:31], v[10:11], -v[6:7]
	v_mul_f64 v[28:29], v[10:11], v[4:5]
	s_waitcnt vmcnt(0)
	v_cmp_ne_u32_e64 s[4:5], 1, v26
	s_and_b64 s[4:5], vcc, s[4:5]
	v_add_u32_e32 v26, s23, v32
	s_and_saveexec_b64 s[20:21], s[4:5]
	s_xor_b64 s[4:5], exec, s[20:21]
	s_cbranch_execz .LBB341_17
; %bb.14:                               ;   in Loop: Header=BB341_5 Depth=1
	v_lshl_add_u64 v[54:55], v[26:27], 4, s[8:9]
	v_add_u32_e32 v26, v44, v25
	global_load_dwordx4 v[46:49], v[54:55], off
	v_lshl_add_u64 v[56:57], v[26:27], 4, s[8:9]
	global_load_dwordx4 v[50:53], v[56:57], off
	v_mul_f64 v[34:35], v[0:1], v[14:15]
	v_mul_f64 v[32:33], v[14:15], -v[2:3]
	v_fmac_f64_e32 v[28:29], v[6:7], v[8:9]
	v_fmac_f64_e32 v[34:35], v[2:3], v[12:13]
	;; [unrolled: 1-line block ×4, first 2 shown]
	v_add_f64 v[28:29], v[34:35], -v[28:29]
	v_add_f64 v[30:31], v[32:33], -v[30:31]
	v_mul_f64 v[32:33], v[28:29], v[28:29]
	v_fmac_f64_e32 v[32:33], v[30:31], v[30:31]
	v_div_scale_f64 v[36:37], s[20:21], v[32:33], v[32:33], 1.0
	v_rcp_f64_e32 v[38:39], v[36:37]
	v_fma_f64 v[34:35], 0, v[28:29], v[30:31]
	v_fma_f64 v[30:31], v[30:31], 0, -v[28:29]
	v_div_scale_f64 v[28:29], vcc, 1.0, v[32:33], 1.0
	v_fma_f64 v[58:59], -v[36:37], v[38:39], 1.0
	v_fmac_f64_e32 v[38:39], v[38:39], v[58:59]
	v_fma_f64 v[58:59], -v[36:37], v[38:39], 1.0
	v_fmac_f64_e32 v[38:39], v[38:39], v[58:59]
	v_mul_f64 v[58:59], v[28:29], v[38:39]
	v_fma_f64 v[28:29], -v[36:37], v[58:59], v[28:29]
	v_div_fmas_f64 v[28:29], v[28:29], v[38:39], v[58:59]
	v_div_fixup_f64 v[32:33], v[28:29], v[32:33], 1.0
	v_mul_f64 v[30:31], v[30:31], v[32:33]
	v_mul_f64 v[28:29], v[34:35], v[32:33]
	v_mov_b64_e32 v[40:41], 0
	s_waitcnt vmcnt(1)
	v_mul_f64 v[36:37], v[30:31], v[46:47]
	v_mul_f64 v[32:33], v[30:31], -v[48:49]
	v_fmac_f64_e32 v[36:37], v[48:49], v[28:29]
	s_waitcnt vmcnt(0)
	v_mul_f64 v[38:39], v[30:31], v[50:51]
	v_fmac_f64_e32 v[32:33], v[46:47], v[28:29]
	v_mul_f64 v[34:35], v[30:31], -v[52:53]
	v_fmac_f64_e32 v[38:39], v[52:53], v[28:29]
	v_mul_f64 v[46:47], v[36:37], -v[14:15]
	v_mul_f64 v[48:49], v[12:13], v[36:37]
	v_fmac_f64_e32 v[34:35], v[50:51], v[28:29]
	v_fmac_f64_e32 v[46:47], v[12:13], v[32:33]
	;; [unrolled: 1-line block ×3, first 2 shown]
	v_mul_f64 v[12:13], v[38:39], -v[10:11]
	v_mul_f64 v[14:15], v[8:9], v[38:39]
	v_mul_f64 v[50:51], v[6:7], v[36:37]
	v_mul_f64 v[52:53], v[36:37], -v[4:5]
	v_mul_f64 v[58:59], v[38:39], -v[2:3]
	v_mul_f64 v[60:61], v[0:1], v[38:39]
	v_fmac_f64_e32 v[12:13], v[8:9], v[34:35]
	v_fmac_f64_e32 v[14:15], v[10:11], v[34:35]
	v_fma_f64 v[50:51], -v[4:5], v[32:33], v[50:51]
	v_fma_f64 v[52:53], -v[6:7], v[32:33], v[52:53]
	v_fmac_f64_e32 v[58:59], v[0:1], v[34:35]
	v_fmac_f64_e32 v[60:61], v[2:3], v[34:35]
	v_add_f64 v[8:9], v[46:47], -v[12:13]
	v_add_f64 v[10:11], v[48:49], -v[14:15]
	v_add_f64 v[12:13], v[50:51], v[58:59]
	v_add_f64 v[14:15], v[52:53], v[60:61]
	global_store_dwordx4 v[54:55], v[8:11], off
	global_store_dwordx4 v[56:57], v[12:15], off
	s_nop 0
	v_mov_b64_e32 v[8:9], 0
	s_and_saveexec_b64 s[20:21], s[2:3]
	s_cbranch_execz .LBB341_16
; %bb.15:                               ;   in Loop: Header=BB341_5 Depth=1
	v_add_u32_e32 v12, v43, v25
	v_add_u32_e32 v26, s23, v12
	v_lshl_add_u64 v[40:41], v[26:27], 4, s[8:9]
	v_ashrrev_i32_e32 v13, 31, v12
	global_load_dwordx4 v[8:11], v[40:41], off
	v_lshl_add_u64 v[12:13], v[12:13], 4, s[14:15]
	global_load_dwordx4 v[12:15], v[12:13], off
	v_mul_f64 v[46:47], v[6:7], v[22:23]
	v_mul_f64 v[48:49], v[22:23], -v[4:5]
	v_mul_f64 v[50:51], v[22:23], -v[2:3]
	v_mul_f64 v[52:53], v[0:1], v[22:23]
	v_mul_f64 v[54:55], v[2:3], -v[22:23]
	v_mul_f64 v[56:57], v[2:3], v[20:21]
	v_fma_f64 v[4:5], -v[4:5], v[20:21], v[46:47]
	v_fma_f64 v[6:7], -v[6:7], v[20:21], v[48:49]
	v_fmac_f64_e32 v[50:51], v[0:1], v[20:21]
	v_fmac_f64_e32 v[52:53], v[2:3], v[20:21]
	;; [unrolled: 1-line block ×4, first 2 shown]
	v_mul_f64 v[0:1], v[6:7], v[36:37]
	v_mul_f64 v[2:3], v[36:37], -v[4:5]
	v_mul_f64 v[20:21], v[38:39], -v[52:53]
	v_mul_f64 v[22:23], v[50:51], v[38:39]
	v_mul_f64 v[36:37], v[18:19], -v[56:57]
	v_mul_f64 v[18:19], v[18:19], v[54:55]
	v_fma_f64 v[0:1], -v[4:5], v[32:33], v[0:1]
	v_fma_f64 v[2:3], -v[6:7], v[32:33], v[2:3]
	v_fmac_f64_e32 v[20:21], v[50:51], v[34:35]
	v_fmac_f64_e32 v[22:23], v[52:53], v[34:35]
	v_fmac_f64_e32 v[36:37], v[54:55], v[16:17]
	v_fmac_f64_e32 v[18:19], v[56:57], v[16:17]
	v_add_f64 v[0:1], v[0:1], -v[20:21]
	v_add_f64 v[2:3], v[2:3], -v[22:23]
	v_mul_f64 v[4:5], v[30:31], -v[18:19]
	v_mul_f64 v[6:7], v[30:31], v[36:37]
	v_fmac_f64_e32 v[4:5], v[36:37], v[28:29]
	v_fmac_f64_e32 v[6:7], v[18:19], v[28:29]
	s_waitcnt vmcnt(1)
	v_add_f64 v[0:1], v[0:1], v[8:9]
	v_add_f64 v[2:3], v[2:3], v[10:11]
	s_waitcnt vmcnt(0)
	v_add_f64 v[8:9], v[12:13], -v[4:5]
	global_store_dwordx4 v[40:41], v[0:3], off
	v_add_f64 v[40:41], v[14:15], -v[6:7]
.LBB341_16:                             ;   in Loop: Header=BB341_5 Depth=1
	s_or_b64 exec, exec, s[20:21]
	v_mov_b64_e32 v[2:3], v[40:41]
	v_mov_b64_e32 v[0:1], v[8:9]
                                        ; implicit-def: $vgpr4_vgpr5
                                        ; implicit-def: $vgpr12_vgpr13
                                        ; implicit-def: $vgpr8_vgpr9
                                        ; implicit-def: $vgpr30_vgpr31
                                        ; implicit-def: $vgpr28_vgpr29
.LBB341_17:                             ;   in Loop: Header=BB341_5 Depth=1
	s_or_saveexec_b64 s[2:3], s[4:5]
	v_mov_b32_e32 v10, s27
	s_xor_b64 exec, exec, s[2:3]
	s_cbranch_execz .LBB341_4
; %bb.18:                               ;   in Loop: Header=BB341_5 Depth=1
	v_lshl_add_u64 v[22:23], v[26:27], 4, s[8:9]
	global_load_dwordx4 v[18:21], v[22:23], off
	v_mul_f64 v[10:11], v[2:3], v[2:3]
	v_fmac_f64_e32 v[10:11], v[0:1], v[0:1]
	v_div_scale_f64 v[32:33], s[4:5], v[10:11], v[10:11], 1.0
	v_rcp_f64_e32 v[34:35], v[32:33]
	v_fma_f64 v[16:17], 0, v[2:3], v[0:1]
	v_fma_f64 v[0:1], v[0:1], 0, -v[2:3]
	v_div_scale_f64 v[2:3], vcc, 1.0, v[10:11], 1.0
	v_fma_f64 v[36:37], -v[32:33], v[34:35], 1.0
	v_fmac_f64_e32 v[34:35], v[34:35], v[36:37]
	v_fma_f64 v[36:37], -v[32:33], v[34:35], 1.0
	v_fmac_f64_e32 v[34:35], v[34:35], v[36:37]
	v_mul_f64 v[36:37], v[2:3], v[34:35]
	v_fma_f64 v[2:3], -v[32:33], v[36:37], v[2:3]
	v_div_fmas_f64 v[2:3], v[2:3], v[34:35], v[36:37]
	v_div_fixup_f64 v[2:3], v[2:3], v[10:11], 1.0
	v_mul_f64 v[10:11], v[16:17], v[2:3]
	v_mul_f64 v[16:17], v[0:1], v[2:3]
	s_waitcnt vmcnt(0)
	v_mul_f64 v[0:1], v[16:17], -v[20:21]
	v_mul_f64 v[2:3], v[16:17], v[18:19]
	v_fmac_f64_e32 v[0:1], v[18:19], v[10:11]
	v_fmac_f64_e32 v[2:3], v[20:21], v[10:11]
	global_store_dwordx4 v[22:23], v[0:3], off
	s_and_saveexec_b64 s[4:5], s[0:1]
	s_cbranch_execz .LBB341_3
; %bb.19:                               ;   in Loop: Header=BB341_5 Depth=1
	v_add_u32_e32 v26, v44, v25
	v_lshl_add_u64 v[22:23], v[26:27], 4, s[8:9]
	global_load_dwordx4 v[18:21], v[22:23], off
	s_waitcnt vmcnt(0)
	v_fma_f64 v[18:19], -v[4:5], v[0:1], v[18:19]
	v_fma_f64 v[0:1], -v[6:7], v[0:1], v[20:21]
	v_fmac_f64_e32 v[18:19], v[6:7], v[2:3]
	v_fma_f64 v[20:21], -v[4:5], v[2:3], v[0:1]
	global_store_dwordx4 v[22:23], v[18:21], off
	s_branch .LBB341_3
.LBB341_20:
	s_or_b64 exec, exec, s[18:19]
	s_branch .LBB341_22
.LBB341_21:
	v_mov_b32_e32 v25, 0
.LBB341_22:
	v_subrev_u32_e32 v2, s22, v25
	v_add_u32_e32 v0, v2, v24
	v_ashrrev_i32_e32 v1, 31, v0
	s_waitcnt lgkmcnt(0)
	v_lshl_add_u64 v[0:1], v[0:1], 2, s[6:7]
	buffer_wbl2 sc1
	s_waitcnt vmcnt(0)
	buffer_inv sc1
	global_load_dword v0, v[0:1], off
	s_waitcnt vmcnt(0)
	v_mul_lo_u32 v0, v0, s22
	v_sub_u32_e32 v8, v2, v0
	v_cmp_lt_i32_e32 vcc, -1, v8
	s_and_b64 exec, exec, vcc
	s_cbranch_execz .LBB341_29
; %bb.23:
	s_add_i32 s0, s23, s22
	v_add_u32_e32 v9, s0, v24
	s_lshl_b32 s4, s22, 1
	s_mov_b64 s[0:1], 0
	v_mov_b32_e32 v5, 0
	s_branch .LBB341_25
.LBB341_24:                             ;   in Loop: Header=BB341_25 Depth=1
	s_or_b64 exec, exec, s[2:3]
	v_sub_u32_e32 v8, v8, v4
	v_cmp_gt_i32_e32 vcc, 0, v8
	s_or_b64 s[0:1], vcc, s[0:1]
	s_andn2_b64 exec, exec, s[0:1]
	s_cbranch_execz .LBB341_29
.LBB341_25:                             ; =>This Inner Loop Header: Depth=1
	v_add_u32_e32 v6, v8, v24
	v_ashrrev_i32_e32 v7, 31, v6
	s_waitcnt vmcnt(0)
	v_lshl_add_u64 v[0:1], v[6:7], 2, s[6:7]
	global_load_dword v4, v[0:1], off
	v_lshl_add_u64 v[0:1], v[6:7], 4, s[10:11]
	global_load_dwordx4 v[0:3], v[0:1], off
	s_waitcnt vmcnt(1)
	v_cmp_ne_u32_e32 vcc, 1, v4
	s_and_saveexec_b64 s[2:3], vcc
	s_xor_b64 s[2:3], exec, s[2:3]
	s_cbranch_execz .LBB341_27
; %bb.26:                               ;   in Loop: Header=BB341_25 Depth=1
	v_add_u32_e32 v4, v9, v8
	v_lshl_add_u64 v[18:19], v[4:5], 4, s[8:9]
	v_add_u32_e32 v4, s23, v6
	v_lshl_add_u64 v[6:7], v[4:5], 4, s[8:9]
	global_load_dwordx4 v[10:13], v[18:19], off
	global_load_dwordx4 v[14:17], v[6:7], off
	v_subrev_u32_e32 v4, s22, v8
	v_add_u32_e32 v18, v4, v24
	v_ashrrev_i32_e32 v19, 31, v18
	v_add_u32_e32 v4, s23, v18
	v_lshl_add_u64 v[18:19], v[18:19], 4, s[10:11]
	v_lshl_add_u64 v[22:23], v[4:5], 4, s[8:9]
	global_load_dwordx4 v[18:21], v[18:19], off
	s_waitcnt vmcnt(1)
	v_fma_f64 v[14:15], -v[0:1], v[10:11], v[14:15]
	v_fma_f64 v[16:17], -v[2:3], v[10:11], v[16:17]
	v_fmac_f64_e32 v[14:15], v[2:3], v[12:13]
	v_fma_f64 v[16:17], -v[0:1], v[12:13], v[16:17]
	global_store_dwordx4 v[6:7], v[14:17], off
	global_load_dwordx4 v[0:3], v[22:23], off
                                        ; implicit-def: $vgpr6
	s_waitcnt vmcnt(0)
	v_fma_f64 v[0:1], -v[18:19], v[10:11], v[0:1]
	v_fma_f64 v[2:3], -v[20:21], v[10:11], v[2:3]
	v_fmac_f64_e32 v[0:1], v[20:21], v[12:13]
	v_fma_f64 v[2:3], -v[18:19], v[12:13], v[2:3]
	global_store_dwordx4 v[22:23], v[0:3], off
                                        ; implicit-def: $vgpr0_vgpr1
.LBB341_27:                             ;   in Loop: Header=BB341_25 Depth=1
	s_or_saveexec_b64 s[2:3], s[2:3]
	v_mov_b32_e32 v4, s4
	s_xor_b64 exec, exec, s[2:3]
	s_cbranch_execz .LBB341_24
; %bb.28:                               ;   in Loop: Header=BB341_25 Depth=1
	v_add_u32_e32 v4, v9, v8
	v_lshl_add_u64 v[18:19], v[4:5], 4, s[8:9]
	v_add_u32_e32 v4, s23, v6
	v_lshl_add_u64 v[6:7], v[4:5], 4, s[8:9]
	global_load_dwordx4 v[10:13], v[18:19], off
	global_load_dwordx4 v[14:17], v[6:7], off
	v_mov_b32_e32 v4, s22
	s_waitcnt vmcnt(0)
	v_fma_f64 v[14:15], -v[0:1], v[10:11], v[14:15]
	v_fma_f64 v[10:11], -v[2:3], v[10:11], v[16:17]
	v_fmac_f64_e32 v[14:15], v[2:3], v[12:13]
	v_fma_f64 v[16:17], -v[0:1], v[12:13], v[10:11]
	global_store_dwordx4 v[6:7], v[14:17], off
	s_branch .LBB341_24
.LBB341_29:
	s_endpgm
	.section	.rodata,"a",@progbits
	.p2align	6, 0x0
	.amdhsa_kernel _ZN9rocsparseL19gtsv_LBM_rhs_kernelILj256ELj128ELj1E21rocsparse_complex_numIdEEEviiiPKT2_S5_S5_PS3_S5_PKi
		.amdhsa_group_segment_fixed_size 0
		.amdhsa_private_segment_fixed_size 0
		.amdhsa_kernarg_size 64
		.amdhsa_user_sgpr_count 2
		.amdhsa_user_sgpr_dispatch_ptr 0
		.amdhsa_user_sgpr_queue_ptr 0
		.amdhsa_user_sgpr_kernarg_segment_ptr 1
		.amdhsa_user_sgpr_dispatch_id 0
		.amdhsa_user_sgpr_kernarg_preload_length 0
		.amdhsa_user_sgpr_kernarg_preload_offset 0
		.amdhsa_user_sgpr_private_segment_size 0
		.amdhsa_uses_dynamic_stack 0
		.amdhsa_enable_private_segment 0
		.amdhsa_system_sgpr_workgroup_id_x 1
		.amdhsa_system_sgpr_workgroup_id_y 1
		.amdhsa_system_sgpr_workgroup_id_z 0
		.amdhsa_system_sgpr_workgroup_info 0
		.amdhsa_system_vgpr_workitem_id 0
		.amdhsa_next_free_vgpr 62
		.amdhsa_next_free_sgpr 28
		.amdhsa_accum_offset 64
		.amdhsa_reserve_vcc 1
		.amdhsa_float_round_mode_32 0
		.amdhsa_float_round_mode_16_64 0
		.amdhsa_float_denorm_mode_32 3
		.amdhsa_float_denorm_mode_16_64 3
		.amdhsa_dx10_clamp 1
		.amdhsa_ieee_mode 1
		.amdhsa_fp16_overflow 0
		.amdhsa_tg_split 0
		.amdhsa_exception_fp_ieee_invalid_op 0
		.amdhsa_exception_fp_denorm_src 0
		.amdhsa_exception_fp_ieee_div_zero 0
		.amdhsa_exception_fp_ieee_overflow 0
		.amdhsa_exception_fp_ieee_underflow 0
		.amdhsa_exception_fp_ieee_inexact 0
		.amdhsa_exception_int_div_zero 0
	.end_amdhsa_kernel
	.section	.text._ZN9rocsparseL19gtsv_LBM_rhs_kernelILj256ELj128ELj1E21rocsparse_complex_numIdEEEviiiPKT2_S5_S5_PS3_S5_PKi,"axG",@progbits,_ZN9rocsparseL19gtsv_LBM_rhs_kernelILj256ELj128ELj1E21rocsparse_complex_numIdEEEviiiPKT2_S5_S5_PS3_S5_PKi,comdat
.Lfunc_end341:
	.size	_ZN9rocsparseL19gtsv_LBM_rhs_kernelILj256ELj128ELj1E21rocsparse_complex_numIdEEEviiiPKT2_S5_S5_PS3_S5_PKi, .Lfunc_end341-_ZN9rocsparseL19gtsv_LBM_rhs_kernelILj256ELj128ELj1E21rocsparse_complex_numIdEEEviiiPKT2_S5_S5_PS3_S5_PKi
                                        ; -- End function
	.set _ZN9rocsparseL19gtsv_LBM_rhs_kernelILj256ELj128ELj1E21rocsparse_complex_numIdEEEviiiPKT2_S5_S5_PS3_S5_PKi.num_vgpr, 62
	.set _ZN9rocsparseL19gtsv_LBM_rhs_kernelILj256ELj128ELj1E21rocsparse_complex_numIdEEEviiiPKT2_S5_S5_PS3_S5_PKi.num_agpr, 0
	.set _ZN9rocsparseL19gtsv_LBM_rhs_kernelILj256ELj128ELj1E21rocsparse_complex_numIdEEEviiiPKT2_S5_S5_PS3_S5_PKi.numbered_sgpr, 28
	.set _ZN9rocsparseL19gtsv_LBM_rhs_kernelILj256ELj128ELj1E21rocsparse_complex_numIdEEEviiiPKT2_S5_S5_PS3_S5_PKi.num_named_barrier, 0
	.set _ZN9rocsparseL19gtsv_LBM_rhs_kernelILj256ELj128ELj1E21rocsparse_complex_numIdEEEviiiPKT2_S5_S5_PS3_S5_PKi.private_seg_size, 0
	.set _ZN9rocsparseL19gtsv_LBM_rhs_kernelILj256ELj128ELj1E21rocsparse_complex_numIdEEEviiiPKT2_S5_S5_PS3_S5_PKi.uses_vcc, 1
	.set _ZN9rocsparseL19gtsv_LBM_rhs_kernelILj256ELj128ELj1E21rocsparse_complex_numIdEEEviiiPKT2_S5_S5_PS3_S5_PKi.uses_flat_scratch, 0
	.set _ZN9rocsparseL19gtsv_LBM_rhs_kernelILj256ELj128ELj1E21rocsparse_complex_numIdEEEviiiPKT2_S5_S5_PS3_S5_PKi.has_dyn_sized_stack, 0
	.set _ZN9rocsparseL19gtsv_LBM_rhs_kernelILj256ELj128ELj1E21rocsparse_complex_numIdEEEviiiPKT2_S5_S5_PS3_S5_PKi.has_recursion, 0
	.set _ZN9rocsparseL19gtsv_LBM_rhs_kernelILj256ELj128ELj1E21rocsparse_complex_numIdEEEviiiPKT2_S5_S5_PS3_S5_PKi.has_indirect_call, 0
	.section	.AMDGPU.csdata,"",@progbits
; Kernel info:
; codeLenInByte = 1988
; TotalNumSgprs: 34
; NumVgprs: 62
; NumAgprs: 0
; TotalNumVgprs: 62
; ScratchSize: 0
; MemoryBound: 1
; FloatMode: 240
; IeeeMode: 1
; LDSByteSize: 0 bytes/workgroup (compile time only)
; SGPRBlocks: 4
; VGPRBlocks: 7
; NumSGPRsForWavesPerEU: 34
; NumVGPRsForWavesPerEU: 62
; AccumOffset: 64
; Occupancy: 8
; WaveLimiterHint : 0
; COMPUTE_PGM_RSRC2:SCRATCH_EN: 0
; COMPUTE_PGM_RSRC2:USER_SGPR: 2
; COMPUTE_PGM_RSRC2:TRAP_HANDLER: 0
; COMPUTE_PGM_RSRC2:TGID_X_EN: 1
; COMPUTE_PGM_RSRC2:TGID_Y_EN: 1
; COMPUTE_PGM_RSRC2:TGID_Z_EN: 0
; COMPUTE_PGM_RSRC2:TIDIG_COMP_CNT: 0
; COMPUTE_PGM_RSRC3_GFX90A:ACCUM_OFFSET: 15
; COMPUTE_PGM_RSRC3_GFX90A:TG_SPLIT: 0
	.section	.text._ZN9rocsparseL29gtsv_spike_block_level_kernelILj256ELj128E21rocsparse_complex_numIdEEEviiiPT1_PKS3_S6_S4_S4_S4_S4_S4_,"axG",@progbits,_ZN9rocsparseL29gtsv_spike_block_level_kernelILj256ELj128E21rocsparse_complex_numIdEEEviiiPT1_PKS3_S6_S4_S4_S4_S4_S4_,comdat
	.globl	_ZN9rocsparseL29gtsv_spike_block_level_kernelILj256ELj128E21rocsparse_complex_numIdEEEviiiPT1_PKS3_S6_S4_S4_S4_S4_S4_ ; -- Begin function _ZN9rocsparseL29gtsv_spike_block_level_kernelILj256ELj128E21rocsparse_complex_numIdEEEviiiPT1_PKS3_S6_S4_S4_S4_S4_S4_
	.p2align	8
	.type	_ZN9rocsparseL29gtsv_spike_block_level_kernelILj256ELj128E21rocsparse_complex_numIdEEEviiiPT1_PKS3_S6_S4_S4_S4_S4_S4_,@function
_ZN9rocsparseL29gtsv_spike_block_level_kernelILj256ELj128E21rocsparse_complex_numIdEEEviiiPT1_PKS3_S6_S4_S4_S4_S4_S4_: ; @_ZN9rocsparseL29gtsv_spike_block_level_kernelILj256ELj128E21rocsparse_complex_numIdEEEviiiPT1_PKS3_S6_S4_S4_S4_S4_S4_
; %bb.0:
	s_load_dword s12, s[0:1], 0x0
	s_load_dwordx2 s[8:9], s[0:1], 0x18
	v_lshl_or_b32 v6, s2, 8, v0
	v_mov_b64_e32 v[2:3], 0
	v_mov_b64_e32 v[12:13], 0
	s_waitcnt lgkmcnt(0)
	s_lshr_b32 s21, s12, 7
	v_cmp_gt_i32_e64 s[4:5], s21, v6
	v_mov_b64_e32 v[14:15], 0
	s_and_saveexec_b64 s[6:7], s[4:5]
	s_cbranch_execz .LBB342_2
; %bb.1:
	v_ashrrev_i32_e32 v7, 31, v6
	v_lshl_add_u64 v[4:5], v[6:7], 4, s[8:9]
	global_load_dwordx4 v[12:15], v[4:5], off
.LBB342_2:
	s_or_b64 exec, exec, s[6:7]
	s_load_dwordx2 s[6:7], s[0:1], 0x20
	v_lshlrev_b32_e32 v1, 4, v0
	v_or_b32_e32 v10, 0x2000, v1
	s_mul_i32 s20, s21, 0x7f
	v_mov_b64_e32 v[4:5], 0
	s_waitcnt vmcnt(0)
	ds_write_b128 v1, v[12:15] offset:8192
	s_and_saveexec_b64 s[10:11], s[4:5]
	s_cbranch_execz .LBB342_4
; %bb.3:
	s_mul_i32 s13, s21, 0x7f
	v_add_u32_e32 v2, s13, v6
	v_mov_b32_e32 v3, 0
	v_lshl_add_u64 v[2:3], v[2:3], 4, s[8:9]
	global_load_dwordx4 v[2:5], v[2:3], off
.LBB342_4:
	s_or_b64 exec, exec, s[10:11]
	s_waitcnt vmcnt(0)
	ds_write_b128 v10, v[2:5] offset:4096
	v_mov_b64_e32 v[2:3], 0
	v_mov_b64_e32 v[12:13], 0
	;; [unrolled: 1-line block ×3, first 2 shown]
	s_and_saveexec_b64 s[8:9], s[4:5]
	s_cbranch_execz .LBB342_6
; %bb.5:
	v_ashrrev_i32_e32 v7, 31, v6
	s_waitcnt lgkmcnt(0)
	v_lshl_add_u64 v[4:5], v[6:7], 4, s[6:7]
	global_load_dwordx4 v[12:15], v[4:5], off
.LBB342_6:
	s_or_b64 exec, exec, s[8:9]
	s_load_dwordx2 s[16:17], s[0:1], 0x10
	v_mov_b64_e32 v[4:5], 0
	s_waitcnt vmcnt(0)
	ds_write_b128 v1, v[12:15]
	s_and_saveexec_b64 s[8:9], s[4:5]
	s_cbranch_execz .LBB342_8
; %bb.7:
	s_mul_i32 s10, s21, 0x7f
	v_add_u32_e32 v2, s10, v6
	v_mov_b32_e32 v3, 0
	s_waitcnt lgkmcnt(0)
	v_lshl_add_u64 v[2:3], v[2:3], 4, s[6:7]
	global_load_dwordx4 v[2:5], v[2:3], off
.LBB342_8:
	s_or_b64 exec, exec, s[8:9]
	s_mul_i32 s14, s12, s3
	s_waitcnt vmcnt(0)
	ds_write_b128 v1, v[2:5] offset:4096
	v_mov_b64_e32 v[2:3], 0
	v_add_u32_e32 v8, s14, v6
	v_mov_b64_e32 v[12:13], 0
	v_mov_b64_e32 v[14:15], 0
	s_waitcnt lgkmcnt(0)
	s_and_saveexec_b64 s[6:7], s[4:5]
	s_cbranch_execz .LBB342_10
; %bb.9:
	v_ashrrev_i32_e32 v9, 31, v8
	v_lshl_add_u64 v[4:5], v[8:9], 4, s[16:17]
	global_load_dwordx4 v[12:15], v[4:5], off
.LBB342_10:
	s_or_b64 exec, exec, s[6:7]
	s_load_dwordx2 s[6:7], s[0:1], 0x48
	s_load_dwordx4 s[8:11], s[0:1], 0x38
	v_or_b32_e32 v9, 0x4000, v1
	v_mov_b64_e32 v[4:5], 0
	s_waitcnt vmcnt(0)
	ds_write_b128 v1, v[12:15] offset:16384
	s_and_saveexec_b64 s[12:13], s[4:5]
	s_cbranch_execz .LBB342_12
; %bb.11:
	s_mul_i32 s15, s21, 0x7f
	s_add_i32 s15, s15, s14
	v_add_u32_e32 v2, s15, v6
	v_mov_b32_e32 v3, 0
	v_lshl_add_u64 v[2:3], v[2:3], 4, s[16:17]
	global_load_dwordx4 v[2:5], v[2:3], off
.LBB342_12:
	s_or_b64 exec, exec, s[12:13]
	s_load_dwordx4 s[12:15], s[0:1], 0x28
	v_add_u32_e32 v13, 0x1000, v10
	v_or_b32_e32 v12, 0x1000, v1
	v_add_u32_e32 v11, 0x1000, v9
	s_mov_b32 s22, 2
	s_waitcnt vmcnt(0)
	ds_write_b128 v9, v[2:5] offset:4096
	s_waitcnt lgkmcnt(0)
	s_barrier
	s_branch .LBB342_14
.LBB342_13:                             ;   in Loop: Header=BB342_14 Depth=1
	s_or_b64 exec, exec, s[18:19]
	s_lshl_b32 s18, s22, 1
	s_cmpk_lt_u32 s22, 0x81
	s_mov_b32 s22, s18
	s_waitcnt lgkmcnt(0)
	s_barrier
	s_cbranch_scc0 .LBB342_16
.LBB342_14:                             ; =>This Inner Loop Header: Depth=1
	s_ff1_i32_b32 s18, s22
	s_lshr_b32 s18, 0x100, s18
	v_cmp_gt_u32_e32 vcc, s18, v0
	s_and_saveexec_b64 s[18:19], vcc
	s_cbranch_execz .LBB342_13
; %bb.15:                               ;   in Loop: Header=BB342_14 Depth=1
	v_mul_lo_u32 v7, s22, v0
	s_lshr_b32 s23, s22, 1
	v_add_u32_e32 v46, s23, v7
	v_lshlrev_b32_e32 v47, 4, v46
	ds_read_b128 v[14:17], v47 offset:8192
	ds_read_b128 v[2:5], v47 offset:4080
	ds_read_b128 v[18:21], v47
	ds_read_b128 v[22:25], v47 offset:12272
	v_lshlrev_b32_e32 v7, 4, v7
	v_add_lshl_u32 v46, v46, s23, 4
	s_waitcnt lgkmcnt(2)
	v_mul_f64 v[28:29], v[4:5], v[14:15]
	v_mul_f64 v[26:27], v[4:5], -v[16:17]
	v_fmac_f64_e32 v[28:29], v[16:17], v[2:3]
	v_fmac_f64_e32 v[26:27], v[14:15], v[2:3]
	v_add_f64 v[36:37], -v[28:29], 0
	v_add_f64 v[34:35], -v[26:27], 1.0
	v_mul_f64 v[26:27], v[36:37], v[36:37]
	v_fmac_f64_e32 v[26:27], v[34:35], v[34:35]
	v_div_scale_f64 v[28:29], s[24:25], v[26:27], v[26:27], 1.0
	v_rcp_f64_e32 v[30:31], v[28:29]
	v_fma_f64 v[40:41], 0, v[36:37], v[34:35]
	v_fma_f64 v[34:35], v[34:35], 0, -v[36:37]
	v_fma_f64 v[32:33], -v[28:29], v[30:31], 1.0
	v_fmac_f64_e32 v[30:31], v[30:31], v[32:33]
	v_fma_f64 v[32:33], -v[28:29], v[30:31], 1.0
	v_fmac_f64_e32 v[30:31], v[30:31], v[32:33]
	v_div_scale_f64 v[32:33], vcc, 1.0, v[26:27], 1.0
	v_mul_f64 v[38:39], v[32:33], v[30:31]
	v_fma_f64 v[28:29], -v[28:29], v[38:39], v[32:33]
	s_nop 1
	v_div_fmas_f64 v[28:29], v[28:29], v[30:31], v[38:39]
	v_div_fixup_f64 v[38:39], v[28:29], v[26:27], 1.0
	ds_read_b128 v[26:29], v47 offset:20464
	ds_read_b128 v[30:33], v47 offset:16384
	v_mul_f64 v[44:45], v[34:35], v[38:39]
	v_mul_f64 v[42:43], v[40:41], v[38:39]
	s_waitcnt lgkmcnt(0)
	v_mul_f64 v[34:35], v[32:33], -v[4:5]
	v_mul_f64 v[36:37], v[2:3], v[32:33]
	v_fmac_f64_e32 v[34:35], v[2:3], v[30:31]
	v_fmac_f64_e32 v[36:37], v[4:5], v[30:31]
	v_add_f64 v[38:39], v[26:27], -v[34:35]
	v_add_f64 v[40:41], v[28:29], -v[36:37]
	v_mul_f64 v[34:35], v[44:45], -v[40:41]
	v_mul_f64 v[36:37], v[44:45], v[38:39]
	v_fmac_f64_e32 v[34:35], v[38:39], v[42:43]
	v_fmac_f64_e32 v[36:37], v[40:41], v[42:43]
	ds_write_b128 v47, v[34:37] offset:20464
	v_mul_f64 v[34:35], v[16:17], -v[28:29]
	v_fmac_f64_e32 v[34:35], v[26:27], v[14:15]
	v_mul_f64 v[26:27], v[16:17], v[26:27]
	v_fmac_f64_e32 v[26:27], v[28:29], v[14:15]
	v_add_f64 v[28:29], v[30:31], -v[34:35]
	v_add_f64 v[30:31], v[32:33], -v[26:27]
	v_mul_f64 v[26:27], v[44:45], -v[30:31]
	v_fmac_f64_e32 v[26:27], v[28:29], v[42:43]
	v_mul_f64 v[28:29], v[28:29], v[44:45]
	v_mul_f64 v[38:39], v[16:17], -v[24:25]
	v_mul_f64 v[16:17], v[16:17], v[22:23]
	v_fmac_f64_e32 v[28:29], v[30:31], v[42:43]
	ds_read_b128 v[30:33], v7
	v_fmac_f64_e32 v[16:17], v[24:25], v[14:15]
	v_fmac_f64_e32 v[38:39], v[22:23], v[14:15]
	v_mul_f64 v[14:15], v[44:45], v[16:17]
	v_mul_f64 v[16:17], v[16:17], -v[42:43]
	v_fma_f64 v[14:15], -v[42:43], v[38:39], v[14:15]
	v_fma_f64 v[16:17], -v[44:45], v[38:39], v[16:17]
	v_mul_f64 v[38:39], v[24:25], -v[44:45]
	v_mul_f64 v[40:41], v[42:43], v[24:25]
	v_fmac_f64_e32 v[38:39], v[42:43], v[22:23]
	v_fmac_f64_e32 v[40:41], v[44:45], v[22:23]
	ds_read_b128 v[34:37], v46 offset:12272
	ds_write_b128 v47, v[14:17] offset:8192
	ds_write_b128 v47, v[38:41] offset:12272
	ds_read_b128 v[22:25], v7 offset:8192
	s_waitcnt lgkmcnt(4)
	v_mul_f64 v[38:39], v[28:29], -v[32:33]
	v_fmac_f64_e32 v[38:39], v[30:31], v[26:27]
	v_mul_f64 v[30:31], v[28:29], v[30:31]
	v_mul_f64 v[40:41], v[2:3], v[20:21]
	ds_write_b128 v47, v[26:29] offset:16384
	v_fmac_f64_e32 v[30:31], v[32:33], v[26:27]
	v_mul_f64 v[32:33], v[20:21], -v[4:5]
	v_fmac_f64_e32 v[40:41], v[4:5], v[18:19]
	ds_read_b128 v[26:29], v7 offset:16384
	v_fmac_f64_e32 v[32:33], v[2:3], v[18:19]
	v_mul_f64 v[2:3], v[44:45], v[40:41]
	v_mul_f64 v[4:5], v[40:41], -v[42:43]
	v_fma_f64 v[2:3], -v[42:43], v[32:33], v[2:3]
	v_fma_f64 v[4:5], -v[44:45], v[32:33], v[4:5]
	ds_write_b128 v47, v[2:5] offset:4080
	v_mul_f64 v[2:3], v[20:21], -v[44:45]
	v_mul_f64 v[4:5], v[42:43], v[20:21]
	v_fmac_f64_e32 v[2:3], v[42:43], v[18:19]
	v_fmac_f64_e32 v[4:5], v[44:45], v[18:19]
	ds_write_b128 v47, v[2:5]
	ds_read_b128 v[18:21], v7
	s_waitcnt lgkmcnt(3)
	v_add_f64 v[26:27], v[26:27], -v[38:39]
	v_add_f64 v[28:29], v[28:29], -v[30:31]
	ds_write_b128 v7, v[26:29] offset:16384
	ds_read_b128 v[26:29], v47 offset:20464
	s_waitcnt lgkmcnt(2)
	v_mul_f64 v[30:31], v[4:5], v[20:21]
	v_mul_f64 v[4:5], v[4:5], -v[18:19]
	v_fma_f64 v[30:31], -v[18:19], v[2:3], v[30:31]
	v_fma_f64 v[32:33], -v[20:21], v[2:3], v[4:5]
	ds_write_b128 v7, v[30:33]
	s_waitcnt lgkmcnt(1)
	v_mul_f64 v[30:31], v[28:29], -v[36:37]
	v_fmac_f64_e32 v[30:31], v[34:35], v[26:27]
	v_mul_f64 v[32:33], v[28:29], v[34:35]
	v_mul_f64 v[34:35], v[16:17], -v[20:21]
	v_mul_f64 v[16:17], v[16:17], v[18:19]
	v_fmac_f64_e32 v[34:35], v[18:19], v[14:15]
	v_fmac_f64_e32 v[16:17], v[20:21], v[14:15]
	ds_read_b128 v[2:5], v46 offset:4080
	v_fmac_f64_e32 v[32:33], v[36:37], v[26:27]
	ds_read_b128 v[26:29], v46 offset:20464
	v_add_f64 v[14:15], v[22:23], -v[34:35]
	v_add_f64 v[16:17], v[24:25], -v[16:17]
	ds_write_b128 v7, v[14:17] offset:8192
	ds_read_b128 v[14:17], v46 offset:12272
	ds_read_b128 v[18:21], v47 offset:4080
	s_waitcnt lgkmcnt(3)
	v_add_f64 v[22:23], v[26:27], -v[30:31]
	v_add_f64 v[24:25], v[28:29], -v[32:33]
	ds_write_b128 v46, v[22:25] offset:20464
	ds_read_b128 v[22:25], v47 offset:12272
	s_waitcnt lgkmcnt(2)
	v_mul_f64 v[26:27], v[16:17], -v[20:21]
	v_fmac_f64_e32 v[26:27], v[18:19], v[14:15]
	v_mul_f64 v[18:19], v[16:17], v[18:19]
	v_fmac_f64_e32 v[18:19], v[20:21], v[14:15]
	v_add_f64 v[2:3], v[2:3], -v[26:27]
	v_add_f64 v[4:5], v[4:5], -v[18:19]
	ds_write_b128 v46, v[2:5] offset:4080
	s_waitcnt lgkmcnt(1)
	v_mul_f64 v[2:3], v[16:17], v[24:25]
	v_mul_f64 v[4:5], v[24:25], -v[14:15]
	v_fma_f64 v[2:3], -v[14:15], v[22:23], v[2:3]
	v_fma_f64 v[4:5], -v[16:17], v[22:23], v[4:5]
	ds_write_b128 v46, v[2:5] offset:12272
	s_branch .LBB342_13
.LBB342_16:
	s_and_saveexec_b64 s[18:19], s[4:5]
	s_cbranch_execnz .LBB342_19
; %bb.17:
	s_or_b64 exec, exec, s[18:19]
	v_cmp_eq_u32_e32 vcc, 0, v0
	s_and_saveexec_b64 s[4:5], vcc
	s_cbranch_execnz .LBB342_23
.LBB342_18:
	s_endpgm
.LBB342_19:
	s_cmp_eq_u32 s3, 0
	s_cbranch_scc1 .LBB342_27
; %bb.20:
	s_mulk_i32 s21, 0x7f
	s_cbranch_execnz .LBB342_22
.LBB342_21:
	ds_read2_b64 v[2:5], v10 offset1:1
	ds_read2_b64 v[14:17], v13 offset1:1
	v_ashrrev_i32_e32 v7, 31, v6
	v_lshlrev_b64 v[22:23], 4, v[6:7]
	v_lshl_add_u64 v[18:19], s[12:13], 0, v[22:23]
	s_waitcnt lgkmcnt(1)
	global_store_dwordx4 v[18:19], v[2:5], off
	ds_read2_b64 v[18:21], v12 offset1:1
	v_lshl_add_u64 v[12:13], s[14:15], 0, v[22:23]
	v_add_u32_e32 v2, s20, v6
	v_mov_b32_e32 v3, 0
	v_lshlrev_b64 v[6:7], 4, v[2:3]
	ds_read2_b64 v[2:5], v1 offset1:1
	v_lshl_add_u64 v[24:25], s[12:13], 0, v[6:7]
	s_mov_b32 s21, s20
	s_waitcnt lgkmcnt(2)
	global_store_dwordx4 v[24:25], v[14:17], off
	s_waitcnt lgkmcnt(0)
	global_store_dwordx4 v[12:13], v[2:5], off
	s_nop 1
	v_lshl_add_u64 v[2:3], s[14:15], 0, v[6:7]
	global_store_dwordx4 v[2:3], v[18:21], off
.LBB342_22:
	ds_read2_b64 v[2:5], v9 offset1:1
	ds_read2_b64 v[10:13], v11 offset1:1
	v_ashrrev_i32_e32 v9, 31, v8
	v_add_u32_e32 v6, s21, v8
	v_lshl_add_u64 v[8:9], v[8:9], 4, s[16:17]
	v_mov_b32_e32 v7, 0
	s_waitcnt lgkmcnt(1)
	global_store_dwordx4 v[8:9], v[2:5], off
	s_nop 1
	v_lshl_add_u64 v[2:3], v[6:7], 4, s[16:17]
	s_waitcnt lgkmcnt(0)
	global_store_dwordx4 v[2:3], v[10:13], off
	s_or_b64 exec, exec, s[18:19]
	v_cmp_eq_u32_e32 vcc, 0, v0
	s_and_saveexec_b64 s[4:5], vcc
	s_cbranch_execz .LBB342_18
.LBB342_23:
	s_cmp_eq_u32 s3, 0
	s_cbranch_scc1 .LBB342_28
; %bb.24:
	s_load_dword s12, s[0:1], 0x50
	s_cbranch_execnz .LBB342_26
.LBB342_25:
	v_mov_b32_e32 v8, 0
	ds_read_b128 v[0:3], v8 offset:8192
	ds_read_b128 v[4:7], v8 offset:16368
	s_waitcnt lgkmcnt(0)
	s_load_dword s12, s[0:1], 0x50
	s_mov_b32 s4, s3
	s_ashr_i32 s3, s2, 31
	s_lshl_b64 s[14:15], s[2:3], 4
	s_add_u32 s0, s10, s14
	s_addc_u32 s1, s11, s15
	global_store_dwordx4 v8, v[0:3], s[0:1]
	s_waitcnt lgkmcnt(0)
	s_add_i32 s0, s12, s2
	s_mov_b32 s1, 0
	s_lshl_b64 s[0:1], s[0:1], 4
	s_mov_b32 s3, s4
	s_add_u32 s4, s10, s0
	s_addc_u32 s5, s11, s1
	ds_read_b128 v[0:3], v8
	global_store_dwordx4 v8, v[4:7], s[4:5]
	ds_read_b128 v[4:7], v8 offset:8176
	s_add_u32 s4, s6, s14
	s_addc_u32 s5, s7, s15
	s_add_u32 s0, s6, s0
	s_addc_u32 s1, s7, s1
	s_waitcnt lgkmcnt(1)
	global_store_dwordx4 v8, v[0:3], s[4:5]
	s_waitcnt lgkmcnt(0)
	global_store_dwordx4 v8, v[4:7], s[0:1]
.LBB342_26:
	s_waitcnt lgkmcnt(0)
	s_mul_i32 s0, s12, s3
	s_lshl_b32 s0, s0, 1
	s_add_i32 s0, s0, s2
	s_mov_b32 s1, 0
	v_mov_b32_e32 v8, 0
	s_lshl_b64 s[2:3], s[0:1], 4
	ds_read_b128 v[0:3], v8 offset:16384
	ds_read_b128 v[4:7], v8 offset:24560
	s_add_u32 s2, s8, s2
	s_addc_u32 s3, s9, s3
	s_add_i32 s0, s0, s12
	s_lshl_b64 s[0:1], s[0:1], 4
	s_add_u32 s0, s8, s0
	s_addc_u32 s1, s9, s1
	s_waitcnt lgkmcnt(1)
	global_store_dwordx4 v8, v[0:3], s[2:3]
	s_waitcnt lgkmcnt(0)
	global_store_dwordx4 v8, v[4:7], s[0:1]
	s_endpgm
.LBB342_27:
                                        ; implicit-def: $sgpr21
	s_branch .LBB342_21
.LBB342_28:
                                        ; implicit-def: $sgpr12
	s_branch .LBB342_25
	.section	.rodata,"a",@progbits
	.p2align	6, 0x0
	.amdhsa_kernel _ZN9rocsparseL29gtsv_spike_block_level_kernelILj256ELj128E21rocsparse_complex_numIdEEEviiiPT1_PKS3_S6_S4_S4_S4_S4_S4_
		.amdhsa_group_segment_fixed_size 24576
		.amdhsa_private_segment_fixed_size 0
		.amdhsa_kernarg_size 336
		.amdhsa_user_sgpr_count 2
		.amdhsa_user_sgpr_dispatch_ptr 0
		.amdhsa_user_sgpr_queue_ptr 0
		.amdhsa_user_sgpr_kernarg_segment_ptr 1
		.amdhsa_user_sgpr_dispatch_id 0
		.amdhsa_user_sgpr_kernarg_preload_length 0
		.amdhsa_user_sgpr_kernarg_preload_offset 0
		.amdhsa_user_sgpr_private_segment_size 0
		.amdhsa_uses_dynamic_stack 0
		.amdhsa_enable_private_segment 0
		.amdhsa_system_sgpr_workgroup_id_x 1
		.amdhsa_system_sgpr_workgroup_id_y 1
		.amdhsa_system_sgpr_workgroup_id_z 0
		.amdhsa_system_sgpr_workgroup_info 0
		.amdhsa_system_vgpr_workitem_id 0
		.amdhsa_next_free_vgpr 73
		.amdhsa_next_free_sgpr 91
		.amdhsa_accum_offset 48
		.amdhsa_reserve_vcc 1
		.amdhsa_float_round_mode_32 0
		.amdhsa_float_round_mode_16_64 0
		.amdhsa_float_denorm_mode_32 3
		.amdhsa_float_denorm_mode_16_64 3
		.amdhsa_dx10_clamp 1
		.amdhsa_ieee_mode 1
		.amdhsa_fp16_overflow 0
		.amdhsa_tg_split 0
		.amdhsa_exception_fp_ieee_invalid_op 0
		.amdhsa_exception_fp_denorm_src 0
		.amdhsa_exception_fp_ieee_div_zero 0
		.amdhsa_exception_fp_ieee_overflow 0
		.amdhsa_exception_fp_ieee_underflow 0
		.amdhsa_exception_fp_ieee_inexact 0
		.amdhsa_exception_int_div_zero 0
	.end_amdhsa_kernel
	.section	.text._ZN9rocsparseL29gtsv_spike_block_level_kernelILj256ELj128E21rocsparse_complex_numIdEEEviiiPT1_PKS3_S6_S4_S4_S4_S4_S4_,"axG",@progbits,_ZN9rocsparseL29gtsv_spike_block_level_kernelILj256ELj128E21rocsparse_complex_numIdEEEviiiPT1_PKS3_S6_S4_S4_S4_S4_S4_,comdat
.Lfunc_end342:
	.size	_ZN9rocsparseL29gtsv_spike_block_level_kernelILj256ELj128E21rocsparse_complex_numIdEEEviiiPT1_PKS3_S6_S4_S4_S4_S4_S4_, .Lfunc_end342-_ZN9rocsparseL29gtsv_spike_block_level_kernelILj256ELj128E21rocsparse_complex_numIdEEEviiiPT1_PKS3_S6_S4_S4_S4_S4_S4_
                                        ; -- End function
	.set _ZN9rocsparseL29gtsv_spike_block_level_kernelILj256ELj128E21rocsparse_complex_numIdEEEviiiPT1_PKS3_S6_S4_S4_S4_S4_S4_.num_vgpr, 48
	.set _ZN9rocsparseL29gtsv_spike_block_level_kernelILj256ELj128E21rocsparse_complex_numIdEEEviiiPT1_PKS3_S6_S4_S4_S4_S4_S4_.num_agpr, 0
	.set _ZN9rocsparseL29gtsv_spike_block_level_kernelILj256ELj128E21rocsparse_complex_numIdEEEviiiPT1_PKS3_S6_S4_S4_S4_S4_S4_.numbered_sgpr, 26
	.set _ZN9rocsparseL29gtsv_spike_block_level_kernelILj256ELj128E21rocsparse_complex_numIdEEEviiiPT1_PKS3_S6_S4_S4_S4_S4_S4_.num_named_barrier, 0
	.set _ZN9rocsparseL29gtsv_spike_block_level_kernelILj256ELj128E21rocsparse_complex_numIdEEEviiiPT1_PKS3_S6_S4_S4_S4_S4_S4_.private_seg_size, 0
	.set _ZN9rocsparseL29gtsv_spike_block_level_kernelILj256ELj128E21rocsparse_complex_numIdEEEviiiPT1_PKS3_S6_S4_S4_S4_S4_S4_.uses_vcc, 1
	.set _ZN9rocsparseL29gtsv_spike_block_level_kernelILj256ELj128E21rocsparse_complex_numIdEEEviiiPT1_PKS3_S6_S4_S4_S4_S4_S4_.uses_flat_scratch, 0
	.set _ZN9rocsparseL29gtsv_spike_block_level_kernelILj256ELj128E21rocsparse_complex_numIdEEEviiiPT1_PKS3_S6_S4_S4_S4_S4_S4_.has_dyn_sized_stack, 0
	.set _ZN9rocsparseL29gtsv_spike_block_level_kernelILj256ELj128E21rocsparse_complex_numIdEEEviiiPT1_PKS3_S6_S4_S4_S4_S4_S4_.has_recursion, 0
	.set _ZN9rocsparseL29gtsv_spike_block_level_kernelILj256ELj128E21rocsparse_complex_numIdEEEviiiPT1_PKS3_S6_S4_S4_S4_S4_S4_.has_indirect_call, 0
	.section	.AMDGPU.csdata,"",@progbits
; Kernel info:
; codeLenInByte = 2104
; TotalNumSgprs: 32
; NumVgprs: 48
; NumAgprs: 0
; TotalNumVgprs: 48
; ScratchSize: 0
; MemoryBound: 1
; FloatMode: 240
; IeeeMode: 1
; LDSByteSize: 24576 bytes/workgroup (compile time only)
; SGPRBlocks: 12
; VGPRBlocks: 9
; NumSGPRsForWavesPerEU: 97
; NumVGPRsForWavesPerEU: 73
; AccumOffset: 48
; Occupancy: 6
; WaveLimiterHint : 0
; COMPUTE_PGM_RSRC2:SCRATCH_EN: 0
; COMPUTE_PGM_RSRC2:USER_SGPR: 2
; COMPUTE_PGM_RSRC2:TRAP_HANDLER: 0
; COMPUTE_PGM_RSRC2:TGID_X_EN: 1
; COMPUTE_PGM_RSRC2:TGID_Y_EN: 1
; COMPUTE_PGM_RSRC2:TGID_Z_EN: 0
; COMPUTE_PGM_RSRC2:TIDIG_COMP_CNT: 0
; COMPUTE_PGM_RSRC3_GFX90A:ACCUM_OFFSET: 11
; COMPUTE_PGM_RSRC3_GFX90A:TG_SPLIT: 0
	.section	.text._ZN9rocsparseL33gtsv_solve_spike_propagate_kernelILj256ELj128E21rocsparse_complex_numIdEEEviiiPT1_PKS3_S6_S6_,"axG",@progbits,_ZN9rocsparseL33gtsv_solve_spike_propagate_kernelILj256ELj128E21rocsparse_complex_numIdEEEviiiPT1_PKS3_S6_S6_,comdat
	.globl	_ZN9rocsparseL33gtsv_solve_spike_propagate_kernelILj256ELj128E21rocsparse_complex_numIdEEEviiiPT1_PKS3_S6_S6_ ; -- Begin function _ZN9rocsparseL33gtsv_solve_spike_propagate_kernelILj256ELj128E21rocsparse_complex_numIdEEEviiiPT1_PKS3_S6_S6_
	.p2align	8
	.type	_ZN9rocsparseL33gtsv_solve_spike_propagate_kernelILj256ELj128E21rocsparse_complex_numIdEEEviiiPT1_PKS3_S6_S6_,@function
_ZN9rocsparseL33gtsv_solve_spike_propagate_kernelILj256ELj128E21rocsparse_complex_numIdEEEviiiPT1_PKS3_S6_S6_: ; @_ZN9rocsparseL33gtsv_solve_spike_propagate_kernelILj256ELj128E21rocsparse_complex_numIdEEEviiiPT1_PKS3_S6_S6_
; %bb.0:
	s_load_dword s8, s[0:1], 0x0
	v_lshl_or_b32 v2, s2, 8, v0
	v_lshlrev_b32_e32 v4, 4, v0
	s_waitcnt lgkmcnt(0)
	s_lshr_b32 s20, s8, 7
	v_cmp_gt_i32_e32 vcc, s20, v2
	v_cmp_le_i32_e64 s[4:5], s20, v2
	s_and_saveexec_b64 s[6:7], s[4:5]
	s_xor_b64 s[6:7], exec, s[6:7]
; %bb.1:
	v_mov_b32_e32 v6, 0
	v_mov_b32_e32 v7, v6
	;; [unrolled: 1-line block ×4, first 2 shown]
	ds_write_b128 v4, v[6:9] offset:16416
; %bb.2:
	s_or_saveexec_b64 s[6:7], s[6:7]
	v_mov_b64_e32 v[6:7], 0
	v_ashrrev_i32_e32 v3, 31, v2
	s_mulk_i32 s20, 0x7f
	v_mov_b64_e32 v[8:9], 0
	s_xor_b64 exec, exec, s[6:7]
	s_cbranch_execz .LBB343_4
; %bb.3:
	s_load_dwordx2 s[10:11], s[0:1], 0x18
	v_add_u32_e32 v6, s20, v2
	v_mov_b32_e32 v7, 0
	s_waitcnt lgkmcnt(0)
	v_lshl_add_u64 v[14:15], v[2:3], 4, s[10:11]
	v_lshl_add_u64 v[16:17], v[6:7], 4, s[10:11]
	global_load_dwordx4 v[10:13], v[14:15], off
	global_load_dwordx4 v[6:9], v[16:17], off
	s_waitcnt vmcnt(1)
	ds_write_b128 v4, v[10:13] offset:16416
.LBB343_4:
	s_or_b64 exec, exec, s[6:7]
	s_waitcnt vmcnt(0)
	ds_write_b128 v4, v[6:9] offset:20512
	s_and_saveexec_b64 s[6:7], s[4:5]
	s_xor_b64 s[4:5], exec, s[6:7]
; %bb.5:
	v_mov_b32_e32 v6, 0
	v_mov_b32_e32 v7, v6
	;; [unrolled: 1-line block ×4, first 2 shown]
	ds_write_b128 v4, v[6:9] offset:8224
; %bb.6:
	s_or_saveexec_b64 s[4:5], s[4:5]
	s_load_dwordx2 s[6:7], s[0:1], 0x10
	v_mov_b64_e32 v[8:9], 0
	v_mov_b64_e32 v[10:11], 0
	;; [unrolled: 1-line block ×3, first 2 shown]
	s_xor_b64 exec, exec, s[4:5]
	s_cbranch_execz .LBB343_8
; %bb.7:
	s_load_dwordx2 s[10:11], s[0:1], 0x20
	v_add_u32_e32 v6, s20, v2
	v_mov_b32_e32 v7, 0
	s_waitcnt lgkmcnt(0)
	v_lshl_add_u64 v[18:19], v[2:3], 4, s[10:11]
	v_lshl_add_u64 v[6:7], v[6:7], 4, s[10:11]
	global_load_dwordx4 v[14:17], v[18:19], off
	global_load_dwordx4 v[10:13], v[6:7], off
	s_waitcnt vmcnt(1)
	ds_write_b128 v4, v[14:17] offset:8224
.LBB343_8:
	s_or_b64 exec, exec, s[4:5]
	s_mul_i32 s8, s8, s3
	v_mov_b64_e32 v[6:7], 0
	s_waitcnt vmcnt(0)
	ds_write_b128 v4, v[10:13] offset:12320
	s_and_saveexec_b64 s[4:5], vcc
	s_cbranch_execz .LBB343_10
; %bb.9:
	s_add_i32 s9, s20, s8
	v_add_u32_e32 v6, s9, v2
	v_mov_b32_e32 v7, 0
	s_waitcnt lgkmcnt(0)
	v_lshl_add_u64 v[6:7], v[6:7], 4, s[6:7]
	global_load_dwordx4 v[6:9], v[6:7], off
.LBB343_10:
	s_or_b64 exec, exec, s[4:5]
	s_waitcnt vmcnt(0)
	ds_write_b128 v4, v[6:9] offset:16
	v_mov_b64_e32 v[8:9], 0
	v_add_u32_e32 v2, s8, v2
	v_mov_b64_e32 v[6:7], 0
	s_and_saveexec_b64 s[4:5], vcc
	s_cbranch_execz .LBB343_12
; %bb.11:
	v_ashrrev_i32_e32 v3, 31, v2
	s_waitcnt lgkmcnt(0)
	v_lshl_add_u64 v[6:7], v[2:3], 4, s[6:7]
	global_load_dwordx4 v[6:9], v[6:7], off
.LBB343_12:
	s_or_b64 exec, exec, s[4:5]
	v_cmp_eq_u32_e64 s[4:5], 0, v0
	s_waitcnt vmcnt(0)
	ds_write_b128 v4, v[6:9] offset:4112
	s_waitcnt lgkmcnt(0)
	s_barrier
	s_and_saveexec_b64 s[16:17], s[4:5]
	s_cbranch_execz .LBB343_18
; %bb.13:
	s_load_dword s21, s[0:1], 0x30
	s_load_dwordx2 s[18:19], s[0:1], 0x28
	s_cmp_lt_i32 s2, 1
	s_mov_b64 s[10:11], 0
	s_mov_b64 s[14:15], 0
	s_waitcnt lgkmcnt(0)
	s_mul_i32 s3, s3, s21
	s_mov_b64 s[12:13], 0
	s_cbranch_scc1 .LBB343_15
; %bb.14:
	s_lshl_b32 s0, s3, 1
	s_add_i32 s1, s2, s21
	s_add_i32 s0, s1, s0
	s_add_i32 s0, s0, -1
	s_mov_b32 s1, 0
	s_lshl_b64 s[0:1], s[0:1], 4
	s_add_u32 s0, s18, s0
	s_addc_u32 s1, s19, s1
	s_load_dwordx4 s[12:15], s[0:1], 0x0
.LBB343_15:
	s_add_i32 s0, s21, -1
	s_waitcnt lgkmcnt(0)
	v_mov_b32_e32 v6, s12
	v_mov_b32_e32 v7, s13
	;; [unrolled: 1-line block ×5, first 2 shown]
	s_cmp_ge_u32 s2, s0
	s_mov_b64 s[8:9], 0
	ds_write_b128 v1, v[6:9]
	s_cbranch_scc1 .LBB343_17
; %bb.16:
	s_lshl_b32 s0, s3, 1
	s_add_i32 s0, s2, s0
	s_add_i32 s0, s0, 1
	s_mov_b32 s1, 0
	s_lshl_b64 s[0:1], s[0:1], 4
	s_add_u32 s0, s18, s0
	s_addc_u32 s1, s19, s1
	s_load_dwordx4 s[8:11], s[0:1], 0x0
.LBB343_17:
	s_lshl_b32 s0, s3, 1
	s_add_i32 s0, s0, s2
	s_mov_b32 s1, 0
	s_lshl_b64 s[2:3], s[0:1], 4
	s_add_u32 s2, s18, s2
	s_addc_u32 s3, s19, s3
	s_add_i32 s0, s0, s21
	s_lshl_b64 s[0:1], s[0:1], 4
	s_add_u32 s0, s18, s0
	s_addc_u32 s1, s19, s1
	global_load_dwordx4 v[6:9], v1, s[2:3]
	global_load_dwordx4 v[10:13], v1, s[0:1]
	s_waitcnt lgkmcnt(0)
	v_mov_b32_e32 v14, s8
	v_mov_b32_e32 v15, s9
	;; [unrolled: 1-line block ×4, first 2 shown]
	ds_write_b128 v1, v[14:17] offset:8208
	s_waitcnt vmcnt(1)
	ds_write_b128 v1, v[6:9] offset:4112
	s_waitcnt vmcnt(0)
	ds_write_b128 v1, v[10:13] offset:4096
.LBB343_18:
	s_or_b64 exec, exec, s[16:17]
	v_add_u32_e32 v1, 16, v4
	v_add_u32_e32 v3, 0x1010, v4
	s_waitcnt lgkmcnt(0)
	s_barrier
	s_and_saveexec_b64 s[0:1], s[4:5]
	s_cbranch_execz .LBB343_20
; %bb.19:
	v_mov_b32_e32 v34, 0
	ds_read_b128 v[4:7], v34 offset:8208
	ds_read_b128 v[8:11], v34 offset:14352
	ds_read_b128 v[12:15], v34 offset:2048
	ds_read_b128 v[16:19], v34 offset:10272
	ds_read_b128 v[20:23], v34 offset:6160
	ds_read_b128 v[24:27], v34
	ds_read_b128 v[28:31], v34 offset:22544
	s_waitcnt lgkmcnt(5)
	v_mul_f64 v[32:33], v[6:7], -v[10:11]
	v_fmac_f64_e32 v[32:33], v[8:9], v[4:5]
	v_mul_f64 v[8:9], v[6:7], v[8:9]
	v_fmac_f64_e32 v[8:9], v[10:11], v[4:5]
	s_waitcnt lgkmcnt(4)
	v_add_f64 v[12:13], v[12:13], -v[32:33]
	s_waitcnt lgkmcnt(0)
	v_mul_f64 v[32:33], v[26:27], -v[30:31]
	v_add_f64 v[14:15], v[14:15], -v[8:9]
	ds_read_b128 v[8:11], v34 offset:18464
	v_fmac_f64_e32 v[32:33], v[28:29], v[24:25]
	v_mul_f64 v[28:29], v[26:27], v[28:29]
	v_fmac_f64_e32 v[28:29], v[30:31], v[24:25]
	v_add_f64 v[12:13], v[12:13], -v[32:33]
	v_add_f64 v[14:15], v[14:15], -v[28:29]
	ds_write_b128 v34, v[12:15] offset:2048
	v_mul_f64 v[12:13], v[6:7], -v[18:19]
	v_fmac_f64_e32 v[12:13], v[16:17], v[4:5]
	v_mul_f64 v[6:7], v[6:7], v[16:17]
	v_fmac_f64_e32 v[6:7], v[18:19], v[4:5]
	v_add_f64 v[4:5], v[20:21], -v[12:13]
	s_waitcnt lgkmcnt(1)
	v_mul_f64 v[12:13], v[26:27], -v[10:11]
	v_fmac_f64_e32 v[12:13], v[8:9], v[24:25]
	v_mul_f64 v[8:9], v[26:27], v[8:9]
	v_add_f64 v[6:7], v[22:23], -v[6:7]
	v_fmac_f64_e32 v[8:9], v[10:11], v[24:25]
	v_add_f64 v[4:5], v[4:5], -v[12:13]
	v_add_f64 v[6:7], v[6:7], -v[8:9]
	ds_write_b128 v34, v[4:7] offset:6160
.LBB343_20:
	s_or_b64 exec, exec, s[0:1]
	v_cmp_gt_u32_e64 s[0:1], 2, v0
	s_waitcnt lgkmcnt(0)
	s_barrier
	s_and_saveexec_b64 s[2:3], s[0:1]
	s_cbranch_execz .LBB343_22
; %bb.21:
	v_lshlrev_b32_e32 v34, 11, v0
	ds_read_b128 v[4:7], v34 offset:6160
	ds_read_b128 v[8:11], v34 offset:13328
	ds_read_b128 v[12:15], v34 offset:1024
	ds_read_b128 v[16:19], v34 offset:9248
	ds_read_b128 v[20:23], v34 offset:5136
	ds_read_b128 v[24:27], v34
	ds_read_b128 v[28:31], v34 offset:21520
	s_waitcnt lgkmcnt(5)
	v_mul_f64 v[32:33], v[6:7], -v[10:11]
	v_fmac_f64_e32 v[32:33], v[8:9], v[4:5]
	v_mul_f64 v[8:9], v[6:7], v[8:9]
	v_fmac_f64_e32 v[8:9], v[10:11], v[4:5]
	s_waitcnt lgkmcnt(4)
	v_add_f64 v[12:13], v[12:13], -v[32:33]
	s_waitcnt lgkmcnt(0)
	v_mul_f64 v[32:33], v[26:27], -v[30:31]
	v_add_f64 v[14:15], v[14:15], -v[8:9]
	ds_read_b128 v[8:11], v34 offset:17440
	v_fmac_f64_e32 v[32:33], v[28:29], v[24:25]
	v_mul_f64 v[28:29], v[26:27], v[28:29]
	v_fmac_f64_e32 v[28:29], v[30:31], v[24:25]
	v_add_f64 v[12:13], v[12:13], -v[32:33]
	v_add_f64 v[14:15], v[14:15], -v[28:29]
	ds_write_b128 v34, v[12:15] offset:1024
	v_mul_f64 v[12:13], v[6:7], -v[18:19]
	v_fmac_f64_e32 v[12:13], v[16:17], v[4:5]
	v_mul_f64 v[6:7], v[6:7], v[16:17]
	v_fmac_f64_e32 v[6:7], v[18:19], v[4:5]
	v_add_f64 v[4:5], v[20:21], -v[12:13]
	s_waitcnt lgkmcnt(1)
	v_mul_f64 v[12:13], v[26:27], -v[10:11]
	v_fmac_f64_e32 v[12:13], v[8:9], v[24:25]
	v_mul_f64 v[8:9], v[26:27], v[8:9]
	v_add_f64 v[6:7], v[22:23], -v[6:7]
	v_fmac_f64_e32 v[8:9], v[10:11], v[24:25]
	v_add_f64 v[4:5], v[4:5], -v[12:13]
	v_add_f64 v[6:7], v[6:7], -v[8:9]
	ds_write_b128 v34, v[4:7] offset:5136
.LBB343_22:
	s_or_b64 exec, exec, s[2:3]
	v_cmp_gt_u32_e64 s[0:1], 4, v0
	s_waitcnt lgkmcnt(0)
	s_barrier
	s_and_saveexec_b64 s[2:3], s[0:1]
	s_cbranch_execz .LBB343_24
; %bb.23:
	v_lshlrev_b32_e32 v34, 10, v0
	ds_read_b128 v[4:7], v34 offset:5136
	ds_read_b128 v[8:11], v34 offset:12816
	ds_read_b128 v[12:15], v34 offset:512
	ds_read_b128 v[16:19], v34 offset:8736
	ds_read_b128 v[20:23], v34 offset:4624
	ds_read_b128 v[24:27], v34
	ds_read_b128 v[28:31], v34 offset:21008
	s_waitcnt lgkmcnt(5)
	v_mul_f64 v[32:33], v[6:7], -v[10:11]
	v_fmac_f64_e32 v[32:33], v[8:9], v[4:5]
	v_mul_f64 v[8:9], v[6:7], v[8:9]
	v_fmac_f64_e32 v[8:9], v[10:11], v[4:5]
	s_waitcnt lgkmcnt(4)
	v_add_f64 v[12:13], v[12:13], -v[32:33]
	s_waitcnt lgkmcnt(0)
	v_mul_f64 v[32:33], v[26:27], -v[30:31]
	v_add_f64 v[14:15], v[14:15], -v[8:9]
	ds_read_b128 v[8:11], v34 offset:16928
	v_fmac_f64_e32 v[32:33], v[28:29], v[24:25]
	v_mul_f64 v[28:29], v[26:27], v[28:29]
	v_fmac_f64_e32 v[28:29], v[30:31], v[24:25]
	v_add_f64 v[12:13], v[12:13], -v[32:33]
	v_add_f64 v[14:15], v[14:15], -v[28:29]
	ds_write_b128 v34, v[12:15] offset:512
	v_mul_f64 v[12:13], v[6:7], -v[18:19]
	v_fmac_f64_e32 v[12:13], v[16:17], v[4:5]
	v_mul_f64 v[6:7], v[6:7], v[16:17]
	v_fmac_f64_e32 v[6:7], v[18:19], v[4:5]
	v_add_f64 v[4:5], v[20:21], -v[12:13]
	s_waitcnt lgkmcnt(1)
	v_mul_f64 v[12:13], v[26:27], -v[10:11]
	v_fmac_f64_e32 v[12:13], v[8:9], v[24:25]
	v_mul_f64 v[8:9], v[26:27], v[8:9]
	v_add_f64 v[6:7], v[22:23], -v[6:7]
	v_fmac_f64_e32 v[8:9], v[10:11], v[24:25]
	v_add_f64 v[4:5], v[4:5], -v[12:13]
	v_add_f64 v[6:7], v[6:7], -v[8:9]
	ds_write_b128 v34, v[4:7] offset:4624
.LBB343_24:
	;; [unrolled: 47-line block ×5, first 2 shown]
	s_or_b64 exec, exec, s[2:3]
	v_cmp_gt_u32_e64 s[0:1], 64, v0
	s_waitcnt lgkmcnt(0)
	s_barrier
	s_and_saveexec_b64 s[2:3], s[0:1]
	s_cbranch_execz .LBB343_32
; %bb.31:
	v_lshlrev_b32_e32 v34, 6, v0
	ds_read_b128 v[4:7], v34 offset:4176
	ds_read_b128 v[8:11], v34 offset:12336
	ds_read_b128 v[12:15], v34 offset:8256
	ds_read_b128 v[16:19], v34 offset:4144
	ds_read_b128 v[20:23], v34
	ds_read_b128 v[24:27], v34 offset:32
	ds_read_b128 v[28:31], v34 offset:20528
	s_waitcnt lgkmcnt(5)
	v_mul_f64 v[32:33], v[6:7], -v[10:11]
	v_fmac_f64_e32 v[32:33], v[8:9], v[4:5]
	v_mul_f64 v[8:9], v[6:7], v[8:9]
	v_fmac_f64_e32 v[8:9], v[10:11], v[4:5]
	s_waitcnt lgkmcnt(1)
	v_add_f64 v[24:25], v[24:25], -v[32:33]
	v_add_f64 v[26:27], v[26:27], -v[8:9]
	ds_read_b128 v[8:11], v34 offset:16448
	s_waitcnt lgkmcnt(1)
	v_mul_f64 v[32:33], v[22:23], -v[30:31]
	v_fmac_f64_e32 v[32:33], v[28:29], v[20:21]
	v_mul_f64 v[28:29], v[22:23], v[28:29]
	v_fmac_f64_e32 v[28:29], v[30:31], v[20:21]
	v_add_f64 v[24:25], v[24:25], -v[32:33]
	v_add_f64 v[26:27], v[26:27], -v[28:29]
	ds_write_b128 v34, v[24:27] offset:32
	v_mul_f64 v[24:25], v[6:7], -v[14:15]
	v_fmac_f64_e32 v[24:25], v[12:13], v[4:5]
	v_mul_f64 v[6:7], v[6:7], v[12:13]
	s_waitcnt lgkmcnt(1)
	v_mul_f64 v[12:13], v[22:23], -v[10:11]
	v_fmac_f64_e32 v[6:7], v[14:15], v[4:5]
	v_fmac_f64_e32 v[12:13], v[8:9], v[20:21]
	v_mul_f64 v[8:9], v[22:23], v[8:9]
	v_add_f64 v[4:5], v[16:17], -v[24:25]
	v_add_f64 v[6:7], v[18:19], -v[6:7]
	v_fmac_f64_e32 v[8:9], v[10:11], v[20:21]
	v_add_f64 v[4:5], v[4:5], -v[12:13]
	v_add_f64 v[6:7], v[6:7], -v[8:9]
	ds_write_b128 v34, v[4:7] offset:4144
.LBB343_32:
	s_or_b64 exec, exec, s[2:3]
	s_movk_i32 s0, 0x80
	v_cmp_gt_u32_e64 s[0:1], s0, v0
	s_waitcnt lgkmcnt(0)
	s_barrier
	s_and_saveexec_b64 s[2:3], s[0:1]
	s_cbranch_execz .LBB343_34
; %bb.33:
	v_lshlrev_b32_e32 v0, 5, v0
	ds_read_b128 v[4:7], v0 offset:4144
	ds_read_b128 v[8:11], v0 offset:12320
	;; [unrolled: 1-line block ×4, first 2 shown]
	ds_read_b128 v[20:23], v0
	ds_read_b128 v[24:27], v0 offset:16
	ds_read_b128 v[28:31], v0 offset:20512
	s_waitcnt lgkmcnt(5)
	v_mul_f64 v[32:33], v[6:7], -v[10:11]
	v_fmac_f64_e32 v[32:33], v[8:9], v[4:5]
	v_mul_f64 v[8:9], v[6:7], v[8:9]
	v_fmac_f64_e32 v[8:9], v[10:11], v[4:5]
	s_waitcnt lgkmcnt(1)
	v_add_f64 v[24:25], v[24:25], -v[32:33]
	v_add_f64 v[26:27], v[26:27], -v[8:9]
	ds_read_b128 v[8:11], v0 offset:16432
	s_waitcnt lgkmcnt(1)
	v_mul_f64 v[32:33], v[22:23], -v[30:31]
	v_fmac_f64_e32 v[32:33], v[28:29], v[20:21]
	v_mul_f64 v[28:29], v[22:23], v[28:29]
	v_fmac_f64_e32 v[28:29], v[30:31], v[20:21]
	v_add_f64 v[24:25], v[24:25], -v[32:33]
	v_add_f64 v[26:27], v[26:27], -v[28:29]
	ds_write_b128 v0, v[24:27] offset:16
	v_mul_f64 v[24:25], v[6:7], -v[14:15]
	v_fmac_f64_e32 v[24:25], v[12:13], v[4:5]
	v_mul_f64 v[6:7], v[6:7], v[12:13]
	s_waitcnt lgkmcnt(1)
	v_mul_f64 v[12:13], v[22:23], -v[10:11]
	v_fmac_f64_e32 v[6:7], v[14:15], v[4:5]
	v_fmac_f64_e32 v[12:13], v[8:9], v[20:21]
	v_mul_f64 v[8:9], v[22:23], v[8:9]
	v_add_f64 v[4:5], v[16:17], -v[24:25]
	v_add_f64 v[6:7], v[18:19], -v[6:7]
	v_fmac_f64_e32 v[8:9], v[10:11], v[20:21]
	v_add_f64 v[4:5], v[4:5], -v[12:13]
	v_add_f64 v[6:7], v[6:7], -v[8:9]
	ds_write_b128 v0, v[4:7] offset:4128
.LBB343_34:
	s_or_b64 exec, exec, s[2:3]
	s_waitcnt lgkmcnt(0)
	s_barrier
	s_and_saveexec_b64 s[0:1], vcc
	s_cbranch_execz .LBB343_36
; %bb.35:
	ds_read2_b64 v[4:7], v3 offset1:1
	ds_read2_b64 v[8:11], v1 offset1:1
	v_ashrrev_i32_e32 v3, 31, v2
	v_add_u32_e32 v0, s20, v2
	v_mov_b32_e32 v1, 0
	v_lshl_add_u64 v[2:3], v[2:3], 4, s[6:7]
	v_lshl_add_u64 v[0:1], v[0:1], 4, s[6:7]
	s_waitcnt lgkmcnt(1)
	global_store_dwordx4 v[2:3], v[4:7], off
	s_waitcnt lgkmcnt(0)
	global_store_dwordx4 v[0:1], v[8:11], off
.LBB343_36:
	s_endpgm
	.section	.rodata,"a",@progbits
	.p2align	6, 0x0
	.amdhsa_kernel _ZN9rocsparseL33gtsv_solve_spike_propagate_kernelILj256ELj128E21rocsparse_complex_numIdEEEviiiPT1_PKS3_S6_S6_
		.amdhsa_group_segment_fixed_size 24608
		.amdhsa_private_segment_fixed_size 0
		.amdhsa_kernarg_size 304
		.amdhsa_user_sgpr_count 2
		.amdhsa_user_sgpr_dispatch_ptr 0
		.amdhsa_user_sgpr_queue_ptr 0
		.amdhsa_user_sgpr_kernarg_segment_ptr 1
		.amdhsa_user_sgpr_dispatch_id 0
		.amdhsa_user_sgpr_kernarg_preload_length 0
		.amdhsa_user_sgpr_kernarg_preload_offset 0
		.amdhsa_user_sgpr_private_segment_size 0
		.amdhsa_uses_dynamic_stack 0
		.amdhsa_enable_private_segment 0
		.amdhsa_system_sgpr_workgroup_id_x 1
		.amdhsa_system_sgpr_workgroup_id_y 1
		.amdhsa_system_sgpr_workgroup_id_z 0
		.amdhsa_system_sgpr_workgroup_info 0
		.amdhsa_system_vgpr_workitem_id 0
		.amdhsa_next_free_vgpr 73
		.amdhsa_next_free_sgpr 91
		.amdhsa_accum_offset 36
		.amdhsa_reserve_vcc 1
		.amdhsa_float_round_mode_32 0
		.amdhsa_float_round_mode_16_64 0
		.amdhsa_float_denorm_mode_32 3
		.amdhsa_float_denorm_mode_16_64 3
		.amdhsa_dx10_clamp 1
		.amdhsa_ieee_mode 1
		.amdhsa_fp16_overflow 0
		.amdhsa_tg_split 0
		.amdhsa_exception_fp_ieee_invalid_op 0
		.amdhsa_exception_fp_denorm_src 0
		.amdhsa_exception_fp_ieee_div_zero 0
		.amdhsa_exception_fp_ieee_overflow 0
		.amdhsa_exception_fp_ieee_underflow 0
		.amdhsa_exception_fp_ieee_inexact 0
		.amdhsa_exception_int_div_zero 0
	.end_amdhsa_kernel
	.section	.text._ZN9rocsparseL33gtsv_solve_spike_propagate_kernelILj256ELj128E21rocsparse_complex_numIdEEEviiiPT1_PKS3_S6_S6_,"axG",@progbits,_ZN9rocsparseL33gtsv_solve_spike_propagate_kernelILj256ELj128E21rocsparse_complex_numIdEEEviiiPT1_PKS3_S6_S6_,comdat
.Lfunc_end343:
	.size	_ZN9rocsparseL33gtsv_solve_spike_propagate_kernelILj256ELj128E21rocsparse_complex_numIdEEEviiiPT1_PKS3_S6_S6_, .Lfunc_end343-_ZN9rocsparseL33gtsv_solve_spike_propagate_kernelILj256ELj128E21rocsparse_complex_numIdEEEviiiPT1_PKS3_S6_S6_
                                        ; -- End function
	.set _ZN9rocsparseL33gtsv_solve_spike_propagate_kernelILj256ELj128E21rocsparse_complex_numIdEEEviiiPT1_PKS3_S6_S6_.num_vgpr, 35
	.set _ZN9rocsparseL33gtsv_solve_spike_propagate_kernelILj256ELj128E21rocsparse_complex_numIdEEEviiiPT1_PKS3_S6_S6_.num_agpr, 0
	.set _ZN9rocsparseL33gtsv_solve_spike_propagate_kernelILj256ELj128E21rocsparse_complex_numIdEEEviiiPT1_PKS3_S6_S6_.numbered_sgpr, 22
	.set _ZN9rocsparseL33gtsv_solve_spike_propagate_kernelILj256ELj128E21rocsparse_complex_numIdEEEviiiPT1_PKS3_S6_S6_.num_named_barrier, 0
	.set _ZN9rocsparseL33gtsv_solve_spike_propagate_kernelILj256ELj128E21rocsparse_complex_numIdEEEviiiPT1_PKS3_S6_S6_.private_seg_size, 0
	.set _ZN9rocsparseL33gtsv_solve_spike_propagate_kernelILj256ELj128E21rocsparse_complex_numIdEEEviiiPT1_PKS3_S6_S6_.uses_vcc, 1
	.set _ZN9rocsparseL33gtsv_solve_spike_propagate_kernelILj256ELj128E21rocsparse_complex_numIdEEEviiiPT1_PKS3_S6_S6_.uses_flat_scratch, 0
	.set _ZN9rocsparseL33gtsv_solve_spike_propagate_kernelILj256ELj128E21rocsparse_complex_numIdEEEviiiPT1_PKS3_S6_S6_.has_dyn_sized_stack, 0
	.set _ZN9rocsparseL33gtsv_solve_spike_propagate_kernelILj256ELj128E21rocsparse_complex_numIdEEEviiiPT1_PKS3_S6_S6_.has_recursion, 0
	.set _ZN9rocsparseL33gtsv_solve_spike_propagate_kernelILj256ELj128E21rocsparse_complex_numIdEEEviiiPT1_PKS3_S6_S6_.has_indirect_call, 0
	.section	.AMDGPU.csdata,"",@progbits
; Kernel info:
; codeLenInByte = 3152
; TotalNumSgprs: 28
; NumVgprs: 35
; NumAgprs: 0
; TotalNumVgprs: 35
; ScratchSize: 0
; MemoryBound: 0
; FloatMode: 240
; IeeeMode: 1
; LDSByteSize: 24608 bytes/workgroup (compile time only)
; SGPRBlocks: 12
; VGPRBlocks: 9
; NumSGPRsForWavesPerEU: 97
; NumVGPRsForWavesPerEU: 73
; AccumOffset: 36
; Occupancy: 6
; WaveLimiterHint : 0
; COMPUTE_PGM_RSRC2:SCRATCH_EN: 0
; COMPUTE_PGM_RSRC2:USER_SGPR: 2
; COMPUTE_PGM_RSRC2:TRAP_HANDLER: 0
; COMPUTE_PGM_RSRC2:TGID_X_EN: 1
; COMPUTE_PGM_RSRC2:TGID_Y_EN: 1
; COMPUTE_PGM_RSRC2:TGID_Z_EN: 0
; COMPUTE_PGM_RSRC2:TIDIG_COMP_CNT: 0
; COMPUTE_PGM_RSRC3_GFX90A:ACCUM_OFFSET: 8
; COMPUTE_PGM_RSRC3_GFX90A:TG_SPLIT: 0
	.section	.text._ZN9rocsparseL39gtsv_spike_backward_substitution_kernelILj256ELj128E21rocsparse_complex_numIdEEEviiiPT1_PKS3_S6_,"axG",@progbits,_ZN9rocsparseL39gtsv_spike_backward_substitution_kernelILj256ELj128E21rocsparse_complex_numIdEEEviiiPT1_PKS3_S6_,comdat
	.globl	_ZN9rocsparseL39gtsv_spike_backward_substitution_kernelILj256ELj128E21rocsparse_complex_numIdEEEviiiPT1_PKS3_S6_ ; -- Begin function _ZN9rocsparseL39gtsv_spike_backward_substitution_kernelILj256ELj128E21rocsparse_complex_numIdEEEviiiPT1_PKS3_S6_
	.p2align	8
	.type	_ZN9rocsparseL39gtsv_spike_backward_substitution_kernelILj256ELj128E21rocsparse_complex_numIdEEEviiiPT1_PKS3_S6_,@function
_ZN9rocsparseL39gtsv_spike_backward_substitution_kernelILj256ELj128E21rocsparse_complex_numIdEEEviiiPT1_PKS3_S6_: ; @_ZN9rocsparseL39gtsv_spike_backward_substitution_kernelILj256ELj128E21rocsparse_complex_numIdEEEviiiPT1_PKS3_S6_
; %bb.0:
	s_load_dword s6, s[0:1], 0x0
	s_lshl_b32 s10, s2, 8
	v_or_b32_e32 v10, s10, v0
	s_waitcnt lgkmcnt(0)
	s_lshr_b32 s11, s6, 7
	v_cmp_gt_i32_e32 vcc, s11, v10
	s_and_saveexec_b64 s[4:5], vcc
	s_cbranch_execz .LBB344_9
; %bb.1:
	s_load_dwordx2 s[8:9], s[0:1], 0x10
	v_cmp_lt_i32_e32 vcc, 0, v10
	v_mov_b64_e32 v[2:3], 0
	s_mul_i32 s2, s6, s3
	v_mov_b64_e32 v[4:5], 0
	s_and_saveexec_b64 s[4:5], vcc
	s_cbranch_execz .LBB344_3
; %bb.2:
	s_mul_i32 s7, s11, 0x7f
	s_mul_i32 s3, s6, s3
	s_add_i32 s7, s7, s3
	v_add3_u32 v2, v10, s7, -1
	v_mov_b32_e32 v3, 0
	s_waitcnt lgkmcnt(0)
	v_lshl_add_u64 v[2:3], v[2:3], 4, s[8:9]
	global_load_dwordx4 v[2:5], v[2:3], off
.LBB344_3:
	s_or_b64 exec, exec, s[4:5]
	v_add_u32_e32 v1, 0x80, v10
	v_cmp_le_u32_e32 vcc, s6, v1
	s_and_saveexec_b64 s[4:5], vcc
	s_xor_b64 s[4:5], exec, s[4:5]
; %bb.4:
                                        ; implicit-def: $vgpr10
; %bb.5:
	s_or_saveexec_b64 s[4:5], s[4:5]
	v_mov_b64_e32 v[6:7], 0
	v_mov_b32_e32 v13, s2
	v_mov_b64_e32 v[8:9], 0
	s_xor_b64 exec, exec, s[4:5]
	s_cbranch_execz .LBB344_7
; %bb.6:
	s_ashr_i32 s3, s2, 31
	v_ashrrev_i32_e32 v11, 31, v10
	v_lshl_add_u64 v[6:7], v[10:11], 0, s[2:3]
	s_waitcnt lgkmcnt(0)
	v_lshl_add_u64 v[6:7], v[6:7], 4, s[8:9]
	global_load_dwordx4 v[6:9], v[6:7], off offset:16
	v_mov_b32_e32 v13, s2
.LBB344_7:
	s_or_b64 exec, exec, s[4:5]
	s_load_dwordx4 s[4:7], s[0:1], 0x18
	s_lshl_b32 s1, s11, 1
	s_mul_i32 s0, s11, 3
	v_add_u32_e32 v11, v0, v13
	v_add_u32_e32 v10, s1, v0
	v_add_u32_e32 v12, s0, v0
	v_add_u32_e32 v0, s11, v0
	v_add_u32_e32 v1, s1, v11
	v_add_u32_e32 v11, s0, v11
	v_add_u32_e32 v13, v0, v13
	s_movk_i32 s1, 0x7e
.LBB344_8:                              ; =>This Inner Loop Header: Depth=1
	s_nop 0
	v_add_u32_e32 v14, s10, v0
	v_ashrrev_i32_e32 v15, 31, v14
	v_add_u32_e32 v16, s10, v13
	v_lshlrev_b64 v[14:15], 4, v[14:15]
	v_ashrrev_i32_e32 v17, 31, v16
	s_waitcnt lgkmcnt(0)
	v_lshl_add_u64 v[26:27], s[4:5], 0, v[14:15]
	v_lshl_add_u64 v[34:35], v[16:17], 4, s[8:9]
	;; [unrolled: 1-line block ×3, first 2 shown]
	global_load_dwordx4 v[14:17], v[26:27], off
	global_load_dwordx4 v[18:21], v[28:29], off
	;; [unrolled: 1-line block ×3, first 2 shown]
	v_add_u32_e32 v26, s10, v10
	v_ashrrev_i32_e32 v27, 31, v26
	v_add_u32_e32 v28, s10, v1
	v_lshlrev_b64 v[26:27], 4, v[26:27]
	v_ashrrev_i32_e32 v29, 31, v28
	v_lshl_add_u64 v[38:39], s[4:5], 0, v[26:27]
	v_lshl_add_u64 v[40:41], s[6:7], 0, v[26:27]
	;; [unrolled: 1-line block ×3, first 2 shown]
	global_load_dwordx4 v[26:29], v[38:39], off
	global_load_dwordx4 v[30:33], v[40:41], off
	s_add_i32 s1, s1, -3
	v_add_u32_e32 v1, s0, v1
	v_add_u32_e32 v10, s0, v10
	;; [unrolled: 1-line block ×4, first 2 shown]
	s_cmp_lg_u32 s1, 0
	s_waitcnt vmcnt(4)
	v_mul_f64 v[38:39], v[4:5], -v[16:17]
	v_mul_f64 v[40:41], v[4:5], v[14:15]
	s_waitcnt vmcnt(3)
	v_mul_f64 v[42:43], v[8:9], -v[20:21]
	v_mul_f64 v[44:45], v[8:9], v[18:19]
	v_fmac_f64_e32 v[38:39], v[14:15], v[2:3]
	v_fmac_f64_e32 v[40:41], v[16:17], v[2:3]
	;; [unrolled: 1-line block ×4, first 2 shown]
	s_waitcnt vmcnt(2)
	v_add_f64 v[14:15], v[22:23], -v[38:39]
	v_add_f64 v[16:17], v[24:25], -v[40:41]
	;; [unrolled: 1-line block ×4, first 2 shown]
	global_store_dwordx4 v[34:35], v[14:17], off
	global_load_dwordx4 v[14:17], v[36:37], off
	v_add_u32_e32 v18, s10, v12
	v_ashrrev_i32_e32 v19, 31, v18
	v_add_u32_e32 v20, s10, v11
	v_lshlrev_b64 v[18:19], 4, v[18:19]
	v_ashrrev_i32_e32 v21, 31, v20
	v_lshl_add_u64 v[38:39], s[4:5], 0, v[18:19]
	v_lshl_add_u64 v[40:41], s[6:7], 0, v[18:19]
	;; [unrolled: 1-line block ×3, first 2 shown]
	global_load_dwordx4 v[18:21], v[38:39], off
	global_load_dwordx4 v[22:25], v[40:41], off
	s_waitcnt vmcnt(5)
	v_mul_f64 v[38:39], v[4:5], -v[28:29]
	v_mul_f64 v[40:41], v[4:5], v[26:27]
	s_waitcnt vmcnt(4)
	v_mul_f64 v[42:43], v[8:9], -v[32:33]
	v_mul_f64 v[44:45], v[8:9], v[30:31]
	v_fmac_f64_e32 v[38:39], v[26:27], v[2:3]
	v_fmac_f64_e32 v[40:41], v[28:29], v[2:3]
	;; [unrolled: 1-line block ×4, first 2 shown]
	v_add_u32_e32 v11, s0, v11
	v_add_u32_e32 v12, s0, v12
	s_waitcnt vmcnt(2)
	v_add_f64 v[14:15], v[14:15], -v[38:39]
	v_add_f64 v[16:17], v[16:17], -v[40:41]
	;; [unrolled: 1-line block ×4, first 2 shown]
	global_store_dwordx4 v[36:37], v[14:17], off
	global_load_dwordx4 v[14:17], v[34:35], off
	s_waitcnt vmcnt(3)
	v_mul_f64 v[26:27], v[4:5], -v[20:21]
	v_mul_f64 v[28:29], v[4:5], v[18:19]
	s_waitcnt vmcnt(2)
	v_mul_f64 v[30:31], v[8:9], -v[24:25]
	v_mul_f64 v[32:33], v[8:9], v[22:23]
	v_fmac_f64_e32 v[26:27], v[18:19], v[2:3]
	v_fmac_f64_e32 v[28:29], v[20:21], v[2:3]
	;; [unrolled: 1-line block ×4, first 2 shown]
	s_waitcnt vmcnt(0)
	v_add_f64 v[14:15], v[14:15], -v[26:27]
	v_add_f64 v[16:17], v[16:17], -v[28:29]
	v_add_f64 v[14:15], v[14:15], -v[30:31]
	v_add_f64 v[16:17], v[16:17], -v[32:33]
	global_store_dwordx4 v[34:35], v[14:17], off
	s_cbranch_scc1 .LBB344_8
.LBB344_9:
	s_endpgm
	.section	.rodata,"a",@progbits
	.p2align	6, 0x0
	.amdhsa_kernel _ZN9rocsparseL39gtsv_spike_backward_substitution_kernelILj256ELj128E21rocsparse_complex_numIdEEEviiiPT1_PKS3_S6_
		.amdhsa_group_segment_fixed_size 0
		.amdhsa_private_segment_fixed_size 0
		.amdhsa_kernarg_size 40
		.amdhsa_user_sgpr_count 2
		.amdhsa_user_sgpr_dispatch_ptr 0
		.amdhsa_user_sgpr_queue_ptr 0
		.amdhsa_user_sgpr_kernarg_segment_ptr 1
		.amdhsa_user_sgpr_dispatch_id 0
		.amdhsa_user_sgpr_kernarg_preload_length 0
		.amdhsa_user_sgpr_kernarg_preload_offset 0
		.amdhsa_user_sgpr_private_segment_size 0
		.amdhsa_uses_dynamic_stack 0
		.amdhsa_enable_private_segment 0
		.amdhsa_system_sgpr_workgroup_id_x 1
		.amdhsa_system_sgpr_workgroup_id_y 1
		.amdhsa_system_sgpr_workgroup_id_z 0
		.amdhsa_system_sgpr_workgroup_info 0
		.amdhsa_system_vgpr_workitem_id 0
		.amdhsa_next_free_vgpr 46
		.amdhsa_next_free_sgpr 12
		.amdhsa_accum_offset 48
		.amdhsa_reserve_vcc 1
		.amdhsa_float_round_mode_32 0
		.amdhsa_float_round_mode_16_64 0
		.amdhsa_float_denorm_mode_32 3
		.amdhsa_float_denorm_mode_16_64 3
		.amdhsa_dx10_clamp 1
		.amdhsa_ieee_mode 1
		.amdhsa_fp16_overflow 0
		.amdhsa_tg_split 0
		.amdhsa_exception_fp_ieee_invalid_op 0
		.amdhsa_exception_fp_denorm_src 0
		.amdhsa_exception_fp_ieee_div_zero 0
		.amdhsa_exception_fp_ieee_overflow 0
		.amdhsa_exception_fp_ieee_underflow 0
		.amdhsa_exception_fp_ieee_inexact 0
		.amdhsa_exception_int_div_zero 0
	.end_amdhsa_kernel
	.section	.text._ZN9rocsparseL39gtsv_spike_backward_substitution_kernelILj256ELj128E21rocsparse_complex_numIdEEEviiiPT1_PKS3_S6_,"axG",@progbits,_ZN9rocsparseL39gtsv_spike_backward_substitution_kernelILj256ELj128E21rocsparse_complex_numIdEEEviiiPT1_PKS3_S6_,comdat
.Lfunc_end344:
	.size	_ZN9rocsparseL39gtsv_spike_backward_substitution_kernelILj256ELj128E21rocsparse_complex_numIdEEEviiiPT1_PKS3_S6_, .Lfunc_end344-_ZN9rocsparseL39gtsv_spike_backward_substitution_kernelILj256ELj128E21rocsparse_complex_numIdEEEviiiPT1_PKS3_S6_
                                        ; -- End function
	.set _ZN9rocsparseL39gtsv_spike_backward_substitution_kernelILj256ELj128E21rocsparse_complex_numIdEEEviiiPT1_PKS3_S6_.num_vgpr, 46
	.set _ZN9rocsparseL39gtsv_spike_backward_substitution_kernelILj256ELj128E21rocsparse_complex_numIdEEEviiiPT1_PKS3_S6_.num_agpr, 0
	.set _ZN9rocsparseL39gtsv_spike_backward_substitution_kernelILj256ELj128E21rocsparse_complex_numIdEEEviiiPT1_PKS3_S6_.numbered_sgpr, 12
	.set _ZN9rocsparseL39gtsv_spike_backward_substitution_kernelILj256ELj128E21rocsparse_complex_numIdEEEviiiPT1_PKS3_S6_.num_named_barrier, 0
	.set _ZN9rocsparseL39gtsv_spike_backward_substitution_kernelILj256ELj128E21rocsparse_complex_numIdEEEviiiPT1_PKS3_S6_.private_seg_size, 0
	.set _ZN9rocsparseL39gtsv_spike_backward_substitution_kernelILj256ELj128E21rocsparse_complex_numIdEEEviiiPT1_PKS3_S6_.uses_vcc, 1
	.set _ZN9rocsparseL39gtsv_spike_backward_substitution_kernelILj256ELj128E21rocsparse_complex_numIdEEEviiiPT1_PKS3_S6_.uses_flat_scratch, 0
	.set _ZN9rocsparseL39gtsv_spike_backward_substitution_kernelILj256ELj128E21rocsparse_complex_numIdEEEviiiPT1_PKS3_S6_.has_dyn_sized_stack, 0
	.set _ZN9rocsparseL39gtsv_spike_backward_substitution_kernelILj256ELj128E21rocsparse_complex_numIdEEEviiiPT1_PKS3_S6_.has_recursion, 0
	.set _ZN9rocsparseL39gtsv_spike_backward_substitution_kernelILj256ELj128E21rocsparse_complex_numIdEEEviiiPT1_PKS3_S6_.has_indirect_call, 0
	.section	.AMDGPU.csdata,"",@progbits
; Kernel info:
; codeLenInByte = 820
; TotalNumSgprs: 18
; NumVgprs: 46
; NumAgprs: 0
; TotalNumVgprs: 46
; ScratchSize: 0
; MemoryBound: 0
; FloatMode: 240
; IeeeMode: 1
; LDSByteSize: 0 bytes/workgroup (compile time only)
; SGPRBlocks: 2
; VGPRBlocks: 5
; NumSGPRsForWavesPerEU: 18
; NumVGPRsForWavesPerEU: 46
; AccumOffset: 48
; Occupancy: 8
; WaveLimiterHint : 0
; COMPUTE_PGM_RSRC2:SCRATCH_EN: 0
; COMPUTE_PGM_RSRC2:USER_SGPR: 2
; COMPUTE_PGM_RSRC2:TRAP_HANDLER: 0
; COMPUTE_PGM_RSRC2:TGID_X_EN: 1
; COMPUTE_PGM_RSRC2:TGID_Y_EN: 1
; COMPUTE_PGM_RSRC2:TGID_Z_EN: 0
; COMPUTE_PGM_RSRC2:TIDIG_COMP_CNT: 0
; COMPUTE_PGM_RSRC3_GFX90A:ACCUM_OFFSET: 11
; COMPUTE_PGM_RSRC3_GFX90A:TG_SPLIT: 0
	.section	.text._ZN9rocsparseL32gtsv_transpose_back_array_kernelILj256ELj128E21rocsparse_complex_numIdEEEviiiPKT1_PS3_,"axG",@progbits,_ZN9rocsparseL32gtsv_transpose_back_array_kernelILj256ELj128E21rocsparse_complex_numIdEEEviiiPKT1_PS3_,comdat
	.globl	_ZN9rocsparseL32gtsv_transpose_back_array_kernelILj256ELj128E21rocsparse_complex_numIdEEEviiiPKT1_PS3_ ; -- Begin function _ZN9rocsparseL32gtsv_transpose_back_array_kernelILj256ELj128E21rocsparse_complex_numIdEEEviiiPKT1_PS3_
	.p2align	8
	.type	_ZN9rocsparseL32gtsv_transpose_back_array_kernelILj256ELj128E21rocsparse_complex_numIdEEEviiiPKT1_PS3_,@function
_ZN9rocsparseL32gtsv_transpose_back_array_kernelILj256ELj128E21rocsparse_complex_numIdEEEviiiPKT1_PS3_: ; @_ZN9rocsparseL32gtsv_transpose_back_array_kernelILj256ELj128E21rocsparse_complex_numIdEEEviiiPKT1_PS3_
; %bb.0:
	s_load_dwordx4 s[4:7], s[0:1], 0x0
	v_lshl_or_b32 v0, s2, 8, v0
	v_lshlrev_b32_e32 v2, 7, v0
	s_waitcnt lgkmcnt(0)
	v_cvt_f32_u32_e32 v1, s5
	s_sub_i32 s2, 0, s5
	v_rcp_iflag_f32_e32 v1, v1
	s_nop 0
	v_mul_f32_e32 v1, 0x4f7ffffe, v1
	v_cvt_u32_f32_e32 v1, v1
	v_mul_lo_u32 v3, s2, v1
	v_mul_hi_u32 v3, v1, v3
	v_add_u32_e32 v1, v1, v3
	v_mul_hi_u32 v1, v2, v1
	v_mul_lo_u32 v3, v1, s5
	v_sub_u32_e32 v3, v2, v3
	v_add_u32_e32 v4, 1, v1
	v_cmp_le_u32_e32 vcc, s5, v3
	s_nop 1
	v_cndmask_b32_e32 v1, v1, v4, vcc
	v_subrev_u32_e32 v4, s5, v3
	v_cndmask_b32_e32 v3, v3, v4, vcc
	v_add_u32_e32 v4, 1, v1
	v_cmp_le_u32_e32 vcc, s5, v3
	s_nop 1
	v_cndmask_b32_e32 v1, v1, v4, vcc
	v_mul_lo_u32 v3, v1, s5
	v_sub_u32_e32 v2, v2, v3
	v_add_u32_e32 v1, v1, v2
	v_cmp_gt_i32_e32 vcc, s4, v1
	s_and_saveexec_b64 s[8:9], vcc
	s_cbranch_execz .LBB345_2
; %bb.1:
	s_load_dwordx4 s[8:11], s[0:1], 0x10
	s_mul_i32 s0, s5, s3
	v_add_u32_e32 v2, s0, v0
	v_ashrrev_i32_e32 v3, 31, v2
	s_mul_i32 s0, s6, s3
	s_waitcnt lgkmcnt(0)
	v_lshl_add_u64 v[2:3], v[2:3], 4, s[8:9]
	global_load_dwordx4 v[2:5], v[2:3], off
	v_add_u32_e32 v0, s0, v1
	v_ashrrev_i32_e32 v1, 31, v0
	v_lshl_add_u64 v[0:1], v[0:1], 4, s[10:11]
	s_waitcnt vmcnt(0)
	global_store_dwordx4 v[0:1], v[2:5], off
.LBB345_2:
	s_endpgm
	.section	.rodata,"a",@progbits
	.p2align	6, 0x0
	.amdhsa_kernel _ZN9rocsparseL32gtsv_transpose_back_array_kernelILj256ELj128E21rocsparse_complex_numIdEEEviiiPKT1_PS3_
		.amdhsa_group_segment_fixed_size 0
		.amdhsa_private_segment_fixed_size 0
		.amdhsa_kernarg_size 32
		.amdhsa_user_sgpr_count 2
		.amdhsa_user_sgpr_dispatch_ptr 0
		.amdhsa_user_sgpr_queue_ptr 0
		.amdhsa_user_sgpr_kernarg_segment_ptr 1
		.amdhsa_user_sgpr_dispatch_id 0
		.amdhsa_user_sgpr_kernarg_preload_length 0
		.amdhsa_user_sgpr_kernarg_preload_offset 0
		.amdhsa_user_sgpr_private_segment_size 0
		.amdhsa_uses_dynamic_stack 0
		.amdhsa_enable_private_segment 0
		.amdhsa_system_sgpr_workgroup_id_x 1
		.amdhsa_system_sgpr_workgroup_id_y 1
		.amdhsa_system_sgpr_workgroup_id_z 0
		.amdhsa_system_sgpr_workgroup_info 0
		.amdhsa_system_vgpr_workitem_id 0
		.amdhsa_next_free_vgpr 6
		.amdhsa_next_free_sgpr 12
		.amdhsa_accum_offset 8
		.amdhsa_reserve_vcc 1
		.amdhsa_float_round_mode_32 0
		.amdhsa_float_round_mode_16_64 0
		.amdhsa_float_denorm_mode_32 3
		.amdhsa_float_denorm_mode_16_64 3
		.amdhsa_dx10_clamp 1
		.amdhsa_ieee_mode 1
		.amdhsa_fp16_overflow 0
		.amdhsa_tg_split 0
		.amdhsa_exception_fp_ieee_invalid_op 0
		.amdhsa_exception_fp_denorm_src 0
		.amdhsa_exception_fp_ieee_div_zero 0
		.amdhsa_exception_fp_ieee_overflow 0
		.amdhsa_exception_fp_ieee_underflow 0
		.amdhsa_exception_fp_ieee_inexact 0
		.amdhsa_exception_int_div_zero 0
	.end_amdhsa_kernel
	.section	.text._ZN9rocsparseL32gtsv_transpose_back_array_kernelILj256ELj128E21rocsparse_complex_numIdEEEviiiPKT1_PS3_,"axG",@progbits,_ZN9rocsparseL32gtsv_transpose_back_array_kernelILj256ELj128E21rocsparse_complex_numIdEEEviiiPKT1_PS3_,comdat
.Lfunc_end345:
	.size	_ZN9rocsparseL32gtsv_transpose_back_array_kernelILj256ELj128E21rocsparse_complex_numIdEEEviiiPKT1_PS3_, .Lfunc_end345-_ZN9rocsparseL32gtsv_transpose_back_array_kernelILj256ELj128E21rocsparse_complex_numIdEEEviiiPKT1_PS3_
                                        ; -- End function
	.set _ZN9rocsparseL32gtsv_transpose_back_array_kernelILj256ELj128E21rocsparse_complex_numIdEEEviiiPKT1_PS3_.num_vgpr, 6
	.set _ZN9rocsparseL32gtsv_transpose_back_array_kernelILj256ELj128E21rocsparse_complex_numIdEEEviiiPKT1_PS3_.num_agpr, 0
	.set _ZN9rocsparseL32gtsv_transpose_back_array_kernelILj256ELj128E21rocsparse_complex_numIdEEEviiiPKT1_PS3_.numbered_sgpr, 12
	.set _ZN9rocsparseL32gtsv_transpose_back_array_kernelILj256ELj128E21rocsparse_complex_numIdEEEviiiPKT1_PS3_.num_named_barrier, 0
	.set _ZN9rocsparseL32gtsv_transpose_back_array_kernelILj256ELj128E21rocsparse_complex_numIdEEEviiiPKT1_PS3_.private_seg_size, 0
	.set _ZN9rocsparseL32gtsv_transpose_back_array_kernelILj256ELj128E21rocsparse_complex_numIdEEEviiiPKT1_PS3_.uses_vcc, 1
	.set _ZN9rocsparseL32gtsv_transpose_back_array_kernelILj256ELj128E21rocsparse_complex_numIdEEEviiiPKT1_PS3_.uses_flat_scratch, 0
	.set _ZN9rocsparseL32gtsv_transpose_back_array_kernelILj256ELj128E21rocsparse_complex_numIdEEEviiiPKT1_PS3_.has_dyn_sized_stack, 0
	.set _ZN9rocsparseL32gtsv_transpose_back_array_kernelILj256ELj128E21rocsparse_complex_numIdEEEviiiPKT1_PS3_.has_recursion, 0
	.set _ZN9rocsparseL32gtsv_transpose_back_array_kernelILj256ELj128E21rocsparse_complex_numIdEEEviiiPKT1_PS3_.has_indirect_call, 0
	.section	.AMDGPU.csdata,"",@progbits
; Kernel info:
; codeLenInByte = 236
; TotalNumSgprs: 18
; NumVgprs: 6
; NumAgprs: 0
; TotalNumVgprs: 6
; ScratchSize: 0
; MemoryBound: 0
; FloatMode: 240
; IeeeMode: 1
; LDSByteSize: 0 bytes/workgroup (compile time only)
; SGPRBlocks: 2
; VGPRBlocks: 0
; NumSGPRsForWavesPerEU: 18
; NumVGPRsForWavesPerEU: 6
; AccumOffset: 8
; Occupancy: 8
; WaveLimiterHint : 0
; COMPUTE_PGM_RSRC2:SCRATCH_EN: 0
; COMPUTE_PGM_RSRC2:USER_SGPR: 2
; COMPUTE_PGM_RSRC2:TRAP_HANDLER: 0
; COMPUTE_PGM_RSRC2:TGID_X_EN: 1
; COMPUTE_PGM_RSRC2:TGID_Y_EN: 1
; COMPUTE_PGM_RSRC2:TGID_Z_EN: 0
; COMPUTE_PGM_RSRC2:TIDIG_COMP_CNT: 0
; COMPUTE_PGM_RSRC3_GFX90A:ACCUM_OFFSET: 1
; COMPUTE_PGM_RSRC3_GFX90A:TG_SPLIT: 0
	.section	.text._ZN9rocsparseL42gtsv_transpose_and_pad_array_shared_kernelILj256ELj256E21rocsparse_complex_numIdEEEviiiPKT1_PS3_S3_,"axG",@progbits,_ZN9rocsparseL42gtsv_transpose_and_pad_array_shared_kernelILj256ELj256E21rocsparse_complex_numIdEEEviiiPKT1_PS3_S3_,comdat
	.globl	_ZN9rocsparseL42gtsv_transpose_and_pad_array_shared_kernelILj256ELj256E21rocsparse_complex_numIdEEEviiiPKT1_PS3_S3_ ; -- Begin function _ZN9rocsparseL42gtsv_transpose_and_pad_array_shared_kernelILj256ELj256E21rocsparse_complex_numIdEEEviiiPKT1_PS3_S3_
	.p2align	8
	.type	_ZN9rocsparseL42gtsv_transpose_and_pad_array_shared_kernelILj256ELj256E21rocsparse_complex_numIdEEEviiiPKT1_PS3_S3_,@function
_ZN9rocsparseL42gtsv_transpose_and_pad_array_shared_kernelILj256ELj256E21rocsparse_complex_numIdEEEviiiPKT1_PS3_S3_: ; @_ZN9rocsparseL42gtsv_transpose_and_pad_array_shared_kernelILj256ELj256E21rocsparse_complex_numIdEEEviiiPKT1_PS3_S3_
; %bb.0:
	s_load_dwordx4 s[4:7], s[0:1], 0x0
	v_lshl_or_b32 v2, s2, 8, v0
	v_lshlrev_b32_e32 v1, 4, v0
	s_waitcnt lgkmcnt(0)
	v_cmp_le_i32_e32 vcc, s4, v2
	s_and_saveexec_b64 s[8:9], vcc
	s_xor_b64 s[8:9], exec, s[8:9]
	s_cbranch_execz .LBB346_2
; %bb.1:
	s_load_dwordx4 s[12:15], s[0:1], 0x20
	s_waitcnt lgkmcnt(0)
	v_mov_b64_e32 v[2:3], s[12:13]
	v_mov_b64_e32 v[4:5], s[14:15]
	ds_write_b128 v1, v[2:5]
                                        ; implicit-def: $vgpr2
.LBB346_2:
	s_andn2_saveexec_b64 s[8:9], s[8:9]
	s_cbranch_execz .LBB346_4
; %bb.3:
	s_load_dwordx2 s[10:11], s[0:1], 0x10
	s_mul_i32 s4, s6, s3
	v_add_u32_e32 v2, s4, v2
	v_ashrrev_i32_e32 v3, 31, v2
	s_waitcnt lgkmcnt(0)
	v_lshl_add_u64 v[2:3], v[2:3], 4, s[10:11]
	global_load_dwordx4 v[2:5], v[2:3], off
	s_waitcnt vmcnt(0)
	ds_write2_b64 v1, v[2:3], v[4:5] offset1:1
.LBB346_4:
	s_or_b64 exec, exec, s[8:9]
	s_lshr_b32 s4, s5, 8
	v_mov_b32_e32 v2, s2
	v_mad_u32_u24 v0, s4, v0, v2
	v_cmp_gt_i32_e32 vcc, s5, v0
	s_waitcnt lgkmcnt(0)
	s_barrier
	s_and_saveexec_b64 s[6:7], vcc
	s_cbranch_execz .LBB346_6
; %bb.5:
	s_load_dwordx2 s[0:1], s[0:1], 0x18
	ds_read2_b64 v[2:5], v1 offset1:1
	s_mul_i32 s2, s5, s3
	v_add_u32_e32 v0, s2, v0
	v_ashrrev_i32_e32 v1, 31, v0
	s_waitcnt lgkmcnt(0)
	v_lshl_add_u64 v[0:1], v[0:1], 4, s[0:1]
	global_store_dwordx4 v[0:1], v[2:5], off
.LBB346_6:
	s_endpgm
	.section	.rodata,"a",@progbits
	.p2align	6, 0x0
	.amdhsa_kernel _ZN9rocsparseL42gtsv_transpose_and_pad_array_shared_kernelILj256ELj256E21rocsparse_complex_numIdEEEviiiPKT1_PS3_S3_
		.amdhsa_group_segment_fixed_size 4096
		.amdhsa_private_segment_fixed_size 0
		.amdhsa_kernarg_size 48
		.amdhsa_user_sgpr_count 2
		.amdhsa_user_sgpr_dispatch_ptr 0
		.amdhsa_user_sgpr_queue_ptr 0
		.amdhsa_user_sgpr_kernarg_segment_ptr 1
		.amdhsa_user_sgpr_dispatch_id 0
		.amdhsa_user_sgpr_kernarg_preload_length 0
		.amdhsa_user_sgpr_kernarg_preload_offset 0
		.amdhsa_user_sgpr_private_segment_size 0
		.amdhsa_uses_dynamic_stack 0
		.amdhsa_enable_private_segment 0
		.amdhsa_system_sgpr_workgroup_id_x 1
		.amdhsa_system_sgpr_workgroup_id_y 1
		.amdhsa_system_sgpr_workgroup_id_z 0
		.amdhsa_system_sgpr_workgroup_info 0
		.amdhsa_system_vgpr_workitem_id 0
		.amdhsa_next_free_vgpr 6
		.amdhsa_next_free_sgpr 16
		.amdhsa_accum_offset 8
		.amdhsa_reserve_vcc 1
		.amdhsa_float_round_mode_32 0
		.amdhsa_float_round_mode_16_64 0
		.amdhsa_float_denorm_mode_32 3
		.amdhsa_float_denorm_mode_16_64 3
		.amdhsa_dx10_clamp 1
		.amdhsa_ieee_mode 1
		.amdhsa_fp16_overflow 0
		.amdhsa_tg_split 0
		.amdhsa_exception_fp_ieee_invalid_op 0
		.amdhsa_exception_fp_denorm_src 0
		.amdhsa_exception_fp_ieee_div_zero 0
		.amdhsa_exception_fp_ieee_overflow 0
		.amdhsa_exception_fp_ieee_underflow 0
		.amdhsa_exception_fp_ieee_inexact 0
		.amdhsa_exception_int_div_zero 0
	.end_amdhsa_kernel
	.section	.text._ZN9rocsparseL42gtsv_transpose_and_pad_array_shared_kernelILj256ELj256E21rocsparse_complex_numIdEEEviiiPKT1_PS3_S3_,"axG",@progbits,_ZN9rocsparseL42gtsv_transpose_and_pad_array_shared_kernelILj256ELj256E21rocsparse_complex_numIdEEEviiiPKT1_PS3_S3_,comdat
.Lfunc_end346:
	.size	_ZN9rocsparseL42gtsv_transpose_and_pad_array_shared_kernelILj256ELj256E21rocsparse_complex_numIdEEEviiiPKT1_PS3_S3_, .Lfunc_end346-_ZN9rocsparseL42gtsv_transpose_and_pad_array_shared_kernelILj256ELj256E21rocsparse_complex_numIdEEEviiiPKT1_PS3_S3_
                                        ; -- End function
	.set _ZN9rocsparseL42gtsv_transpose_and_pad_array_shared_kernelILj256ELj256E21rocsparse_complex_numIdEEEviiiPKT1_PS3_S3_.num_vgpr, 6
	.set _ZN9rocsparseL42gtsv_transpose_and_pad_array_shared_kernelILj256ELj256E21rocsparse_complex_numIdEEEviiiPKT1_PS3_S3_.num_agpr, 0
	.set _ZN9rocsparseL42gtsv_transpose_and_pad_array_shared_kernelILj256ELj256E21rocsparse_complex_numIdEEEviiiPKT1_PS3_S3_.numbered_sgpr, 16
	.set _ZN9rocsparseL42gtsv_transpose_and_pad_array_shared_kernelILj256ELj256E21rocsparse_complex_numIdEEEviiiPKT1_PS3_S3_.num_named_barrier, 0
	.set _ZN9rocsparseL42gtsv_transpose_and_pad_array_shared_kernelILj256ELj256E21rocsparse_complex_numIdEEEviiiPKT1_PS3_S3_.private_seg_size, 0
	.set _ZN9rocsparseL42gtsv_transpose_and_pad_array_shared_kernelILj256ELj256E21rocsparse_complex_numIdEEEviiiPKT1_PS3_S3_.uses_vcc, 1
	.set _ZN9rocsparseL42gtsv_transpose_and_pad_array_shared_kernelILj256ELj256E21rocsparse_complex_numIdEEEviiiPKT1_PS3_S3_.uses_flat_scratch, 0
	.set _ZN9rocsparseL42gtsv_transpose_and_pad_array_shared_kernelILj256ELj256E21rocsparse_complex_numIdEEEviiiPKT1_PS3_S3_.has_dyn_sized_stack, 0
	.set _ZN9rocsparseL42gtsv_transpose_and_pad_array_shared_kernelILj256ELj256E21rocsparse_complex_numIdEEEviiiPKT1_PS3_S3_.has_recursion, 0
	.set _ZN9rocsparseL42gtsv_transpose_and_pad_array_shared_kernelILj256ELj256E21rocsparse_complex_numIdEEEviiiPKT1_PS3_S3_.has_indirect_call, 0
	.section	.AMDGPU.csdata,"",@progbits
; Kernel info:
; codeLenInByte = 220
; TotalNumSgprs: 22
; NumVgprs: 6
; NumAgprs: 0
; TotalNumVgprs: 6
; ScratchSize: 0
; MemoryBound: 0
; FloatMode: 240
; IeeeMode: 1
; LDSByteSize: 4096 bytes/workgroup (compile time only)
; SGPRBlocks: 2
; VGPRBlocks: 0
; NumSGPRsForWavesPerEU: 22
; NumVGPRsForWavesPerEU: 6
; AccumOffset: 8
; Occupancy: 8
; WaveLimiterHint : 0
; COMPUTE_PGM_RSRC2:SCRATCH_EN: 0
; COMPUTE_PGM_RSRC2:USER_SGPR: 2
; COMPUTE_PGM_RSRC2:TRAP_HANDLER: 0
; COMPUTE_PGM_RSRC2:TGID_X_EN: 1
; COMPUTE_PGM_RSRC2:TGID_Y_EN: 1
; COMPUTE_PGM_RSRC2:TGID_Z_EN: 0
; COMPUTE_PGM_RSRC2:TIDIG_COMP_CNT: 0
; COMPUTE_PGM_RSRC3_GFX90A:ACCUM_OFFSET: 1
; COMPUTE_PGM_RSRC3_GFX90A:TG_SPLIT: 0
	.section	.text._ZN9rocsparseL18gtsv_LBM_wv_kernelILj256ELj256E21rocsparse_complex_numIdEEEviiiPKT1_S5_S5_PS3_S6_S6_Pi,"axG",@progbits,_ZN9rocsparseL18gtsv_LBM_wv_kernelILj256ELj256E21rocsparse_complex_numIdEEEviiiPKT1_S5_S5_PS3_S6_S6_Pi,comdat
	.globl	_ZN9rocsparseL18gtsv_LBM_wv_kernelILj256ELj256E21rocsparse_complex_numIdEEEviiiPKT1_S5_S5_PS3_S6_S6_Pi ; -- Begin function _ZN9rocsparseL18gtsv_LBM_wv_kernelILj256ELj256E21rocsparse_complex_numIdEEEviiiPKT1_S5_S5_PS3_S6_S6_Pi
	.p2align	8
	.type	_ZN9rocsparseL18gtsv_LBM_wv_kernelILj256ELj256E21rocsparse_complex_numIdEEEviiiPKT1_S5_S5_PS3_S6_S6_Pi,@function
_ZN9rocsparseL18gtsv_LBM_wv_kernelILj256ELj256E21rocsparse_complex_numIdEEEviiiPKT1_S5_S5_PS3_S6_S6_Pi: ; @_ZN9rocsparseL18gtsv_LBM_wv_kernelILj256ELj256E21rocsparse_complex_numIdEEEviiiPKT1_S5_S5_PS3_S6_S6_Pi
; %bb.0:
	s_load_dword s29, s[0:1], 0x0
	v_lshl_or_b32 v40, s2, 8, v0
	s_waitcnt lgkmcnt(0)
	s_lshr_b32 s28, s29, 8
	v_cmp_gt_i32_e32 vcc, s28, v40
	s_and_saveexec_b64 s[2:3], vcc
	s_cbranch_execz .LBB347_72
; %bb.1:
	s_load_dwordx2 s[16:17], s[0:1], 0x10
	s_load_dwordx8 s[8:15], s[0:1], 0x20
	v_ashrrev_i32_e32 v41, 31, v40
	s_mul_i32 s30, s28, 0xff
	v_lshlrev_b64 v[8:9], 4, v[40:41]
	v_add_u32_e32 v10, s30, v40
	v_mov_b32_e32 v11, 0
	s_waitcnt lgkmcnt(0)
	v_lshl_add_u64 v[0:1], s[16:17], 0, v[8:9]
	v_lshlrev_b64 v[12:13], 4, v[10:11]
	global_load_dwordx4 v[0:3], v[0:1], off
	v_lshl_add_u64 v[4:5], s[8:9], 0, v[12:13]
	global_load_dwordx4 v[4:7], v[4:5], off
	s_load_dwordx2 s[6:7], s[0:1], 0x40
	s_cmp_lt_i32 s29, 1
	v_add_u32_e32 v58, s28, v40
	v_lshl_add_u64 v[42:43], s[10:11], 0, v[8:9]
	v_mov_b32_e32 v44, v11
	v_lshl_add_u64 v[8:9], s[12:13], 0, v[12:13]
	s_waitcnt vmcnt(1)
	global_store_dwordx4 v[42:43], v[0:3], off
	s_waitcnt vmcnt(1)
	global_store_dwordx4 v[8:9], v[4:7], off
	s_cbranch_scc1 .LBB347_65
; %bb.2:
	s_load_dwordx2 s[18:19], s[0:1], 0x18
	s_mov_b32 s22, 0
	s_mov_b32 s24, 0x372fe950
	s_mul_i32 s31, s28, 0xfe
	s_lshl_b32 s33, s28, 1
	s_waitcnt lgkmcnt(0)
	v_lshl_add_u64 v[0:1], v[40:41], 4, s[18:19]
	global_load_dwordx4 v[0:3], v[0:1], off
	v_add_u32_e32 v41, s28, v58
	v_mov_b32_e32 v44, 0
	s_mov_b64 s[20:21], 0
	s_brev_b32 s23, 8
	v_mov_b32_e32 v59, 0x260
	s_mov_b32 s25, 0x3fe3c6ef
	v_mov_b32_e32 v60, 2
	v_mov_b32_e32 v61, 1
	v_mov_b32_e32 v62, 0x100
	v_mov_b32_e32 v63, 0xffffff80
	s_branch .LBB347_5
.LBB347_3:                              ;   in Loop: Header=BB347_5 Depth=1
	s_or_b64 exec, exec, s[4:5]
	v_mul_f64 v[4:5], v[2:3], -v[50:51]
	v_mul_f64 v[2:3], v[2:3], v[48:49]
	v_fmac_f64_e32 v[4:5], v[48:49], v[0:1]
	v_fmac_f64_e32 v[2:3], v[50:51], v[0:1]
	v_add_f64 v[0:1], v[8:9], -v[4:5]
	v_add_f64 v[2:3], v[10:11], -v[2:3]
	v_mov_b32_e32 v12, s28
.LBB347_4:                              ;   in Loop: Header=BB347_5 Depth=1
	s_or_b64 exec, exec, s[2:3]
	v_add_u32_e32 v44, v12, v44
	v_cmp_le_i32_e32 vcc, s29, v44
	s_or_b64 s[20:21], vcc, s[20:21]
	s_andn2_b64 exec, exec, s[20:21]
	s_cbranch_execz .LBB347_64
.LBB347_5:                              ; =>This Inner Loop Header: Depth=1
	v_add_u32_e32 v46, v44, v40
	v_ashrrev_i32_e32 v47, 31, v46
	v_lshl_add_u64 v[4:5], v[46:47], 4, s[8:9]
	global_load_dwordx4 v[16:19], v[4:5], off
	v_cmp_gt_u32_e64 s[0:1], s30, v44
	v_mov_b64_e32 v[8:9], 0
	v_mov_b64_e32 v[4:5], 0
	;; [unrolled: 1-line block ×3, first 2 shown]
	s_and_saveexec_b64 s[2:3], s[0:1]
	s_cbranch_execz .LBB347_7
; %bb.6:                                ;   in Loop: Header=BB347_5 Depth=1
	v_add_u32_e32 v4, v58, v44
	v_ashrrev_i32_e32 v5, 31, v4
	v_lshl_add_u64 v[4:5], v[4:5], 4, s[16:17]
	global_load_dwordx4 v[4:7], v[4:5], off
.LBB347_7:                              ;   in Loop: Header=BB347_5 Depth=1
	s_or_b64 exec, exec, s[2:3]
	v_mov_b64_e32 v[10:11], 0
	s_and_saveexec_b64 s[2:3], s[0:1]
	s_cbranch_execz .LBB347_9
; %bb.8:                                ;   in Loop: Header=BB347_5 Depth=1
	v_add_u32_e32 v8, v58, v44
	v_ashrrev_i32_e32 v9, 31, v8
	v_lshl_add_u64 v[8:9], v[8:9], 4, s[18:19]
	global_load_dwordx4 v[8:11], v[8:9], off
.LBB347_9:                              ;   in Loop: Header=BB347_5 Depth=1
	s_or_b64 exec, exec, s[2:3]
	v_mov_b64_e32 v[20:21], 0
	v_mov_b64_e32 v[12:13], 0
	;; [unrolled: 1-line block ×3, first 2 shown]
	s_and_saveexec_b64 s[2:3], s[0:1]
	s_cbranch_execz .LBB347_11
; %bb.10:                               ;   in Loop: Header=BB347_5 Depth=1
	v_add_u32_e32 v12, v58, v44
	v_ashrrev_i32_e32 v13, 31, v12
	v_lshl_add_u64 v[12:13], v[12:13], 4, s[8:9]
	global_load_dwordx4 v[12:15], v[12:13], off
.LBB347_11:                             ;   in Loop: Header=BB347_5 Depth=1
	s_or_b64 exec, exec, s[2:3]
	v_cmp_gt_u32_e64 s[2:3], s31, v44
	v_mov_b64_e32 v[22:23], 0
	s_and_saveexec_b64 s[4:5], s[2:3]
	s_cbranch_execz .LBB347_13
; %bb.12:                               ;   in Loop: Header=BB347_5 Depth=1
	v_add_u32_e32 v20, v41, v44
	v_ashrrev_i32_e32 v21, 31, v20
	v_lshl_add_u64 v[20:21], v[20:21], 4, s[16:17]
	global_load_dwordx4 v[20:23], v[20:21], off
.LBB347_13:                             ;   in Loop: Header=BB347_5 Depth=1
	s_or_b64 exec, exec, s[4:5]
	s_waitcnt vmcnt(0)
	v_xor_b32_e32 v24, 0x80000000, v5
	v_cmp_gt_f64_e32 vcc, 0, v[4:5]
	v_mov_b32_e32 v26, v4
	v_mov_b32_e32 v28, v6
	v_cndmask_b32_e32 v27, v5, v24, vcc
	v_xor_b32_e32 v24, 0x80000000, v7
	v_cmp_gt_f64_e32 vcc, 0, v[6:7]
	s_nop 1
	v_cndmask_b32_e32 v29, v7, v24, vcc
	v_cmp_ngt_f64_e32 vcc, v[26:27], v[28:29]
                                        ; implicit-def: $vgpr24_vgpr25
	s_and_saveexec_b64 s[4:5], vcc
	s_xor_b64 s[4:5], exec, s[4:5]
	s_cbranch_execz .LBB347_17
; %bb.14:                               ;   in Loop: Header=BB347_5 Depth=1
	v_mov_b64_e32 v[24:25], 0
	v_cmp_neq_f64_e32 vcc, 0, v[6:7]
	s_and_saveexec_b64 s[26:27], vcc
	s_cbranch_execz .LBB347_16
; %bb.15:                               ;   in Loop: Header=BB347_5 Depth=1
	v_div_scale_f64 v[24:25], s[34:35], v[28:29], v[28:29], v[26:27]
	v_rcp_f64_e32 v[30:31], v[24:25]
	v_div_scale_f64 v[32:33], vcc, v[26:27], v[28:29], v[26:27]
	v_fma_f64 v[34:35], -v[24:25], v[30:31], 1.0
	v_fmac_f64_e32 v[30:31], v[30:31], v[34:35]
	v_fma_f64 v[34:35], -v[24:25], v[30:31], 1.0
	v_fmac_f64_e32 v[30:31], v[30:31], v[34:35]
	v_mul_f64 v[34:35], v[32:33], v[30:31]
	v_fma_f64 v[24:25], -v[24:25], v[34:35], v[32:33]
	v_div_fmas_f64 v[24:25], v[24:25], v[30:31], v[34:35]
	v_div_fixup_f64 v[24:25], v[24:25], v[28:29], v[26:27]
	v_fma_f64 v[24:25], v[24:25], v[24:25], 1.0
	v_cmp_gt_f64_e32 vcc, s[22:23], v[24:25]
	s_nop 1
	v_cndmask_b32_e32 v26, 0, v62, vcc
	v_ldexp_f64 v[24:25], v[24:25], v26
	v_rsq_f64_e32 v[26:27], v[24:25]
	s_nop 0
	v_mul_f64 v[30:31], v[24:25], v[26:27]
	v_mul_f64 v[26:27], v[26:27], 0.5
	v_fma_f64 v[32:33], -v[26:27], v[30:31], 0.5
	v_fmac_f64_e32 v[30:31], v[30:31], v[32:33]
	v_fma_f64 v[34:35], -v[30:31], v[30:31], v[24:25]
	v_fmac_f64_e32 v[26:27], v[26:27], v[32:33]
	v_fmac_f64_e32 v[30:31], v[34:35], v[26:27]
	v_fma_f64 v[32:33], -v[30:31], v[30:31], v[24:25]
	v_fmac_f64_e32 v[30:31], v[32:33], v[26:27]
	v_cndmask_b32_e32 v26, 0, v63, vcc
	v_ldexp_f64 v[26:27], v[30:31], v26
	v_cmp_class_f64_e32 vcc, v[24:25], v59
	s_nop 1
	v_cndmask_b32_e32 v25, v27, v25, vcc
	v_cndmask_b32_e32 v24, v26, v24, vcc
	v_mul_f64 v[24:25], v[28:29], v[24:25]
.LBB347_16:                             ;   in Loop: Header=BB347_5 Depth=1
	s_or_b64 exec, exec, s[26:27]
                                        ; implicit-def: $vgpr26_vgpr27
                                        ; implicit-def: $vgpr28_vgpr29
.LBB347_17:                             ;   in Loop: Header=BB347_5 Depth=1
	s_andn2_saveexec_b64 s[4:5], s[4:5]
	s_cbranch_execz .LBB347_19
; %bb.18:                               ;   in Loop: Header=BB347_5 Depth=1
	v_div_scale_f64 v[24:25], s[26:27], v[26:27], v[26:27], v[28:29]
	v_rcp_f64_e32 v[30:31], v[24:25]
	v_div_scale_f64 v[32:33], vcc, v[28:29], v[26:27], v[28:29]
	v_fma_f64 v[34:35], -v[24:25], v[30:31], 1.0
	v_fmac_f64_e32 v[30:31], v[30:31], v[34:35]
	v_fma_f64 v[34:35], -v[24:25], v[30:31], 1.0
	v_fmac_f64_e32 v[30:31], v[30:31], v[34:35]
	v_mul_f64 v[34:35], v[32:33], v[30:31]
	v_fma_f64 v[24:25], -v[24:25], v[34:35], v[32:33]
	v_div_fmas_f64 v[24:25], v[24:25], v[30:31], v[34:35]
	v_div_fixup_f64 v[24:25], v[24:25], v[26:27], v[28:29]
	v_fma_f64 v[24:25], v[24:25], v[24:25], 1.0
	v_cmp_gt_f64_e32 vcc, s[22:23], v[24:25]
	s_nop 1
	v_cndmask_b32_e32 v28, 0, v62, vcc
	v_ldexp_f64 v[24:25], v[24:25], v28
	v_rsq_f64_e32 v[28:29], v[24:25]
	s_nop 0
	v_mul_f64 v[30:31], v[24:25], v[28:29]
	v_mul_f64 v[28:29], v[28:29], 0.5
	v_fma_f64 v[32:33], -v[28:29], v[30:31], 0.5
	v_fmac_f64_e32 v[30:31], v[30:31], v[32:33]
	v_fma_f64 v[34:35], -v[30:31], v[30:31], v[24:25]
	v_fmac_f64_e32 v[28:29], v[28:29], v[32:33]
	v_fmac_f64_e32 v[30:31], v[34:35], v[28:29]
	v_fma_f64 v[32:33], -v[30:31], v[30:31], v[24:25]
	v_fmac_f64_e32 v[30:31], v[32:33], v[28:29]
	v_cndmask_b32_e32 v28, 0, v63, vcc
	v_ldexp_f64 v[28:29], v[30:31], v28
	v_cmp_class_f64_e32 vcc, v[24:25], v59
	s_nop 1
	v_cndmask_b32_e32 v25, v29, v25, vcc
	v_cndmask_b32_e32 v24, v28, v24, vcc
	v_mul_f64 v[24:25], v[26:27], v[24:25]
.LBB347_19:                             ;   in Loop: Header=BB347_5 Depth=1
	s_or_b64 exec, exec, s[4:5]
	v_xor_b32_e32 v26, 0x80000000, v21
	v_cmp_gt_f64_e32 vcc, 0, v[20:21]
	v_mov_b32_e32 v28, v20
	v_mov_b32_e32 v30, v22
	v_cndmask_b32_e32 v29, v21, v26, vcc
	v_xor_b32_e32 v26, 0x80000000, v23
	v_cmp_gt_f64_e32 vcc, 0, v[22:23]
	s_nop 1
	v_cndmask_b32_e32 v31, v23, v26, vcc
	v_cmp_ngt_f64_e32 vcc, v[28:29], v[30:31]
                                        ; implicit-def: $vgpr26_vgpr27
	s_and_saveexec_b64 s[4:5], vcc
	s_xor_b64 s[4:5], exec, s[4:5]
	s_cbranch_execz .LBB347_23
; %bb.20:                               ;   in Loop: Header=BB347_5 Depth=1
	v_mov_b64_e32 v[26:27], 0
	v_cmp_neq_f64_e32 vcc, 0, v[22:23]
	s_and_saveexec_b64 s[26:27], vcc
	s_cbranch_execz .LBB347_22
; %bb.21:                               ;   in Loop: Header=BB347_5 Depth=1
	v_div_scale_f64 v[26:27], s[34:35], v[30:31], v[30:31], v[28:29]
	v_rcp_f64_e32 v[32:33], v[26:27]
	v_div_scale_f64 v[34:35], vcc, v[28:29], v[30:31], v[28:29]
	v_fma_f64 v[36:37], -v[26:27], v[32:33], 1.0
	v_fmac_f64_e32 v[32:33], v[32:33], v[36:37]
	v_fma_f64 v[36:37], -v[26:27], v[32:33], 1.0
	v_fmac_f64_e32 v[32:33], v[32:33], v[36:37]
	v_mul_f64 v[36:37], v[34:35], v[32:33]
	v_fma_f64 v[26:27], -v[26:27], v[36:37], v[34:35]
	v_div_fmas_f64 v[26:27], v[26:27], v[32:33], v[36:37]
	v_div_fixup_f64 v[26:27], v[26:27], v[30:31], v[28:29]
	v_fma_f64 v[26:27], v[26:27], v[26:27], 1.0
	v_cmp_gt_f64_e32 vcc, s[22:23], v[26:27]
	s_nop 1
	v_cndmask_b32_e32 v28, 0, v62, vcc
	v_ldexp_f64 v[26:27], v[26:27], v28
	v_rsq_f64_e32 v[28:29], v[26:27]
	s_nop 0
	v_mul_f64 v[32:33], v[26:27], v[28:29]
	v_mul_f64 v[28:29], v[28:29], 0.5
	v_fma_f64 v[34:35], -v[28:29], v[32:33], 0.5
	v_fmac_f64_e32 v[32:33], v[32:33], v[34:35]
	v_fma_f64 v[36:37], -v[32:33], v[32:33], v[26:27]
	v_fmac_f64_e32 v[28:29], v[28:29], v[34:35]
	v_fmac_f64_e32 v[32:33], v[36:37], v[28:29]
	v_fma_f64 v[34:35], -v[32:33], v[32:33], v[26:27]
	v_fmac_f64_e32 v[32:33], v[34:35], v[28:29]
	v_cndmask_b32_e32 v28, 0, v63, vcc
	v_ldexp_f64 v[28:29], v[32:33], v28
	v_cmp_class_f64_e32 vcc, v[26:27], v59
	s_nop 1
	v_cndmask_b32_e32 v27, v29, v27, vcc
	v_cndmask_b32_e32 v26, v28, v26, vcc
	v_mul_f64 v[26:27], v[30:31], v[26:27]
.LBB347_22:                             ;   in Loop: Header=BB347_5 Depth=1
	s_or_b64 exec, exec, s[26:27]
                                        ; implicit-def: $vgpr28_vgpr29
                                        ; implicit-def: $vgpr30_vgpr31
.LBB347_23:                             ;   in Loop: Header=BB347_5 Depth=1
	s_andn2_saveexec_b64 s[4:5], s[4:5]
	s_cbranch_execz .LBB347_25
; %bb.24:                               ;   in Loop: Header=BB347_5 Depth=1
	v_div_scale_f64 v[26:27], s[26:27], v[28:29], v[28:29], v[30:31]
	v_rcp_f64_e32 v[32:33], v[26:27]
	v_div_scale_f64 v[34:35], vcc, v[30:31], v[28:29], v[30:31]
	v_fma_f64 v[36:37], -v[26:27], v[32:33], 1.0
	v_fmac_f64_e32 v[32:33], v[32:33], v[36:37]
	v_fma_f64 v[36:37], -v[26:27], v[32:33], 1.0
	v_fmac_f64_e32 v[32:33], v[32:33], v[36:37]
	v_mul_f64 v[36:37], v[34:35], v[32:33]
	v_fma_f64 v[26:27], -v[26:27], v[36:37], v[34:35]
	v_div_fmas_f64 v[26:27], v[26:27], v[32:33], v[36:37]
	v_div_fixup_f64 v[26:27], v[26:27], v[28:29], v[30:31]
	v_fma_f64 v[26:27], v[26:27], v[26:27], 1.0
	v_cmp_gt_f64_e32 vcc, s[22:23], v[26:27]
	s_nop 1
	v_cndmask_b32_e32 v30, 0, v62, vcc
	v_ldexp_f64 v[26:27], v[26:27], v30
	v_rsq_f64_e32 v[30:31], v[26:27]
	s_nop 0
	v_mul_f64 v[32:33], v[26:27], v[30:31]
	v_mul_f64 v[30:31], v[30:31], 0.5
	v_fma_f64 v[34:35], -v[30:31], v[32:33], 0.5
	v_fmac_f64_e32 v[32:33], v[32:33], v[34:35]
	v_fma_f64 v[36:37], -v[32:33], v[32:33], v[26:27]
	v_fmac_f64_e32 v[30:31], v[30:31], v[34:35]
	v_fmac_f64_e32 v[32:33], v[36:37], v[30:31]
	v_fma_f64 v[34:35], -v[32:33], v[32:33], v[26:27]
	v_fmac_f64_e32 v[32:33], v[34:35], v[30:31]
	v_cndmask_b32_e32 v30, 0, v63, vcc
	v_ldexp_f64 v[30:31], v[32:33], v30
	v_cmp_class_f64_e32 vcc, v[26:27], v59
	s_nop 1
	v_cndmask_b32_e32 v27, v31, v27, vcc
	v_cndmask_b32_e32 v26, v30, v26, vcc
	v_mul_f64 v[26:27], v[28:29], v[26:27]
.LBB347_25:                             ;   in Loop: Header=BB347_5 Depth=1
	s_or_b64 exec, exec, s[4:5]
	v_xor_b32_e32 v28, 0x80000000, v9
	v_cmp_gt_f64_e32 vcc, 0, v[8:9]
	v_mov_b32_e32 v30, v8
	v_mov_b32_e32 v32, v10
	v_cndmask_b32_e32 v31, v9, v28, vcc
	v_xor_b32_e32 v28, 0x80000000, v11
	v_cmp_gt_f64_e32 vcc, 0, v[10:11]
	s_nop 1
	v_cndmask_b32_e32 v33, v11, v28, vcc
	v_cmp_ngt_f64_e32 vcc, v[30:31], v[32:33]
                                        ; implicit-def: $vgpr28_vgpr29
	s_and_saveexec_b64 s[4:5], vcc
	s_xor_b64 s[4:5], exec, s[4:5]
	s_cbranch_execz .LBB347_29
; %bb.26:                               ;   in Loop: Header=BB347_5 Depth=1
	v_mov_b64_e32 v[28:29], 0
	v_cmp_neq_f64_e32 vcc, 0, v[10:11]
	s_and_saveexec_b64 s[26:27], vcc
	s_cbranch_execz .LBB347_28
; %bb.27:                               ;   in Loop: Header=BB347_5 Depth=1
	v_div_scale_f64 v[28:29], s[34:35], v[32:33], v[32:33], v[30:31]
	v_rcp_f64_e32 v[34:35], v[28:29]
	v_div_scale_f64 v[36:37], vcc, v[30:31], v[32:33], v[30:31]
	v_fma_f64 v[38:39], -v[28:29], v[34:35], 1.0
	v_fmac_f64_e32 v[34:35], v[34:35], v[38:39]
	v_fma_f64 v[38:39], -v[28:29], v[34:35], 1.0
	v_fmac_f64_e32 v[34:35], v[34:35], v[38:39]
	v_mul_f64 v[38:39], v[36:37], v[34:35]
	v_fma_f64 v[28:29], -v[28:29], v[38:39], v[36:37]
	v_div_fmas_f64 v[28:29], v[28:29], v[34:35], v[38:39]
	v_div_fixup_f64 v[28:29], v[28:29], v[32:33], v[30:31]
	v_fma_f64 v[28:29], v[28:29], v[28:29], 1.0
	v_cmp_gt_f64_e32 vcc, s[22:23], v[28:29]
	s_nop 1
	v_cndmask_b32_e32 v30, 0, v62, vcc
	v_ldexp_f64 v[28:29], v[28:29], v30
	v_rsq_f64_e32 v[30:31], v[28:29]
	s_nop 0
	v_mul_f64 v[34:35], v[28:29], v[30:31]
	v_mul_f64 v[30:31], v[30:31], 0.5
	v_fma_f64 v[36:37], -v[30:31], v[34:35], 0.5
	v_fmac_f64_e32 v[34:35], v[34:35], v[36:37]
	v_fma_f64 v[38:39], -v[34:35], v[34:35], v[28:29]
	v_fmac_f64_e32 v[30:31], v[30:31], v[36:37]
	v_fmac_f64_e32 v[34:35], v[38:39], v[30:31]
	v_fma_f64 v[36:37], -v[34:35], v[34:35], v[28:29]
	v_fmac_f64_e32 v[34:35], v[36:37], v[30:31]
	v_cndmask_b32_e32 v30, 0, v63, vcc
	v_ldexp_f64 v[30:31], v[34:35], v30
	v_cmp_class_f64_e32 vcc, v[28:29], v59
	s_nop 1
	v_cndmask_b32_e32 v29, v31, v29, vcc
	v_cndmask_b32_e32 v28, v30, v28, vcc
	v_mul_f64 v[28:29], v[32:33], v[28:29]
.LBB347_28:                             ;   in Loop: Header=BB347_5 Depth=1
	s_or_b64 exec, exec, s[26:27]
                                        ; implicit-def: $vgpr30_vgpr31
                                        ; implicit-def: $vgpr32_vgpr33
.LBB347_29:                             ;   in Loop: Header=BB347_5 Depth=1
	s_andn2_saveexec_b64 s[4:5], s[4:5]
	s_cbranch_execz .LBB347_31
; %bb.30:                               ;   in Loop: Header=BB347_5 Depth=1
	v_div_scale_f64 v[28:29], s[26:27], v[30:31], v[30:31], v[32:33]
	v_rcp_f64_e32 v[34:35], v[28:29]
	v_div_scale_f64 v[36:37], vcc, v[32:33], v[30:31], v[32:33]
	v_fma_f64 v[38:39], -v[28:29], v[34:35], 1.0
	v_fmac_f64_e32 v[34:35], v[34:35], v[38:39]
	v_fma_f64 v[38:39], -v[28:29], v[34:35], 1.0
	v_fmac_f64_e32 v[34:35], v[34:35], v[38:39]
	v_mul_f64 v[38:39], v[36:37], v[34:35]
	v_fma_f64 v[28:29], -v[28:29], v[38:39], v[36:37]
	v_div_fmas_f64 v[28:29], v[28:29], v[34:35], v[38:39]
	v_div_fixup_f64 v[28:29], v[28:29], v[30:31], v[32:33]
	v_fma_f64 v[28:29], v[28:29], v[28:29], 1.0
	v_cmp_gt_f64_e32 vcc, s[22:23], v[28:29]
	s_nop 1
	v_cndmask_b32_e32 v32, 0, v62, vcc
	v_ldexp_f64 v[28:29], v[28:29], v32
	v_rsq_f64_e32 v[32:33], v[28:29]
	s_nop 0
	v_mul_f64 v[34:35], v[28:29], v[32:33]
	v_mul_f64 v[32:33], v[32:33], 0.5
	v_fma_f64 v[36:37], -v[32:33], v[34:35], 0.5
	v_fmac_f64_e32 v[34:35], v[34:35], v[36:37]
	v_fma_f64 v[38:39], -v[34:35], v[34:35], v[28:29]
	v_fmac_f64_e32 v[32:33], v[32:33], v[36:37]
	v_fmac_f64_e32 v[34:35], v[38:39], v[32:33]
	v_fma_f64 v[36:37], -v[34:35], v[34:35], v[28:29]
	v_fmac_f64_e32 v[34:35], v[36:37], v[32:33]
	v_cndmask_b32_e32 v32, 0, v63, vcc
	v_ldexp_f64 v[32:33], v[34:35], v32
	v_cmp_class_f64_e32 vcc, v[28:29], v59
	s_nop 1
	v_cndmask_b32_e32 v29, v33, v29, vcc
	v_cndmask_b32_e32 v28, v32, v28, vcc
	v_mul_f64 v[28:29], v[30:31], v[28:29]
.LBB347_31:                             ;   in Loop: Header=BB347_5 Depth=1
	s_or_b64 exec, exec, s[4:5]
	v_xor_b32_e32 v30, 0x80000000, v17
	v_cmp_gt_f64_e32 vcc, 0, v[16:17]
	v_mov_b32_e32 v32, v16
	v_mov_b32_e32 v34, v18
	v_cndmask_b32_e32 v33, v17, v30, vcc
	v_xor_b32_e32 v30, 0x80000000, v19
	v_cmp_gt_f64_e32 vcc, 0, v[18:19]
	s_nop 1
	v_cndmask_b32_e32 v35, v19, v30, vcc
	v_cmp_ngt_f64_e32 vcc, v[32:33], v[34:35]
                                        ; implicit-def: $vgpr30_vgpr31
	s_and_saveexec_b64 s[4:5], vcc
	s_xor_b64 s[4:5], exec, s[4:5]
	s_cbranch_execz .LBB347_35
; %bb.32:                               ;   in Loop: Header=BB347_5 Depth=1
	v_mov_b64_e32 v[30:31], 0
	v_cmp_neq_f64_e32 vcc, 0, v[18:19]
	s_and_saveexec_b64 s[26:27], vcc
	s_cbranch_execz .LBB347_34
; %bb.33:                               ;   in Loop: Header=BB347_5 Depth=1
	v_div_scale_f64 v[30:31], s[34:35], v[34:35], v[34:35], v[32:33]
	v_rcp_f64_e32 v[36:37], v[30:31]
	v_div_scale_f64 v[38:39], vcc, v[32:33], v[34:35], v[32:33]
	v_fma_f64 v[48:49], -v[30:31], v[36:37], 1.0
	v_fmac_f64_e32 v[36:37], v[36:37], v[48:49]
	v_fma_f64 v[48:49], -v[30:31], v[36:37], 1.0
	v_fmac_f64_e32 v[36:37], v[36:37], v[48:49]
	v_mul_f64 v[48:49], v[38:39], v[36:37]
	v_fma_f64 v[30:31], -v[30:31], v[48:49], v[38:39]
	v_div_fmas_f64 v[30:31], v[30:31], v[36:37], v[48:49]
	v_div_fixup_f64 v[30:31], v[30:31], v[34:35], v[32:33]
	v_fma_f64 v[30:31], v[30:31], v[30:31], 1.0
	v_cmp_gt_f64_e32 vcc, s[22:23], v[30:31]
	s_nop 1
	v_cndmask_b32_e32 v32, 0, v62, vcc
	v_ldexp_f64 v[30:31], v[30:31], v32
	v_rsq_f64_e32 v[32:33], v[30:31]
	s_nop 0
	v_mul_f64 v[36:37], v[30:31], v[32:33]
	v_mul_f64 v[32:33], v[32:33], 0.5
	v_fma_f64 v[38:39], -v[32:33], v[36:37], 0.5
	v_fmac_f64_e32 v[36:37], v[36:37], v[38:39]
	v_fma_f64 v[48:49], -v[36:37], v[36:37], v[30:31]
	v_fmac_f64_e32 v[32:33], v[32:33], v[38:39]
	v_fmac_f64_e32 v[36:37], v[48:49], v[32:33]
	v_fma_f64 v[38:39], -v[36:37], v[36:37], v[30:31]
	v_fmac_f64_e32 v[36:37], v[38:39], v[32:33]
	v_cndmask_b32_e32 v32, 0, v63, vcc
	v_ldexp_f64 v[32:33], v[36:37], v32
	v_cmp_class_f64_e32 vcc, v[30:31], v59
	s_nop 1
	v_cndmask_b32_e32 v31, v33, v31, vcc
	v_cndmask_b32_e32 v30, v32, v30, vcc
	v_mul_f64 v[30:31], v[34:35], v[30:31]
.LBB347_34:                             ;   in Loop: Header=BB347_5 Depth=1
	s_or_b64 exec, exec, s[26:27]
                                        ; implicit-def: $vgpr32_vgpr33
                                        ; implicit-def: $vgpr34_vgpr35
.LBB347_35:                             ;   in Loop: Header=BB347_5 Depth=1
	s_andn2_saveexec_b64 s[4:5], s[4:5]
	s_cbranch_execz .LBB347_37
; %bb.36:                               ;   in Loop: Header=BB347_5 Depth=1
	v_div_scale_f64 v[30:31], s[26:27], v[32:33], v[32:33], v[34:35]
	v_rcp_f64_e32 v[36:37], v[30:31]
	v_div_scale_f64 v[38:39], vcc, v[34:35], v[32:33], v[34:35]
	v_fma_f64 v[48:49], -v[30:31], v[36:37], 1.0
	v_fmac_f64_e32 v[36:37], v[36:37], v[48:49]
	v_fma_f64 v[48:49], -v[30:31], v[36:37], 1.0
	v_fmac_f64_e32 v[36:37], v[36:37], v[48:49]
	v_mul_f64 v[48:49], v[38:39], v[36:37]
	v_fma_f64 v[30:31], -v[30:31], v[48:49], v[38:39]
	v_div_fmas_f64 v[30:31], v[30:31], v[36:37], v[48:49]
	v_div_fixup_f64 v[30:31], v[30:31], v[32:33], v[34:35]
	v_fma_f64 v[30:31], v[30:31], v[30:31], 1.0
	v_cmp_gt_f64_e32 vcc, s[22:23], v[30:31]
	s_nop 1
	v_cndmask_b32_e32 v34, 0, v62, vcc
	v_ldexp_f64 v[30:31], v[30:31], v34
	v_rsq_f64_e32 v[34:35], v[30:31]
	s_nop 0
	v_mul_f64 v[36:37], v[30:31], v[34:35]
	v_mul_f64 v[34:35], v[34:35], 0.5
	v_fma_f64 v[38:39], -v[34:35], v[36:37], 0.5
	v_fmac_f64_e32 v[36:37], v[36:37], v[38:39]
	v_fma_f64 v[48:49], -v[36:37], v[36:37], v[30:31]
	v_fmac_f64_e32 v[34:35], v[34:35], v[38:39]
	v_fmac_f64_e32 v[36:37], v[48:49], v[34:35]
	v_fma_f64 v[38:39], -v[36:37], v[36:37], v[30:31]
	v_fmac_f64_e32 v[36:37], v[38:39], v[34:35]
	v_cndmask_b32_e32 v34, 0, v63, vcc
	v_ldexp_f64 v[34:35], v[36:37], v34
	v_cmp_class_f64_e32 vcc, v[30:31], v59
	s_nop 1
	v_cndmask_b32_e32 v31, v35, v31, vcc
	v_cndmask_b32_e32 v30, v34, v30, vcc
	v_mul_f64 v[30:31], v[32:33], v[30:31]
.LBB347_37:                             ;   in Loop: Header=BB347_5 Depth=1
	s_or_b64 exec, exec, s[4:5]
	v_xor_b32_e32 v32, 0x80000000, v13
	v_cmp_gt_f64_e32 vcc, 0, v[12:13]
	v_mov_b32_e32 v34, v12
	v_mov_b32_e32 v36, v14
	v_cndmask_b32_e32 v35, v13, v32, vcc
	v_xor_b32_e32 v32, 0x80000000, v15
	v_cmp_gt_f64_e32 vcc, 0, v[14:15]
	s_nop 1
	v_cndmask_b32_e32 v37, v15, v32, vcc
	v_cmp_ngt_f64_e32 vcc, v[34:35], v[36:37]
                                        ; implicit-def: $vgpr32_vgpr33
	s_and_saveexec_b64 s[4:5], vcc
	s_xor_b64 s[4:5], exec, s[4:5]
	s_cbranch_execz .LBB347_41
; %bb.38:                               ;   in Loop: Header=BB347_5 Depth=1
	v_mov_b64_e32 v[32:33], 0
	v_cmp_neq_f64_e32 vcc, 0, v[14:15]
	s_and_saveexec_b64 s[26:27], vcc
	s_cbranch_execz .LBB347_40
; %bb.39:                               ;   in Loop: Header=BB347_5 Depth=1
	v_div_scale_f64 v[32:33], s[34:35], v[36:37], v[36:37], v[34:35]
	v_rcp_f64_e32 v[38:39], v[32:33]
	v_div_scale_f64 v[48:49], vcc, v[34:35], v[36:37], v[34:35]
	v_fma_f64 v[50:51], -v[32:33], v[38:39], 1.0
	v_fmac_f64_e32 v[38:39], v[38:39], v[50:51]
	v_fma_f64 v[50:51], -v[32:33], v[38:39], 1.0
	v_fmac_f64_e32 v[38:39], v[38:39], v[50:51]
	v_mul_f64 v[50:51], v[48:49], v[38:39]
	v_fma_f64 v[32:33], -v[32:33], v[50:51], v[48:49]
	v_div_fmas_f64 v[32:33], v[32:33], v[38:39], v[50:51]
	v_div_fixup_f64 v[32:33], v[32:33], v[36:37], v[34:35]
	v_fma_f64 v[32:33], v[32:33], v[32:33], 1.0
	v_cmp_gt_f64_e32 vcc, s[22:23], v[32:33]
	s_nop 1
	v_cndmask_b32_e32 v34, 0, v62, vcc
	v_ldexp_f64 v[32:33], v[32:33], v34
	v_rsq_f64_e32 v[34:35], v[32:33]
	s_nop 0
	v_mul_f64 v[38:39], v[32:33], v[34:35]
	v_mul_f64 v[34:35], v[34:35], 0.5
	v_fma_f64 v[48:49], -v[34:35], v[38:39], 0.5
	v_fmac_f64_e32 v[38:39], v[38:39], v[48:49]
	v_fma_f64 v[50:51], -v[38:39], v[38:39], v[32:33]
	v_fmac_f64_e32 v[34:35], v[34:35], v[48:49]
	v_fmac_f64_e32 v[38:39], v[50:51], v[34:35]
	v_fma_f64 v[48:49], -v[38:39], v[38:39], v[32:33]
	v_fmac_f64_e32 v[38:39], v[48:49], v[34:35]
	v_cndmask_b32_e32 v34, 0, v63, vcc
	v_ldexp_f64 v[34:35], v[38:39], v34
	v_cmp_class_f64_e32 vcc, v[32:33], v59
	s_nop 1
	v_cndmask_b32_e32 v33, v35, v33, vcc
	v_cndmask_b32_e32 v32, v34, v32, vcc
	v_mul_f64 v[32:33], v[36:37], v[32:33]
.LBB347_40:                             ;   in Loop: Header=BB347_5 Depth=1
	s_or_b64 exec, exec, s[26:27]
                                        ; implicit-def: $vgpr34_vgpr35
                                        ; implicit-def: $vgpr36_vgpr37
.LBB347_41:                             ;   in Loop: Header=BB347_5 Depth=1
	s_andn2_saveexec_b64 s[4:5], s[4:5]
	s_cbranch_execz .LBB347_43
; %bb.42:                               ;   in Loop: Header=BB347_5 Depth=1
	v_div_scale_f64 v[32:33], s[26:27], v[34:35], v[34:35], v[36:37]
	v_rcp_f64_e32 v[38:39], v[32:33]
	v_div_scale_f64 v[48:49], vcc, v[36:37], v[34:35], v[36:37]
	v_fma_f64 v[50:51], -v[32:33], v[38:39], 1.0
	v_fmac_f64_e32 v[38:39], v[38:39], v[50:51]
	v_fma_f64 v[50:51], -v[32:33], v[38:39], 1.0
	v_fmac_f64_e32 v[38:39], v[38:39], v[50:51]
	v_mul_f64 v[50:51], v[48:49], v[38:39]
	v_fma_f64 v[32:33], -v[32:33], v[50:51], v[48:49]
	v_div_fmas_f64 v[32:33], v[32:33], v[38:39], v[50:51]
	v_div_fixup_f64 v[32:33], v[32:33], v[34:35], v[36:37]
	v_fma_f64 v[32:33], v[32:33], v[32:33], 1.0
	v_cmp_gt_f64_e32 vcc, s[22:23], v[32:33]
	s_nop 1
	v_cndmask_b32_e32 v36, 0, v62, vcc
	v_ldexp_f64 v[32:33], v[32:33], v36
	v_rsq_f64_e32 v[36:37], v[32:33]
	s_nop 0
	v_mul_f64 v[38:39], v[32:33], v[36:37]
	v_mul_f64 v[36:37], v[36:37], 0.5
	v_fma_f64 v[48:49], -v[36:37], v[38:39], 0.5
	v_fmac_f64_e32 v[38:39], v[38:39], v[48:49]
	v_fma_f64 v[50:51], -v[38:39], v[38:39], v[32:33]
	v_fmac_f64_e32 v[36:37], v[36:37], v[48:49]
	v_fmac_f64_e32 v[38:39], v[50:51], v[36:37]
	v_fma_f64 v[48:49], -v[38:39], v[38:39], v[32:33]
	v_fmac_f64_e32 v[38:39], v[48:49], v[36:37]
	v_cndmask_b32_e32 v36, 0, v63, vcc
	v_ldexp_f64 v[36:37], v[38:39], v36
	v_cmp_class_f64_e32 vcc, v[32:33], v59
	s_nop 1
	v_cndmask_b32_e32 v33, v37, v33, vcc
	v_cndmask_b32_e32 v32, v36, v32, vcc
	v_mul_f64 v[32:33], v[34:35], v[32:33]
.LBB347_43:                             ;   in Loop: Header=BB347_5 Depth=1
	s_or_b64 exec, exec, s[4:5]
	v_xor_b32_e32 v34, 0x80000000, v1
	v_cmp_gt_f64_e32 vcc, 0, v[0:1]
	v_mov_b32_e32 v36, v0
	v_mov_b32_e32 v38, v2
	v_cndmask_b32_e32 v37, v1, v34, vcc
	v_xor_b32_e32 v34, 0x80000000, v3
	v_cmp_gt_f64_e32 vcc, 0, v[2:3]
	s_nop 1
	v_cndmask_b32_e32 v39, v3, v34, vcc
	v_cmp_ngt_f64_e32 vcc, v[36:37], v[38:39]
                                        ; implicit-def: $vgpr34_vgpr35
	s_and_saveexec_b64 s[4:5], vcc
	s_xor_b64 s[4:5], exec, s[4:5]
	s_cbranch_execz .LBB347_47
; %bb.44:                               ;   in Loop: Header=BB347_5 Depth=1
	v_mov_b64_e32 v[34:35], 0
	v_cmp_neq_f64_e32 vcc, 0, v[2:3]
	s_and_saveexec_b64 s[26:27], vcc
	s_cbranch_execz .LBB347_46
; %bb.45:                               ;   in Loop: Header=BB347_5 Depth=1
	v_div_scale_f64 v[34:35], s[34:35], v[38:39], v[38:39], v[36:37]
	v_rcp_f64_e32 v[48:49], v[34:35]
	v_div_scale_f64 v[50:51], vcc, v[36:37], v[38:39], v[36:37]
	v_fma_f64 v[52:53], -v[34:35], v[48:49], 1.0
	v_fmac_f64_e32 v[48:49], v[48:49], v[52:53]
	v_fma_f64 v[52:53], -v[34:35], v[48:49], 1.0
	v_fmac_f64_e32 v[48:49], v[48:49], v[52:53]
	v_mul_f64 v[52:53], v[50:51], v[48:49]
	v_fma_f64 v[34:35], -v[34:35], v[52:53], v[50:51]
	v_div_fmas_f64 v[34:35], v[34:35], v[48:49], v[52:53]
	v_div_fixup_f64 v[34:35], v[34:35], v[38:39], v[36:37]
	v_fma_f64 v[34:35], v[34:35], v[34:35], 1.0
	v_cmp_gt_f64_e32 vcc, s[22:23], v[34:35]
	s_nop 1
	v_cndmask_b32_e32 v36, 0, v62, vcc
	v_ldexp_f64 v[34:35], v[34:35], v36
	v_rsq_f64_e32 v[36:37], v[34:35]
	s_nop 0
	v_mul_f64 v[48:49], v[34:35], v[36:37]
	v_mul_f64 v[36:37], v[36:37], 0.5
	v_fma_f64 v[50:51], -v[36:37], v[48:49], 0.5
	v_fmac_f64_e32 v[48:49], v[48:49], v[50:51]
	v_fma_f64 v[52:53], -v[48:49], v[48:49], v[34:35]
	v_fmac_f64_e32 v[36:37], v[36:37], v[50:51]
	v_fmac_f64_e32 v[48:49], v[52:53], v[36:37]
	v_fma_f64 v[50:51], -v[48:49], v[48:49], v[34:35]
	v_fmac_f64_e32 v[48:49], v[50:51], v[36:37]
	v_cndmask_b32_e32 v36, 0, v63, vcc
	v_ldexp_f64 v[36:37], v[48:49], v36
	v_cmp_class_f64_e32 vcc, v[34:35], v59
	s_nop 1
	v_cndmask_b32_e32 v35, v37, v35, vcc
	v_cndmask_b32_e32 v34, v36, v34, vcc
	v_mul_f64 v[34:35], v[38:39], v[34:35]
.LBB347_46:                             ;   in Loop: Header=BB347_5 Depth=1
	s_or_b64 exec, exec, s[26:27]
                                        ; implicit-def: $vgpr36_vgpr37
                                        ; implicit-def: $vgpr38_vgpr39
.LBB347_47:                             ;   in Loop: Header=BB347_5 Depth=1
	s_andn2_saveexec_b64 s[4:5], s[4:5]
	s_cbranch_execz .LBB347_49
; %bb.48:                               ;   in Loop: Header=BB347_5 Depth=1
	v_div_scale_f64 v[34:35], s[26:27], v[36:37], v[36:37], v[38:39]
	v_rcp_f64_e32 v[48:49], v[34:35]
	v_div_scale_f64 v[50:51], vcc, v[38:39], v[36:37], v[38:39]
	v_fma_f64 v[52:53], -v[34:35], v[48:49], 1.0
	v_fmac_f64_e32 v[48:49], v[48:49], v[52:53]
	v_fma_f64 v[52:53], -v[34:35], v[48:49], 1.0
	v_fmac_f64_e32 v[48:49], v[48:49], v[52:53]
	v_mul_f64 v[52:53], v[50:51], v[48:49]
	v_fma_f64 v[34:35], -v[34:35], v[52:53], v[50:51]
	v_div_fmas_f64 v[34:35], v[34:35], v[48:49], v[52:53]
	v_div_fixup_f64 v[34:35], v[34:35], v[36:37], v[38:39]
	v_fma_f64 v[34:35], v[34:35], v[34:35], 1.0
	v_cmp_gt_f64_e32 vcc, s[22:23], v[34:35]
	s_nop 1
	v_cndmask_b32_e32 v38, 0, v62, vcc
	v_ldexp_f64 v[34:35], v[34:35], v38
	v_rsq_f64_e32 v[38:39], v[34:35]
	s_nop 0
	v_mul_f64 v[48:49], v[34:35], v[38:39]
	v_mul_f64 v[38:39], v[38:39], 0.5
	v_fma_f64 v[50:51], -v[38:39], v[48:49], 0.5
	v_fmac_f64_e32 v[48:49], v[48:49], v[50:51]
	v_fma_f64 v[52:53], -v[48:49], v[48:49], v[34:35]
	v_fmac_f64_e32 v[38:39], v[38:39], v[50:51]
	v_fmac_f64_e32 v[48:49], v[52:53], v[38:39]
	v_fma_f64 v[50:51], -v[48:49], v[48:49], v[34:35]
	v_fmac_f64_e32 v[48:49], v[50:51], v[38:39]
	v_cndmask_b32_e32 v38, 0, v63, vcc
	v_ldexp_f64 v[38:39], v[48:49], v38
	v_cmp_class_f64_e32 vcc, v[34:35], v59
	s_nop 1
	v_cndmask_b32_e32 v35, v39, v35, vcc
	v_cndmask_b32_e32 v34, v38, v34, vcc
	v_mul_f64 v[34:35], v[36:37], v[34:35]
.LBB347_49:                             ;   in Loop: Header=BB347_5 Depth=1
	s_or_b64 exec, exec, s[4:5]
	v_mul_f64 v[48:49], v[18:19], -v[6:7]
	v_fmac_f64_e32 v[48:49], v[4:5], v[16:17]
	v_mul_f64 v[50:51], v[18:19], v[4:5]
	v_fmac_f64_e32 v[50:51], v[6:7], v[16:17]
	v_xor_b32_e32 v36, 0x80000000, v49
	v_cmp_gt_f64_e32 vcc, 0, v[48:49]
	v_xor_b32_e32 v38, 0x80000000, v51
                                        ; implicit-def: $vgpr52_vgpr53
	s_nop 0
	v_cndmask_b32_e32 v37, v49, v36, vcc
	v_cmp_gt_f64_e32 vcc, 0, v[50:51]
	v_mov_b32_e32 v36, v48
	s_nop 0
	v_cndmask_b32_e32 v39, v51, v38, vcc
	v_mov_b32_e32 v38, v50
	v_cmp_ngt_f64_e32 vcc, v[36:37], v[38:39]
	s_and_saveexec_b64 s[4:5], vcc
	s_xor_b64 s[4:5], exec, s[4:5]
	s_cbranch_execz .LBB347_53
; %bb.50:                               ;   in Loop: Header=BB347_5 Depth=1
	v_mov_b64_e32 v[52:53], 0
	v_cmp_neq_f64_e32 vcc, 0, v[50:51]
	s_and_saveexec_b64 s[26:27], vcc
	s_cbranch_execz .LBB347_52
; %bb.51:                               ;   in Loop: Header=BB347_5 Depth=1
	v_div_scale_f64 v[52:53], s[34:35], v[38:39], v[38:39], v[36:37]
	v_rcp_f64_e32 v[54:55], v[52:53]
	v_div_scale_f64 v[56:57], vcc, v[36:37], v[38:39], v[36:37]
	v_fma_f64 v[64:65], -v[52:53], v[54:55], 1.0
	v_fmac_f64_e32 v[54:55], v[54:55], v[64:65]
	v_fma_f64 v[64:65], -v[52:53], v[54:55], 1.0
	v_fmac_f64_e32 v[54:55], v[54:55], v[64:65]
	v_mul_f64 v[64:65], v[56:57], v[54:55]
	v_fma_f64 v[52:53], -v[52:53], v[64:65], v[56:57]
	v_div_fmas_f64 v[52:53], v[52:53], v[54:55], v[64:65]
	v_div_fixup_f64 v[36:37], v[52:53], v[38:39], v[36:37]
	v_fma_f64 v[36:37], v[36:37], v[36:37], 1.0
	v_cmp_gt_f64_e32 vcc, s[22:23], v[36:37]
	s_nop 1
	v_cndmask_b32_e32 v45, 0, v62, vcc
	v_ldexp_f64 v[36:37], v[36:37], v45
	v_rsq_f64_e32 v[52:53], v[36:37]
	v_cndmask_b32_e32 v45, 0, v63, vcc
	v_cmp_class_f64_e32 vcc, v[36:37], v59
	v_mul_f64 v[54:55], v[36:37], v[52:53]
	v_mul_f64 v[52:53], v[52:53], 0.5
	v_fma_f64 v[56:57], -v[52:53], v[54:55], 0.5
	v_fmac_f64_e32 v[54:55], v[54:55], v[56:57]
	v_fma_f64 v[64:65], -v[54:55], v[54:55], v[36:37]
	v_fmac_f64_e32 v[52:53], v[52:53], v[56:57]
	v_fmac_f64_e32 v[54:55], v[64:65], v[52:53]
	v_fma_f64 v[56:57], -v[54:55], v[54:55], v[36:37]
	v_fmac_f64_e32 v[54:55], v[56:57], v[52:53]
	v_ldexp_f64 v[52:53], v[54:55], v45
	v_cndmask_b32_e32 v37, v53, v37, vcc
	v_cndmask_b32_e32 v36, v52, v36, vcc
	v_mul_f64 v[52:53], v[38:39], v[36:37]
.LBB347_52:                             ;   in Loop: Header=BB347_5 Depth=1
	s_or_b64 exec, exec, s[26:27]
                                        ; implicit-def: $vgpr36_vgpr37
                                        ; implicit-def: $vgpr38_vgpr39
.LBB347_53:                             ;   in Loop: Header=BB347_5 Depth=1
	s_andn2_saveexec_b64 s[4:5], s[4:5]
	s_cbranch_execz .LBB347_55
; %bb.54:                               ;   in Loop: Header=BB347_5 Depth=1
	v_div_scale_f64 v[52:53], s[26:27], v[36:37], v[36:37], v[38:39]
	v_rcp_f64_e32 v[54:55], v[52:53]
	v_div_scale_f64 v[56:57], vcc, v[38:39], v[36:37], v[38:39]
	v_fma_f64 v[64:65], -v[52:53], v[54:55], 1.0
	v_fmac_f64_e32 v[54:55], v[54:55], v[64:65]
	v_fma_f64 v[64:65], -v[52:53], v[54:55], 1.0
	v_fmac_f64_e32 v[54:55], v[54:55], v[64:65]
	v_mul_f64 v[64:65], v[56:57], v[54:55]
	v_fma_f64 v[52:53], -v[52:53], v[64:65], v[56:57]
	v_div_fmas_f64 v[52:53], v[52:53], v[54:55], v[64:65]
	v_div_fixup_f64 v[38:39], v[52:53], v[36:37], v[38:39]
	v_fma_f64 v[38:39], v[38:39], v[38:39], 1.0
	v_cmp_gt_f64_e32 vcc, s[22:23], v[38:39]
	s_nop 1
	v_cndmask_b32_e32 v45, 0, v62, vcc
	v_ldexp_f64 v[38:39], v[38:39], v45
	v_rsq_f64_e32 v[52:53], v[38:39]
	v_cndmask_b32_e32 v45, 0, v63, vcc
	v_cmp_class_f64_e32 vcc, v[38:39], v59
	v_mul_f64 v[54:55], v[38:39], v[52:53]
	v_mul_f64 v[52:53], v[52:53], 0.5
	v_fma_f64 v[56:57], -v[52:53], v[54:55], 0.5
	v_fmac_f64_e32 v[54:55], v[54:55], v[56:57]
	v_fma_f64 v[64:65], -v[54:55], v[54:55], v[38:39]
	v_fmac_f64_e32 v[52:53], v[52:53], v[56:57]
	v_fmac_f64_e32 v[54:55], v[64:65], v[52:53]
	v_fma_f64 v[56:57], -v[54:55], v[54:55], v[38:39]
	v_fmac_f64_e32 v[54:55], v[56:57], v[52:53]
	v_ldexp_f64 v[52:53], v[54:55], v45
	v_cndmask_b32_e32 v39, v53, v39, vcc
	v_cndmask_b32_e32 v38, v52, v38, vcc
	v_mul_f64 v[52:53], v[36:37], v[38:39]
.LBB347_55:                             ;   in Loop: Header=BB347_5 Depth=1
	s_or_b64 exec, exec, s[4:5]
	v_cmp_lt_f64_e32 vcc, v[24:25], v[26:27]
	v_cmp_ne_u32_e64 s[4:5], s30, v44
	s_nop 0
	v_cndmask_b32_e32 v25, v25, v27, vcc
	v_cndmask_b32_e32 v24, v24, v26, vcc
	v_cmp_lt_f64_e32 vcc, v[28:29], v[24:25]
	v_mul_f64 v[26:27], v[52:53], s[24:25]
	s_nop 0
	v_cndmask_b32_e32 v25, v29, v25, vcc
	v_cndmask_b32_e32 v24, v28, v24, vcc
	v_cmp_lt_f64_e32 vcc, v[30:31], v[24:25]
	s_nop 1
	v_cndmask_b32_e32 v25, v31, v25, vcc
	v_cndmask_b32_e32 v24, v30, v24, vcc
	v_cmp_lt_f64_e32 vcc, v[32:33], v[24:25]
	s_nop 1
	v_cndmask_b32_e32 v25, v33, v25, vcc
	v_cndmask_b32_e32 v24, v32, v24, vcc
	v_mul_f64 v[24:25], v[24:25], v[34:35]
	v_cmp_nge_f64_e32 vcc, v[24:25], v[26:27]
	s_and_b64 s[4:5], s[4:5], vcc
	s_and_saveexec_b64 s[26:27], s[4:5]
	s_xor_b64 s[4:5], exec, s[26:27]
	s_cbranch_execz .LBB347_61
; %bb.56:                               ;   in Loop: Header=BB347_5 Depth=1
	v_add_u32_e32 v52, v58, v44
	v_ashrrev_i32_e32 v45, 31, v44
	v_lshlrev_b64 v[64:65], 4, v[46:47]
	v_ashrrev_i32_e32 v53, 31, v52
	v_lshl_add_u64 v[68:69], v[44:45], 4, v[42:43]
	v_lshl_add_u64 v[70:71], s[12:13], 0, v[64:65]
	v_lshlrev_b64 v[36:37], 4, v[52:53]
	global_load_dwordx4 v[24:27], v[68:69], off
	global_load_dwordx4 v[32:35], v[70:71], off
	v_lshl_add_u64 v[56:57], s[10:11], 0, v[36:37]
	global_load_dwordx4 v[28:31], v[56:57], off
	v_lshl_add_u64 v[54:55], s[12:13], 0, v[36:37]
	global_load_dwordx4 v[36:39], v[54:55], off
	v_mul_f64 v[66:67], v[10:11], -v[2:3]
	v_mul_f64 v[72:73], v[0:1], v[10:11]
	v_fmac_f64_e32 v[66:67], v[0:1], v[8:9]
	v_fmac_f64_e32 v[72:73], v[2:3], v[8:9]
	v_lshl_add_u64 v[78:79], v[46:47], 2, s[6:7]
	v_add_f64 v[46:47], v[66:67], -v[48:49]
	v_add_f64 v[48:49], v[72:73], -v[50:51]
	v_mul_f64 v[50:51], v[48:49], v[48:49]
	v_fmac_f64_e32 v[50:51], v[46:47], v[46:47]
	v_div_scale_f64 v[66:67], s[26:27], v[50:51], v[50:51], 1.0
	v_rcp_f64_e32 v[72:73], v[66:67]
	v_lshl_add_u64 v[80:81], s[14:15], 0, v[64:65]
	v_fma_f64 v[64:65], 0, v[48:49], v[46:47]
	v_fma_f64 v[48:49], v[46:47], 0, -v[48:49]
	v_fma_f64 v[82:83], -v[66:67], v[72:73], 1.0
	v_fmac_f64_e32 v[72:73], v[72:73], v[82:83]
	v_fma_f64 v[82:83], -v[66:67], v[72:73], 1.0
	v_div_scale_f64 v[46:47], vcc, 1.0, v[50:51], 1.0
	v_fmac_f64_e32 v[72:73], v[72:73], v[82:83]
	v_mul_f64 v[82:83], v[46:47], v[72:73]
	v_fma_f64 v[46:47], -v[66:67], v[82:83], v[46:47]
	s_nop 0
	v_div_fmas_f64 v[46:47], v[46:47], v[72:73], v[82:83]
	v_mul_f64 v[74:75], v[18:19], v[14:15]
	v_mul_f64 v[76:77], v[14:15], -v[16:17]
	v_div_fixup_f64 v[50:51], v[46:47], v[50:51], 1.0
	v_fma_f64 v[74:75], -v[16:17], v[12:13], v[74:75]
	v_fma_f64 v[76:77], -v[18:19], v[12:13], v[76:77]
	v_mul_f64 v[48:49], v[48:49], v[50:51]
	v_mul_f64 v[46:47], v[64:65], v[50:51]
	v_mul_f64 v[64:65], v[48:49], -v[76:77]
	v_mul_f64 v[66:67], v[48:49], v[74:75]
	v_fmac_f64_e32 v[64:65], v[74:75], v[46:47]
	v_fmac_f64_e32 v[66:67], v[76:77], v[46:47]
	global_store_dwordx4 v[80:81], v[64:67], off
	s_waitcnt vmcnt(4)
	v_mul_f64 v[50:51], v[26:27], -v[10:11]
	v_mul_f64 v[64:65], v[8:9], v[26:27]
	s_waitcnt vmcnt(3)
	v_mul_f64 v[66:67], v[34:35], -v[10:11]
	v_mul_f64 v[72:73], v[8:9], v[34:35]
	v_fmac_f64_e32 v[50:51], v[8:9], v[24:25]
	v_fmac_f64_e32 v[64:65], v[10:11], v[24:25]
	;; [unrolled: 1-line block ×4, first 2 shown]
	s_waitcnt vmcnt(2)
	v_mul_f64 v[8:9], v[30:31], -v[18:19]
	v_mul_f64 v[10:11], v[16:17], v[30:31]
	s_waitcnt vmcnt(1)
	v_mul_f64 v[74:75], v[38:39], -v[18:19]
	v_mul_f64 v[76:77], v[16:17], v[38:39]
	v_fmac_f64_e32 v[8:9], v[16:17], v[28:29]
	v_fmac_f64_e32 v[10:11], v[18:19], v[28:29]
	;; [unrolled: 1-line block ×4, first 2 shown]
	v_add_f64 v[50:51], v[50:51], -v[8:9]
	v_add_f64 v[64:65], v[64:65], -v[10:11]
	;; [unrolled: 1-line block ×4, first 2 shown]
	v_mul_f64 v[8:9], v[48:49], -v[64:65]
	v_mul_f64 v[10:11], v[48:49], v[50:51]
	v_mul_f64 v[16:17], v[48:49], -v[72:73]
	v_mul_f64 v[18:19], v[48:49], v[66:67]
	v_fmac_f64_e32 v[8:9], v[50:51], v[46:47]
	v_fmac_f64_e32 v[10:11], v[64:65], v[46:47]
	;; [unrolled: 1-line block ×4, first 2 shown]
	global_store_dwordx4 v[68:69], v[8:11], off
	global_store_dwordx4 v[70:71], v[16:19], off
	global_store_dword v[78:79], v60, off
	s_and_saveexec_b64 s[26:27], s[0:1]
	s_cbranch_execz .LBB347_58
; %bb.57:                               ;   in Loop: Header=BB347_5 Depth=1
	v_mul_f64 v[8:9], v[6:7], v[26:27]
	v_mul_f64 v[10:11], v[26:27], -v[4:5]
	v_mul_f64 v[16:17], v[30:31], -v[2:3]
	v_mul_f64 v[18:19], v[0:1], v[30:31]
	v_fma_f64 v[8:9], -v[4:5], v[24:25], v[8:9]
	v_fma_f64 v[10:11], -v[6:7], v[24:25], v[10:11]
	v_fmac_f64_e32 v[16:17], v[0:1], v[28:29]
	v_fmac_f64_e32 v[18:19], v[2:3], v[28:29]
	v_add_f64 v[16:17], v[8:9], v[16:17]
	v_add_f64 v[18:19], v[10:11], v[18:19]
	v_mul_f64 v[8:9], v[48:49], -v[18:19]
	v_mul_f64 v[10:11], v[48:49], v[16:17]
	v_fmac_f64_e32 v[8:9], v[16:17], v[46:47]
	v_fmac_f64_e32 v[10:11], v[18:19], v[46:47]
	global_store_dwordx4 v[56:57], v[8:11], off
	v_mul_f64 v[16:17], v[38:39], -v[2:3]
	v_mul_f64 v[18:19], v[0:1], v[38:39]
	v_mul_f64 v[8:9], v[6:7], v[34:35]
	v_mul_f64 v[10:11], v[34:35], -v[4:5]
	v_fma_f64 v[8:9], -v[4:5], v[32:33], v[8:9]
	v_fma_f64 v[10:11], -v[6:7], v[32:33], v[10:11]
	v_fmac_f64_e32 v[16:17], v[0:1], v[36:37]
	v_fmac_f64_e32 v[18:19], v[2:3], v[36:37]
	v_add_f64 v[16:17], v[8:9], v[16:17]
	v_add_f64 v[18:19], v[10:11], v[18:19]
	v_mul_f64 v[8:9], v[48:49], -v[18:19]
	v_mul_f64 v[10:11], v[48:49], v[16:17]
	v_fmac_f64_e32 v[8:9], v[16:17], v[46:47]
	v_fmac_f64_e32 v[10:11], v[18:19], v[46:47]
	v_mul_f64 v[16:17], v[0:1], v[14:15]
	global_store_dwordx4 v[54:55], v[8:11], off
	v_fmac_f64_e32 v[16:17], v[2:3], v[12:13]
	s_nop 0
	v_mul_f64 v[10:11], v[14:15], -v[2:3]
	v_fmac_f64_e32 v[10:11], v[0:1], v[12:13]
	v_mul_f64 v[8:9], v[48:49], -v[16:17]
	v_fmac_f64_e32 v[8:9], v[10:11], v[46:47]
	v_mul_f64 v[10:11], v[48:49], v[10:11]
	v_fmac_f64_e32 v[10:11], v[16:17], v[46:47]
	v_lshl_add_u64 v[16:17], v[52:53], 4, s[14:15]
	global_store_dwordx4 v[16:17], v[8:11], off
	s_nop 1
	v_lshl_add_u64 v[8:9], v[52:53], 2, s[6:7]
	global_store_dword v[8:9], v60, off
.LBB347_58:                             ;   in Loop: Header=BB347_5 Depth=1
	s_or_b64 exec, exec, s[26:27]
	v_mov_b64_e32 v[10:11], 0
	v_mov_b64_e32 v[8:9], 0
	s_and_saveexec_b64 s[26:27], s[2:3]
	s_cbranch_execz .LBB347_60
; %bb.59:                               ;   in Loop: Header=BB347_5 Depth=1
	v_add_u32_e32 v8, v41, v44
	v_ashrrev_i32_e32 v9, 31, v8
	v_lshlrev_b64 v[16:17], 4, v[8:9]
	v_lshl_add_u64 v[32:33], s[10:11], 0, v[16:17]
	v_lshl_add_u64 v[16:17], s[18:19], 0, v[16:17]
	global_load_dwordx4 v[8:11], v[32:33], off
	v_mul_f64 v[34:35], v[6:7], v[22:23]
	global_load_dwordx4 v[16:19], v[16:17], off
	v_mul_f64 v[36:37], v[22:23], -v[4:5]
	v_mul_f64 v[38:39], v[22:23], -v[2:3]
	v_mul_f64 v[50:51], v[0:1], v[22:23]
	v_mul_f64 v[52:53], v[2:3], -v[22:23]
	v_mul_f64 v[54:55], v[2:3], v[20:21]
	v_fma_f64 v[4:5], -v[4:5], v[20:21], v[34:35]
	v_fma_f64 v[6:7], -v[6:7], v[20:21], v[36:37]
	v_fmac_f64_e32 v[38:39], v[0:1], v[20:21]
	v_fmac_f64_e32 v[50:51], v[2:3], v[20:21]
	;; [unrolled: 1-line block ×4, first 2 shown]
	v_mul_f64 v[0:1], v[48:49], -v[6:7]
	v_mul_f64 v[2:3], v[48:49], v[4:5]
	v_mul_f64 v[20:21], v[48:49], -v[50:51]
	v_mul_f64 v[22:23], v[48:49], v[38:39]
	;; [unrolled: 2-line block ×3, first 2 shown]
	v_fmac_f64_e32 v[0:1], v[4:5], v[46:47]
	v_fmac_f64_e32 v[2:3], v[6:7], v[46:47]
	;; [unrolled: 1-line block ×6, first 2 shown]
	v_mul_f64 v[4:5], v[2:3], v[26:27]
	v_mul_f64 v[6:7], v[26:27], -v[0:1]
	v_mul_f64 v[12:13], v[30:31], -v[22:23]
	v_mul_f64 v[26:27], v[20:21], v[30:31]
	v_mul_f64 v[30:31], v[48:49], -v[14:15]
	v_mul_f64 v[36:37], v[48:49], v[34:35]
	v_fma_f64 v[0:1], -v[0:1], v[24:25], v[4:5]
	v_fma_f64 v[2:3], -v[2:3], v[24:25], v[6:7]
	v_fmac_f64_e32 v[12:13], v[20:21], v[28:29]
	v_fmac_f64_e32 v[26:27], v[22:23], v[28:29]
	;; [unrolled: 1-line block ×4, first 2 shown]
	v_add_f64 v[0:1], v[0:1], -v[12:13]
	v_add_f64 v[2:3], v[2:3], -v[26:27]
	s_waitcnt vmcnt(1)
	v_add_f64 v[0:1], v[0:1], v[8:9]
	v_add_f64 v[2:3], v[2:3], v[10:11]
	s_waitcnt vmcnt(0)
	v_add_f64 v[8:9], v[16:17], -v[30:31]
	v_add_f64 v[10:11], v[18:19], -v[36:37]
	global_store_dwordx4 v[32:33], v[0:3], off
.LBB347_60:                             ;   in Loop: Header=BB347_5 Depth=1
	s_or_b64 exec, exec, s[26:27]
	s_nop 0
	v_mov_b64_e32 v[2:3], v[10:11]
	v_mov_b64_e32 v[0:1], v[8:9]
                                        ; implicit-def: $vgpr4_vgpr5
                                        ; implicit-def: $vgpr8_vgpr9
                                        ; implicit-def: $vgpr48_vgpr49
                                        ; implicit-def: $vgpr50_vgpr51
                                        ; implicit-def: $vgpr46_vgpr47
                                        ; implicit-def: $vgpr18_vgpr19
.LBB347_61:                             ;   in Loop: Header=BB347_5 Depth=1
	s_or_saveexec_b64 s[2:3], s[4:5]
	v_mov_b32_e32 v12, s33
	s_xor_b64 exec, exec, s[2:3]
	s_cbranch_execz .LBB347_4
; %bb.62:                               ;   in Loop: Header=BB347_5 Depth=1
	v_ashrrev_i32_e32 v45, 31, v44
	v_lshl_add_u64 v[28:29], v[44:45], 4, v[42:43]
	v_lshlrev_b64 v[24:25], 4, v[46:47]
	global_load_dwordx4 v[12:15], v[28:29], off
	v_lshl_add_u64 v[30:31], s[12:13], 0, v[24:25]
	global_load_dwordx4 v[20:23], v[30:31], off
	v_mul_f64 v[26:27], v[2:3], v[2:3]
	v_fmac_f64_e32 v[26:27], v[0:1], v[0:1]
	v_fma_f64 v[32:33], 0, v[2:3], v[0:1]
	v_fma_f64 v[2:3], v[0:1], 0, -v[2:3]
	v_div_scale_f64 v[0:1], s[4:5], v[26:27], v[26:27], 1.0
	v_rcp_f64_e32 v[36:37], v[0:1]
	v_lshl_add_u64 v[34:35], v[46:47], 2, s[6:7]
	v_lshl_add_u64 v[38:39], s[14:15], 0, v[24:25]
	v_div_scale_f64 v[24:25], vcc, 1.0, v[26:27], 1.0
	v_fma_f64 v[46:47], -v[0:1], v[36:37], 1.0
	v_fmac_f64_e32 v[36:37], v[36:37], v[46:47]
	v_fma_f64 v[46:47], -v[0:1], v[36:37], 1.0
	v_fmac_f64_e32 v[36:37], v[36:37], v[46:47]
	v_mul_f64 v[46:47], v[24:25], v[36:37]
	v_fma_f64 v[0:1], -v[0:1], v[46:47], v[24:25]
	v_div_fmas_f64 v[0:1], v[0:1], v[36:37], v[46:47]
	v_div_fixup_f64 v[24:25], v[0:1], v[26:27], 1.0
	v_mul_f64 v[2:3], v[2:3], v[24:25]
	v_mul_f64 v[0:1], v[32:33], v[24:25]
	v_mul_f64 v[24:25], v[2:3], -v[18:19]
	v_mul_f64 v[26:27], v[2:3], v[16:17]
	v_fmac_f64_e32 v[24:25], v[16:17], v[0:1]
	v_fmac_f64_e32 v[26:27], v[18:19], v[0:1]
	global_store_dwordx4 v[38:39], v[24:27], off
	s_waitcnt vmcnt(2)
	v_mul_f64 v[16:17], v[2:3], -v[14:15]
	v_mul_f64 v[18:19], v[2:3], v[12:13]
	s_waitcnt vmcnt(1)
	v_mul_f64 v[24:25], v[2:3], -v[22:23]
	v_mul_f64 v[26:27], v[2:3], v[20:21]
	v_fmac_f64_e32 v[16:17], v[12:13], v[0:1]
	v_fmac_f64_e32 v[18:19], v[14:15], v[0:1]
	;; [unrolled: 1-line block ×4, first 2 shown]
	global_store_dwordx4 v[28:29], v[16:19], off
	global_store_dwordx4 v[30:31], v[24:27], off
	global_store_dword v[34:35], v61, off
	s_and_saveexec_b64 s[4:5], s[0:1]
	s_cbranch_execz .LBB347_3
; %bb.63:                               ;   in Loop: Header=BB347_5 Depth=1
	v_add_u32_e32 v16, v58, v44
	v_ashrrev_i32_e32 v17, 31, v16
	v_lshl_add_u64 v[20:21], v[16:17], 4, s[10:11]
	global_load_dwordx4 v[16:19], v[20:21], off
	v_mul_f64 v[22:23], v[2:3], v[4:5]
	v_mul_f64 v[24:25], v[2:3], -v[6:7]
	v_fmac_f64_e32 v[22:23], v[6:7], v[0:1]
	v_fmac_f64_e32 v[24:25], v[4:5], v[0:1]
	v_mul_f64 v[4:5], v[22:23], v[14:15]
	v_mul_f64 v[6:7], v[14:15], -v[24:25]
	v_fma_f64 v[4:5], -v[24:25], v[12:13], v[4:5]
	v_fma_f64 v[6:7], -v[22:23], v[12:13], v[6:7]
	s_waitcnt vmcnt(0)
	v_add_f64 v[4:5], v[4:5], v[16:17]
	v_add_f64 v[6:7], v[6:7], v[18:19]
	global_store_dwordx4 v[20:21], v[4:7], off
	s_branch .LBB347_3
.LBB347_64:
	s_or_b64 exec, exec, s[20:21]
.LBB347_65:
	v_subrev_u32_e32 v2, s28, v44
	v_add_u32_e32 v0, v2, v40
	v_ashrrev_i32_e32 v1, 31, v0
	s_waitcnt lgkmcnt(0)
	v_lshl_add_u64 v[0:1], v[0:1], 2, s[6:7]
	buffer_wbl2 sc1
	s_waitcnt vmcnt(0)
	buffer_inv sc1
	global_load_dword v0, v[0:1], off
	s_waitcnt vmcnt(0)
	v_mul_lo_u32 v0, v0, s28
	v_sub_u32_e32 v4, v2, v0
	v_cmp_lt_i32_e32 vcc, -1, v4
	s_and_b64 exec, exec, vcc
	s_cbranch_execz .LBB347_72
; %bb.66:
	v_subrev_u32_e32 v12, s28, v40
	s_lshl_b32 s4, s28, 1
	s_mov_b64 s[0:1], 0
	s_branch .LBB347_68
.LBB347_67:                             ;   in Loop: Header=BB347_68 Depth=1
	s_or_b64 exec, exec, s[2:3]
	v_lshl_add_u64 v[6:7], v[6:7], 4, s[12:13]
	global_load_dwordx4 v[0:3], v[6:7], off
	v_sub_u32_e32 v4, v4, v5
	v_cmp_gt_i32_e32 vcc, 0, v4
	s_or_b64 s[0:1], vcc, s[0:1]
	s_waitcnt vmcnt(0)
	v_add_f64 v[0:1], v[0:1], v[8:9]
	v_add_f64 v[2:3], v[10:11], v[2:3]
	global_store_dwordx4 v[6:7], v[0:3], off
	s_andn2_b64 exec, exec, s[0:1]
	s_cbranch_execz .LBB347_72
.LBB347_68:                             ; =>This Inner Loop Header: Depth=1
	v_add_u32_e32 v6, v4, v40
	v_ashrrev_i32_e32 v7, 31, v6
	v_lshl_add_u64 v[0:1], v[6:7], 2, s[6:7]
	global_load_dword v5, v[0:1], off
	v_lshl_add_u64 v[0:1], v[6:7], 4, s[14:15]
	global_load_dwordx4 v[0:3], v[0:1], off
                                        ; implicit-def: $vgpr10_vgpr11
                                        ; implicit-def: $vgpr8_vgpr9
	s_waitcnt vmcnt(1)
	v_cmp_ne_u32_e32 vcc, 1, v5
	s_and_saveexec_b64 s[2:3], vcc
	s_xor_b64 s[2:3], exec, s[2:3]
	s_cbranch_execz .LBB347_70
; %bb.69:                               ;   in Loop: Header=BB347_68 Depth=1
	v_add_u32_e32 v8, v58, v4
	v_ashrrev_i32_e32 v9, 31, v8
	v_lshlrev_b64 v[14:15], 4, v[8:9]
	v_lshl_add_u64 v[30:31], s[10:11], 0, v[14:15]
	global_load_dwordx4 v[8:11], v[30:31], off
	v_lshl_add_u64 v[32:33], s[12:13], 0, v[14:15]
	v_ashrrev_i32_e32 v5, 31, v4
	global_load_dwordx4 v[14:17], v[32:33], off
	v_lshl_add_u64 v[34:35], v[4:5], 4, v[42:43]
	global_load_dwordx4 v[18:21], v[34:35], off
	v_lshl_add_u64 v[36:37], v[6:7], 4, s[12:13]
	global_load_dwordx4 v[22:25], v[36:37], off
	v_add_u32_e32 v38, v12, v4
	v_ashrrev_i32_e32 v39, 31, v38
	v_lshlrev_b64 v[44:45], 4, v[38:39]
	v_lshl_add_u64 v[6:7], s[14:15], 0, v[44:45]
	global_load_dwordx4 v[26:29], v[6:7], off
	s_waitcnt vmcnt(4)
	v_mul_f64 v[6:7], v[2:3], v[10:11]
	v_mul_f64 v[10:11], v[10:11], -v[0:1]
	v_fma_f64 v[6:7], -v[0:1], v[8:9], v[6:7]
	s_waitcnt vmcnt(3)
	v_mul_f64 v[46:47], v[2:3], v[16:17]
	v_mul_f64 v[16:17], v[16:17], -v[0:1]
	v_fma_f64 v[8:9], -v[2:3], v[8:9], v[10:11]
	v_fma_f64 v[10:11], -v[0:1], v[14:15], v[46:47]
	;; [unrolled: 1-line block ×3, first 2 shown]
	s_waitcnt vmcnt(2)
	v_add_f64 v[0:1], v[18:19], v[6:7]
	v_add_f64 v[2:3], v[8:9], v[20:21]
	global_store_dwordx4 v[34:35], v[0:3], off
	s_waitcnt vmcnt(2)
	v_add_f64 v[6:7], v[22:23], v[10:11]
	v_add_f64 v[8:9], v[14:15], v[24:25]
	global_load_dwordx4 v[0:3], v[30:31], off
	v_lshl_add_u64 v[18:19], s[10:11], 0, v[44:45]
	global_store_dwordx4 v[36:37], v[6:9], off
	global_load_dwordx4 v[6:9], v[32:33], off
	s_waitcnt vmcnt(0)
	v_mul_f64 v[20:21], v[28:29], v[8:9]
	global_load_dwordx4 v[14:17], v[18:19], off
	v_mul_f64 v[10:11], v[28:29], v[2:3]
	v_mul_f64 v[2:3], v[2:3], -v[26:27]
	v_fma_f64 v[24:25], -v[26:27], v[0:1], v[10:11]
	v_fma_f64 v[2:3], -v[28:29], v[0:1], v[2:3]
	v_mul_f64 v[22:23], v[8:9], -v[26:27]
	v_fma_f64 v[8:9], -v[26:27], v[6:7], v[20:21]
	v_fma_f64 v[10:11], -v[28:29], v[6:7], v[22:23]
	v_mov_b64_e32 v[6:7], v[38:39]
	s_waitcnt vmcnt(0)
	v_add_f64 v[0:1], v[14:15], v[24:25]
	v_add_f64 v[2:3], v[2:3], v[16:17]
	global_store_dwordx4 v[18:19], v[0:3], off
                                        ; implicit-def: $vgpr2_vgpr3
.LBB347_70:                             ;   in Loop: Header=BB347_68 Depth=1
	s_or_saveexec_b64 s[2:3], s[2:3]
	v_mov_b32_e32 v5, s4
	s_xor_b64 exec, exec, s[2:3]
	s_cbranch_execz .LBB347_67
; %bb.71:                               ;   in Loop: Header=BB347_68 Depth=1
	v_add_u32_e32 v8, v58, v4
	v_ashrrev_i32_e32 v9, 31, v8
	v_lshlrev_b64 v[14:15], 4, v[8:9]
	v_lshl_add_u64 v[8:9], s[10:11], 0, v[14:15]
	global_load_dwordx4 v[8:11], v[8:9], off
	v_lshl_add_u64 v[14:15], s[12:13], 0, v[14:15]
	v_ashrrev_i32_e32 v5, 31, v4
	global_load_dwordx4 v[14:17], v[14:15], off
	v_lshl_add_u64 v[22:23], v[4:5], 4, v[42:43]
	global_load_dwordx4 v[18:21], v[22:23], off
	v_mov_b32_e32 v5, s28
	s_waitcnt vmcnt(2)
	v_mul_f64 v[24:25], v[2:3], v[10:11]
	v_mul_f64 v[10:11], v[10:11], -v[0:1]
	v_fma_f64 v[24:25], -v[0:1], v[8:9], v[24:25]
	s_waitcnt vmcnt(1)
	v_mul_f64 v[26:27], v[2:3], v[16:17]
	v_mul_f64 v[16:17], v[16:17], -v[0:1]
	v_fma_f64 v[28:29], -v[2:3], v[8:9], v[10:11]
	v_fma_f64 v[8:9], -v[0:1], v[14:15], v[26:27]
	;; [unrolled: 1-line block ×3, first 2 shown]
	s_waitcnt vmcnt(0)
	v_add_f64 v[0:1], v[18:19], v[24:25]
	v_add_f64 v[2:3], v[28:29], v[20:21]
	global_store_dwordx4 v[22:23], v[0:3], off
	s_branch .LBB347_67
.LBB347_72:
	s_endpgm
	.section	.rodata,"a",@progbits
	.p2align	6, 0x0
	.amdhsa_kernel _ZN9rocsparseL18gtsv_LBM_wv_kernelILj256ELj256E21rocsparse_complex_numIdEEEviiiPKT1_S5_S5_PS3_S6_S6_Pi
		.amdhsa_group_segment_fixed_size 0
		.amdhsa_private_segment_fixed_size 0
		.amdhsa_kernarg_size 72
		.amdhsa_user_sgpr_count 2
		.amdhsa_user_sgpr_dispatch_ptr 0
		.amdhsa_user_sgpr_queue_ptr 0
		.amdhsa_user_sgpr_kernarg_segment_ptr 1
		.amdhsa_user_sgpr_dispatch_id 0
		.amdhsa_user_sgpr_kernarg_preload_length 0
		.amdhsa_user_sgpr_kernarg_preload_offset 0
		.amdhsa_user_sgpr_private_segment_size 0
		.amdhsa_uses_dynamic_stack 0
		.amdhsa_enable_private_segment 0
		.amdhsa_system_sgpr_workgroup_id_x 1
		.amdhsa_system_sgpr_workgroup_id_y 0
		.amdhsa_system_sgpr_workgroup_id_z 0
		.amdhsa_system_sgpr_workgroup_info 0
		.amdhsa_system_vgpr_workitem_id 0
		.amdhsa_next_free_vgpr 84
		.amdhsa_next_free_sgpr 36
		.amdhsa_accum_offset 84
		.amdhsa_reserve_vcc 1
		.amdhsa_float_round_mode_32 0
		.amdhsa_float_round_mode_16_64 0
		.amdhsa_float_denorm_mode_32 3
		.amdhsa_float_denorm_mode_16_64 3
		.amdhsa_dx10_clamp 1
		.amdhsa_ieee_mode 1
		.amdhsa_fp16_overflow 0
		.amdhsa_tg_split 0
		.amdhsa_exception_fp_ieee_invalid_op 0
		.amdhsa_exception_fp_denorm_src 0
		.amdhsa_exception_fp_ieee_div_zero 0
		.amdhsa_exception_fp_ieee_overflow 0
		.amdhsa_exception_fp_ieee_underflow 0
		.amdhsa_exception_fp_ieee_inexact 0
		.amdhsa_exception_int_div_zero 0
	.end_amdhsa_kernel
	.section	.text._ZN9rocsparseL18gtsv_LBM_wv_kernelILj256ELj256E21rocsparse_complex_numIdEEEviiiPKT1_S5_S5_PS3_S6_S6_Pi,"axG",@progbits,_ZN9rocsparseL18gtsv_LBM_wv_kernelILj256ELj256E21rocsparse_complex_numIdEEEviiiPKT1_S5_S5_PS3_S6_S6_Pi,comdat
.Lfunc_end347:
	.size	_ZN9rocsparseL18gtsv_LBM_wv_kernelILj256ELj256E21rocsparse_complex_numIdEEEviiiPKT1_S5_S5_PS3_S6_S6_Pi, .Lfunc_end347-_ZN9rocsparseL18gtsv_LBM_wv_kernelILj256ELj256E21rocsparse_complex_numIdEEEviiiPKT1_S5_S5_PS3_S6_S6_Pi
                                        ; -- End function
	.set _ZN9rocsparseL18gtsv_LBM_wv_kernelILj256ELj256E21rocsparse_complex_numIdEEEviiiPKT1_S5_S5_PS3_S6_S6_Pi.num_vgpr, 84
	.set _ZN9rocsparseL18gtsv_LBM_wv_kernelILj256ELj256E21rocsparse_complex_numIdEEEviiiPKT1_S5_S5_PS3_S6_S6_Pi.num_agpr, 0
	.set _ZN9rocsparseL18gtsv_LBM_wv_kernelILj256ELj256E21rocsparse_complex_numIdEEEviiiPKT1_S5_S5_PS3_S6_S6_Pi.numbered_sgpr, 36
	.set _ZN9rocsparseL18gtsv_LBM_wv_kernelILj256ELj256E21rocsparse_complex_numIdEEEviiiPKT1_S5_S5_PS3_S6_S6_Pi.num_named_barrier, 0
	.set _ZN9rocsparseL18gtsv_LBM_wv_kernelILj256ELj256E21rocsparse_complex_numIdEEEviiiPKT1_S5_S5_PS3_S6_S6_Pi.private_seg_size, 0
	.set _ZN9rocsparseL18gtsv_LBM_wv_kernelILj256ELj256E21rocsparse_complex_numIdEEEviiiPKT1_S5_S5_PS3_S6_S6_Pi.uses_vcc, 1
	.set _ZN9rocsparseL18gtsv_LBM_wv_kernelILj256ELj256E21rocsparse_complex_numIdEEEviiiPKT1_S5_S5_PS3_S6_S6_Pi.uses_flat_scratch, 0
	.set _ZN9rocsparseL18gtsv_LBM_wv_kernelILj256ELj256E21rocsparse_complex_numIdEEEviiiPKT1_S5_S5_PS3_S6_S6_Pi.has_dyn_sized_stack, 0
	.set _ZN9rocsparseL18gtsv_LBM_wv_kernelILj256ELj256E21rocsparse_complex_numIdEEEviiiPKT1_S5_S5_PS3_S6_S6_Pi.has_recursion, 0
	.set _ZN9rocsparseL18gtsv_LBM_wv_kernelILj256ELj256E21rocsparse_complex_numIdEEEviiiPKT1_S5_S5_PS3_S6_S6_Pi.has_indirect_call, 0
	.section	.AMDGPU.csdata,"",@progbits
; Kernel info:
; codeLenInByte = 6676
; TotalNumSgprs: 42
; NumVgprs: 84
; NumAgprs: 0
; TotalNumVgprs: 84
; ScratchSize: 0
; MemoryBound: 1
; FloatMode: 240
; IeeeMode: 1
; LDSByteSize: 0 bytes/workgroup (compile time only)
; SGPRBlocks: 5
; VGPRBlocks: 10
; NumSGPRsForWavesPerEU: 42
; NumVGPRsForWavesPerEU: 84
; AccumOffset: 84
; Occupancy: 5
; WaveLimiterHint : 0
; COMPUTE_PGM_RSRC2:SCRATCH_EN: 0
; COMPUTE_PGM_RSRC2:USER_SGPR: 2
; COMPUTE_PGM_RSRC2:TRAP_HANDLER: 0
; COMPUTE_PGM_RSRC2:TGID_X_EN: 1
; COMPUTE_PGM_RSRC2:TGID_Y_EN: 0
; COMPUTE_PGM_RSRC2:TGID_Z_EN: 0
; COMPUTE_PGM_RSRC2:TIDIG_COMP_CNT: 0
; COMPUTE_PGM_RSRC3_GFX90A:ACCUM_OFFSET: 20
; COMPUTE_PGM_RSRC3_GFX90A:TG_SPLIT: 0
	.section	.text._ZN9rocsparseL19gtsv_LBM_rhs_kernelILj256ELj256ELj8E21rocsparse_complex_numIdEEEviiiPKT2_S5_S5_PS3_S5_PKi,"axG",@progbits,_ZN9rocsparseL19gtsv_LBM_rhs_kernelILj256ELj256ELj8E21rocsparse_complex_numIdEEEviiiPKT2_S5_S5_PS3_S5_PKi,comdat
	.globl	_ZN9rocsparseL19gtsv_LBM_rhs_kernelILj256ELj256ELj8E21rocsparse_complex_numIdEEEviiiPKT2_S5_S5_PS3_S5_PKi ; -- Begin function _ZN9rocsparseL19gtsv_LBM_rhs_kernelILj256ELj256ELj8E21rocsparse_complex_numIdEEEviiiPKT2_S5_S5_PS3_S5_PKi
	.p2align	8
	.type	_ZN9rocsparseL19gtsv_LBM_rhs_kernelILj256ELj256ELj8E21rocsparse_complex_numIdEEEviiiPKT2_S5_S5_PS3_S5_PKi,@function
_ZN9rocsparseL19gtsv_LBM_rhs_kernelILj256ELj256ELj8E21rocsparse_complex_numIdEEEviiiPKT2_S5_S5_PS3_S5_PKi: ; @_ZN9rocsparseL19gtsv_LBM_rhs_kernelILj256ELj256ELj8E21rocsparse_complex_numIdEEEviiiPKT2_S5_S5_PS3_S5_PKi
; %bb.0:
	s_load_dword s23, s[0:1], 0x0
	v_lshl_or_b32 v44, s2, 8, v0
	s_waitcnt lgkmcnt(0)
	s_lshr_b32 s22, s23, 8
	v_cmp_gt_i32_e32 vcc, s22, v44
	s_and_saveexec_b64 s[4:5], vcc
	s_cbranch_execz .LBB348_29
; %bb.1:
	s_load_dwordx4 s[8:11], s[0:1], 0x28
	s_load_dwordx2 s[6:7], s[0:1], 0x38
	s_cmp_lt_i32 s23, 1
	v_add_u32_e32 v114, s22, v44
	s_mul_i32 s24, s3, s23
	s_cbranch_scc1 .LBB348_21
; %bb.2:
	s_load_dwordx4 s[12:15], s[0:1], 0x10
	s_load_dwordx2 s[16:17], s[0:1], 0x20
	v_ashrrev_i32_e32 v45, 31, v44
	s_lshl_b32 s28, s24, 3
	s_add_i32 s29, s28, s23
	s_waitcnt lgkmcnt(0)
	v_lshl_add_u64 v[0:1], v[44:45], 4, s[14:15]
	global_load_dwordx4 v[0:3], v[0:1], off
	s_add_i32 s30, s29, s23
	s_add_i32 s31, s30, s23
	;; [unrolled: 1-line block ×5, first 2 shown]
	s_mul_i32 s25, s22, 0xff
	s_mul_i32 s26, s22, 0xfe
	s_lshl_b32 s27, s22, 1
	v_add_u32_e32 v45, s22, v114
	s_add_i32 s36, s35, s23
	v_mov_b32_e32 v47, 0
	s_mov_b64 s[18:19], 0
	v_mov_b32_e32 v115, 0
	s_branch .LBB348_5
.LBB348_3:                              ;   in Loop: Header=BB348_5 Depth=1
	s_or_b64 exec, exec, s[4:5]
	v_fmac_f64_e32 v[50:51], v[4:5], v[8:9]
	v_fmac_f64_e32 v[48:49], v[6:7], v[8:9]
	v_mul_f64 v[0:1], v[52:53], -v[48:49]
	v_mul_f64 v[2:3], v[52:53], v[50:51]
	v_fmac_f64_e32 v[0:1], v[50:51], v[10:11]
	v_fmac_f64_e32 v[2:3], v[48:49], v[10:11]
	v_add_f64 v[0:1], v[12:13], -v[0:1]
	v_add_f64 v[2:3], v[14:15], -v[2:3]
	v_mov_b32_e32 v10, s22
.LBB348_4:                              ;   in Loop: Header=BB348_5 Depth=1
	s_or_b64 exec, exec, s[2:3]
	v_add_u32_e32 v115, v10, v115
	v_cmp_le_i32_e32 vcc, s23, v115
	s_or_b64 s[18:19], vcc, s[18:19]
	s_andn2_b64 exec, exec, s[18:19]
	s_cbranch_execz .LBB348_20
.LBB348_5:                              ; =>This Inner Loop Header: Depth=1
	v_add_u32_e32 v24, v115, v44
	v_ashrrev_i32_e32 v25, 31, v24
	v_lshl_add_u64 v[4:5], v[24:25], 4, s[16:17]
	global_load_dwordx4 v[8:11], v[4:5], off
	v_cmp_gt_u32_e64 s[0:1], s25, v115
	v_mov_b64_e32 v[12:13], 0
	v_mov_b64_e32 v[4:5], 0
	;; [unrolled: 1-line block ×3, first 2 shown]
	s_and_saveexec_b64 s[2:3], s[0:1]
	s_cbranch_execz .LBB348_7
; %bb.6:                                ;   in Loop: Header=BB348_5 Depth=1
	v_add_u32_e32 v4, v114, v115
	v_ashrrev_i32_e32 v5, 31, v4
	v_lshl_add_u64 v[4:5], v[4:5], 4, s[12:13]
	global_load_dwordx4 v[4:7], v[4:5], off
.LBB348_7:                              ;   in Loop: Header=BB348_5 Depth=1
	s_or_b64 exec, exec, s[2:3]
	v_mov_b64_e32 v[14:15], 0
	s_and_saveexec_b64 s[2:3], s[0:1]
	s_cbranch_execz .LBB348_9
; %bb.8:                                ;   in Loop: Header=BB348_5 Depth=1
	v_add_u32_e32 v12, v114, v115
	v_ashrrev_i32_e32 v13, 31, v12
	v_lshl_add_u64 v[12:13], v[12:13], 4, s[14:15]
	global_load_dwordx4 v[12:15], v[12:13], off
.LBB348_9:                              ;   in Loop: Header=BB348_5 Depth=1
	s_or_b64 exec, exec, s[2:3]
	v_mov_b64_e32 v[20:21], 0
	v_mov_b64_e32 v[16:17], 0
	;; [unrolled: 1-line block ×3, first 2 shown]
	s_and_saveexec_b64 s[2:3], s[0:1]
	s_cbranch_execz .LBB348_11
; %bb.10:                               ;   in Loop: Header=BB348_5 Depth=1
	v_add_u32_e32 v16, v114, v115
	v_ashrrev_i32_e32 v17, 31, v16
	v_lshl_add_u64 v[16:17], v[16:17], 4, s[16:17]
	global_load_dwordx4 v[16:19], v[16:17], off
.LBB348_11:                             ;   in Loop: Header=BB348_5 Depth=1
	s_or_b64 exec, exec, s[2:3]
	v_cmp_gt_u32_e64 s[2:3], s26, v115
	v_mov_b64_e32 v[22:23], 0
	s_and_saveexec_b64 s[4:5], s[2:3]
	s_cbranch_execz .LBB348_13
; %bb.12:                               ;   in Loop: Header=BB348_5 Depth=1
	v_add_u32_e32 v20, v45, v115
	v_ashrrev_i32_e32 v21, 31, v20
	v_lshl_add_u64 v[20:21], v[20:21], 4, s[12:13]
	global_load_dwordx4 v[20:23], v[20:21], off
.LBB348_13:                             ;   in Loop: Header=BB348_5 Depth=1
	s_or_b64 exec, exec, s[4:5]
	v_lshl_add_u64 v[26:27], v[24:25], 2, s[6:7]
	global_load_dword v25, v[26:27], off
	v_cmp_ne_u32_e32 vcc, s25, v115
	s_waitcnt vmcnt(1)
	v_mul_f64 v[50:51], v[10:11], -v[6:7]
	v_mul_f64 v[48:49], v[10:11], v[4:5]
	v_add_u32_e32 v46, s28, v24
	v_add_u32_e32 v42, s29, v24
	;; [unrolled: 1-line block ×8, first 2 shown]
	s_waitcnt vmcnt(0)
	v_cmp_ne_u32_e64 s[4:5], 1, v25
	s_and_b64 s[4:5], vcc, s[4:5]
	s_and_saveexec_b64 s[20:21], s[4:5]
	s_xor_b64 s[4:5], exec, s[20:21]
	s_cbranch_execz .LBB348_17
; %bb.14:                               ;   in Loop: Header=BB348_5 Depth=1
	v_add_u32_e32 v82, v114, v115
	v_lshl_add_u64 v[34:35], v[46:47], 4, s[8:9]
	v_add_u32_e32 v46, s28, v82
	v_lshl_add_u64 v[54:55], v[46:47], 4, s[8:9]
	global_load_dwordx4 v[24:27], v[34:35], off
	global_load_dwordx4 v[56:59], v[54:55], off
	v_mov_b32_e32 v43, v47
	v_add_u32_e32 v46, s29, v82
	v_lshl_add_u64 v[42:43], v[42:43], 4, s[8:9]
	v_lshl_add_u64 v[72:73], v[46:47], 4, s[8:9]
	global_load_dwordx4 v[60:63], v[42:43], off
	global_load_dwordx4 v[64:67], v[72:73], off
	v_mul_f64 v[68:69], v[14:15], -v[2:3]
	v_mul_f64 v[70:71], v[0:1], v[14:15]
	v_mov_b32_e32 v41, v47
	v_add_u32_e32 v46, s30, v82
	v_fmac_f64_e32 v[50:51], v[4:5], v[8:9]
	v_fmac_f64_e32 v[48:49], v[6:7], v[8:9]
	v_mov_b32_e32 v39, v47
	v_mov_b32_e32 v37, v47
	;; [unrolled: 1-line block ×4, first 2 shown]
	v_fmac_f64_e32 v[68:69], v[0:1], v[12:13]
	v_fmac_f64_e32 v[70:71], v[2:3], v[12:13]
	v_lshl_add_u64 v[52:53], v[40:41], 4, s[8:9]
	v_lshl_add_u64 v[112:113], v[46:47], 4, s[8:9]
	;; [unrolled: 1-line block ×6, first 2 shown]
	v_add_f64 v[28:29], v[68:69], -v[50:51]
	v_add_f64 v[30:31], v[70:71], -v[48:49]
	global_load_dwordx4 v[48:51], v[52:53], off
	global_load_dwordx4 v[76:79], v[40:41], off
	global_load_dwordx4 v[116:119], v[38:39], off
	global_load_dwordx4 v[120:123], v[112:113], off
	v_add_u32_e32 v46, s31, v82
	v_lshl_add_u64 v[110:111], v[46:47], 4, s[8:9]
	global_load_dwordx4 v[124:127], v[110:111], off
	v_add_u32_e32 v46, s33, v82
	v_lshl_add_u64 v[108:109], v[46:47], 4, s[8:9]
	global_load_dwordx4 v[128:131], v[108:109], off
	v_add_u32_e32 v46, s34, v82
	v_mov_b32_e32 v33, v47
	v_lshl_add_u64 v[106:107], v[46:47], 4, s[8:9]
	v_add_u32_e32 v46, s35, v82
	v_lshl_add_u64 v[32:33], v[32:33], 4, s[8:9]
	v_lshl_add_u64 v[104:105], v[46:47], 4, s[8:9]
	v_add_u32_e32 v46, s36, v82
	v_lshl_add_u64 v[102:103], v[46:47], 4, s[8:9]
	global_load_dwordx4 v[132:135], v[32:33], off
	global_load_dwordx4 v[136:139], v[36:37], off
	;; [unrolled: 1-line block ×6, first 2 shown]
	v_mul_f64 v[68:69], v[30:31], v[30:31]
	v_fmac_f64_e32 v[68:69], v[28:29], v[28:29]
	v_fma_f64 v[70:71], 0, v[30:31], v[28:29]
	v_fma_f64 v[30:31], v[28:29], 0, -v[30:31]
	v_div_scale_f64 v[28:29], s[20:21], v[68:69], v[68:69], 1.0
	v_rcp_f64_e32 v[80:81], v[28:29]
	v_div_scale_f64 v[74:75], vcc, 1.0, v[68:69], 1.0
	v_fma_f64 v[82:83], -v[28:29], v[80:81], 1.0
	v_fmac_f64_e32 v[80:81], v[80:81], v[82:83]
	v_fma_f64 v[82:83], -v[28:29], v[80:81], 1.0
	v_fmac_f64_e32 v[80:81], v[80:81], v[82:83]
	v_mul_f64 v[82:83], v[74:75], v[80:81]
	v_fma_f64 v[28:29], -v[28:29], v[82:83], v[74:75]
	v_div_fmas_f64 v[28:29], v[28:29], v[80:81], v[82:83]
	v_div_fixup_f64 v[68:69], v[28:29], v[68:69], 1.0
	v_mul_f64 v[30:31], v[30:31], v[68:69]
	v_mul_f64 v[28:29], v[70:71], v[68:69]
	s_waitcnt vmcnt(15)
	v_mul_f64 v[96:97], v[30:31], v[24:25]
	s_waitcnt vmcnt(14)
	v_mul_f64 v[98:99], v[30:31], v[56:57]
	v_mul_f64 v[84:85], v[30:31], -v[26:27]
	v_fmac_f64_e32 v[96:97], v[26:27], v[28:29]
	v_mul_f64 v[88:89], v[30:31], -v[58:59]
	v_fmac_f64_e32 v[98:99], v[58:59], v[28:29]
	v_fmac_f64_e32 v[84:85], v[24:25], v[28:29]
	v_mul_f64 v[24:25], v[96:97], -v[14:15]
	v_mul_f64 v[26:27], v[12:13], v[96:97]
	v_fmac_f64_e32 v[88:89], v[56:57], v[28:29]
	v_mul_f64 v[56:57], v[98:99], -v[10:11]
	v_mul_f64 v[58:59], v[8:9], v[98:99]
	v_fmac_f64_e32 v[24:25], v[12:13], v[84:85]
	v_fmac_f64_e32 v[26:27], v[14:15], v[84:85]
	;; [unrolled: 1-line block ×4, first 2 shown]
	s_waitcnt vmcnt(13)
	v_mul_f64 v[80:81], v[30:31], v[60:61]
	s_waitcnt vmcnt(12)
	v_mul_f64 v[82:83], v[30:31], v[64:65]
	v_add_f64 v[24:25], v[24:25], -v[56:57]
	v_add_f64 v[26:27], v[26:27], -v[58:59]
	v_mul_f64 v[70:71], v[30:31], -v[62:63]
	v_fmac_f64_e32 v[80:81], v[62:63], v[28:29]
	v_mul_f64 v[74:75], v[30:31], -v[66:67]
	v_fmac_f64_e32 v[82:83], v[66:67], v[28:29]
	global_store_dwordx4 v[34:35], v[24:27], off
	v_fmac_f64_e32 v[70:71], v[60:61], v[28:29]
	v_fmac_f64_e32 v[74:75], v[64:65], v[28:29]
	v_mul_f64 v[24:25], v[80:81], -v[14:15]
	v_mul_f64 v[26:27], v[12:13], v[80:81]
	v_mul_f64 v[34:35], v[82:83], -v[10:11]
	v_mul_f64 v[56:57], v[8:9], v[82:83]
	v_fmac_f64_e32 v[24:25], v[12:13], v[70:71]
	v_fmac_f64_e32 v[26:27], v[14:15], v[70:71]
	;; [unrolled: 1-line block ×4, first 2 shown]
	s_waitcnt vmcnt(12)
	v_mul_f64 v[92:93], v[30:31], v[48:49]
	s_waitcnt vmcnt(9)
	v_mul_f64 v[94:95], v[30:31], v[120:121]
	v_add_f64 v[24:25], v[24:25], -v[34:35]
	v_add_f64 v[26:27], v[26:27], -v[56:57]
	v_mul_f64 v[86:87], v[30:31], -v[50:51]
	v_fmac_f64_e32 v[92:93], v[50:51], v[28:29]
	v_mul_f64 v[90:91], v[30:31], -v[122:123]
	v_fmac_f64_e32 v[94:95], v[122:123], v[28:29]
	global_store_dwordx4 v[42:43], v[24:27], off
	v_fmac_f64_e32 v[86:87], v[48:49], v[28:29]
	v_fmac_f64_e32 v[90:91], v[120:121], v[28:29]
	v_mul_f64 v[24:25], v[92:93], -v[14:15]
	v_mul_f64 v[26:27], v[12:13], v[92:93]
	v_mul_f64 v[34:35], v[94:95], -v[10:11]
	v_mul_f64 v[42:43], v[8:9], v[94:95]
	v_fmac_f64_e32 v[24:25], v[12:13], v[86:87]
	v_fmac_f64_e32 v[26:27], v[14:15], v[86:87]
	v_fmac_f64_e32 v[34:35], v[8:9], v[90:91]
	v_fmac_f64_e32 v[42:43], v[10:11], v[90:91]
	v_mul_f64 v[58:59], v[30:31], v[76:77]
	s_waitcnt vmcnt(9)
	v_mul_f64 v[62:63], v[30:31], v[124:125]
	v_add_f64 v[24:25], v[24:25], -v[34:35]
	v_add_f64 v[26:27], v[26:27], -v[42:43]
	v_mul_f64 v[48:49], v[30:31], -v[78:79]
	v_fmac_f64_e32 v[58:59], v[78:79], v[28:29]
	v_mul_f64 v[50:51], v[30:31], -v[126:127]
	v_fmac_f64_e32 v[62:63], v[126:127], v[28:29]
	global_store_dwordx4 v[52:53], v[24:27], off
	v_fmac_f64_e32 v[48:49], v[76:77], v[28:29]
	v_fmac_f64_e32 v[50:51], v[124:125], v[28:29]
	v_mul_f64 v[24:25], v[58:59], -v[14:15]
	v_mul_f64 v[26:27], v[12:13], v[58:59]
	v_mul_f64 v[34:35], v[62:63], -v[10:11]
	v_mul_f64 v[42:43], v[8:9], v[62:63]
	v_fmac_f64_e32 v[24:25], v[12:13], v[48:49]
	v_fmac_f64_e32 v[26:27], v[14:15], v[48:49]
	v_fmac_f64_e32 v[34:35], v[8:9], v[50:51]
	v_fmac_f64_e32 v[42:43], v[10:11], v[50:51]
	;; [unrolled: 20-line block ×3, first 2 shown]
	s_waitcnt vmcnt(9)
	v_mul_f64 v[60:61], v[30:31], v[132:133]
	s_waitcnt vmcnt(6)
	v_mul_f64 v[64:65], v[30:31], v[144:145]
	v_add_f64 v[24:25], v[24:25], -v[34:35]
	v_add_f64 v[26:27], v[26:27], -v[40:41]
	v_mul_f64 v[52:53], v[30:31], -v[134:135]
	v_fmac_f64_e32 v[60:61], v[134:135], v[28:29]
	v_mul_f64 v[56:57], v[30:31], -v[146:147]
	v_fmac_f64_e32 v[64:65], v[146:147], v[28:29]
	global_store_dwordx4 v[38:39], v[24:27], off
	v_fmac_f64_e32 v[52:53], v[132:133], v[28:29]
	v_fmac_f64_e32 v[56:57], v[144:145], v[28:29]
	v_mul_f64 v[24:25], v[60:61], -v[14:15]
	v_mul_f64 v[26:27], v[12:13], v[60:61]
	v_mul_f64 v[34:35], v[64:65], -v[10:11]
	v_mul_f64 v[38:39], v[8:9], v[64:65]
	v_fmac_f64_e32 v[24:25], v[12:13], v[52:53]
	v_fmac_f64_e32 v[26:27], v[14:15], v[52:53]
	;; [unrolled: 1-line block ×4, first 2 shown]
	v_add_f64 v[24:25], v[24:25], -v[34:35]
	v_add_f64 v[26:27], v[26:27], -v[38:39]
	v_mul_f64 v[40:41], v[30:31], v[136:137]
	s_waitcnt vmcnt(6)
	v_mul_f64 v[42:43], v[30:31], v[148:149]
	global_store_dwordx4 v[32:33], v[24:27], off
	v_mul_f64 v[32:33], v[30:31], -v[138:139]
	v_fmac_f64_e32 v[40:41], v[138:139], v[28:29]
	v_mul_f64 v[34:35], v[30:31], -v[150:151]
	v_fmac_f64_e32 v[42:43], v[150:151], v[28:29]
	v_fmac_f64_e32 v[32:33], v[136:137], v[28:29]
	;; [unrolled: 1-line block ×3, first 2 shown]
	v_mul_f64 v[24:25], v[40:41], -v[14:15]
	v_mul_f64 v[26:27], v[12:13], v[40:41]
	v_mul_f64 v[38:39], v[42:43], -v[10:11]
	v_mul_f64 v[116:117], v[8:9], v[42:43]
	v_fmac_f64_e32 v[24:25], v[12:13], v[32:33]
	v_fmac_f64_e32 v[26:27], v[14:15], v[32:33]
	;; [unrolled: 1-line block ×4, first 2 shown]
	v_add_f64 v[24:25], v[24:25], -v[38:39]
	v_add_f64 v[26:27], v[26:27], -v[116:117]
	global_store_dwordx4 v[36:37], v[24:27], off
	v_mul_f64 v[36:37], v[30:31], v[140:141]
	v_fmac_f64_e32 v[36:37], v[142:143], v[28:29]
	v_mul_f64 v[24:25], v[30:31], -v[142:143]
	v_fmac_f64_e32 v[24:25], v[140:141], v[28:29]
	s_waitcnt vmcnt(7)
	v_mul_f64 v[38:39], v[30:31], v[152:153]
	v_mul_f64 v[116:117], v[36:37], -v[14:15]
	v_mul_f64 v[26:27], v[30:31], -v[154:155]
	v_fmac_f64_e32 v[38:39], v[154:155], v[28:29]
	v_fmac_f64_e32 v[116:117], v[12:13], v[24:25]
	v_mul_f64 v[12:13], v[12:13], v[36:37]
	v_fmac_f64_e32 v[26:27], v[152:153], v[28:29]
	v_fmac_f64_e32 v[12:13], v[14:15], v[24:25]
	v_mul_f64 v[14:15], v[38:39], -v[10:11]
	v_mul_f64 v[118:119], v[8:9], v[38:39]
	v_fmac_f64_e32 v[14:15], v[8:9], v[26:27]
	v_fmac_f64_e32 v[118:119], v[10:11], v[26:27]
	v_add_f64 v[8:9], v[116:117], -v[14:15]
	v_add_f64 v[10:11], v[12:13], -v[118:119]
	global_store_dwordx4 v[100:101], v[8:11], off
	v_mul_f64 v[12:13], v[98:99], -v[2:3]
	v_mul_f64 v[14:15], v[0:1], v[98:99]
	v_mul_f64 v[8:9], v[6:7], v[96:97]
	v_mul_f64 v[10:11], v[96:97], -v[4:5]
	v_fma_f64 v[8:9], -v[4:5], v[84:85], v[8:9]
	v_fma_f64 v[10:11], -v[6:7], v[84:85], v[10:11]
	v_fmac_f64_e32 v[12:13], v[0:1], v[88:89]
	v_fmac_f64_e32 v[14:15], v[2:3], v[88:89]
	v_add_f64 v[8:9], v[8:9], v[12:13]
	v_add_f64 v[10:11], v[10:11], v[14:15]
	global_store_dwordx4 v[54:55], v[8:11], off
	v_mul_f64 v[12:13], v[82:83], -v[2:3]
	v_mul_f64 v[14:15], v[0:1], v[82:83]
	v_mul_f64 v[8:9], v[6:7], v[80:81]
	v_mul_f64 v[10:11], v[80:81], -v[4:5]
	v_fma_f64 v[8:9], -v[4:5], v[70:71], v[8:9]
	v_fma_f64 v[10:11], -v[6:7], v[70:71], v[10:11]
	v_fmac_f64_e32 v[12:13], v[0:1], v[74:75]
	v_fmac_f64_e32 v[14:15], v[2:3], v[74:75]
	v_add_f64 v[8:9], v[8:9], v[12:13]
	v_add_f64 v[10:11], v[10:11], v[14:15]
	;; [unrolled: 11-line block ×8, first 2 shown]
	global_store_dwordx4 v[102:103], v[8:11], off
	s_nop 1
	v_mov_b64_e32 v[10:11], 0
	v_mov_b64_e32 v[8:9], 0
	s_and_saveexec_b64 s[20:21], s[2:3]
	s_cbranch_execz .LBB348_16
; %bb.15:                               ;   in Loop: Header=BB348_5 Depth=1
	v_add_u32_e32 v12, v45, v115
	v_add_u32_e32 v46, s28, v12
	v_lshl_add_u64 v[14:15], v[46:47], 4, s[8:9]
	global_load_dwordx4 v[100:103], v[14:15], off
	v_mul_f64 v[54:55], v[6:7], v[22:23]
	v_mul_f64 v[72:73], v[22:23], -v[4:5]
	v_mul_f64 v[8:9], v[22:23], -v[2:3]
	v_mul_f64 v[10:11], v[0:1], v[22:23]
	v_fma_f64 v[4:5], -v[4:5], v[20:21], v[54:55]
	v_fma_f64 v[6:7], -v[6:7], v[20:21], v[72:73]
	v_fmac_f64_e32 v[8:9], v[0:1], v[20:21]
	v_fmac_f64_e32 v[10:11], v[2:3], v[20:21]
	v_mul_f64 v[54:55], v[6:7], v[96:97]
	v_mul_f64 v[72:73], v[96:97], -v[4:5]
	v_mul_f64 v[96:97], v[98:99], -v[10:11]
	v_mul_f64 v[98:99], v[8:9], v[98:99]
	v_add_u32_e32 v46, s29, v12
	v_fma_f64 v[54:55], -v[4:5], v[84:85], v[54:55]
	v_fma_f64 v[72:73], -v[6:7], v[84:85], v[72:73]
	v_fmac_f64_e32 v[96:97], v[8:9], v[88:89]
	v_fmac_f64_e32 v[98:99], v[10:11], v[88:89]
	v_lshl_add_u64 v[84:85], v[46:47], 4, s[8:9]
	v_add_f64 v[54:55], v[54:55], -v[96:97]
	v_add_f64 v[72:73], v[72:73], -v[98:99]
	v_add_u32_e32 v46, s30, v12
	global_load_dwordx4 v[96:99], v[84:85], off
	v_lshl_add_u64 v[88:89], v[46:47], 4, s[8:9]
	v_mul_f64 v[104:105], v[94:95], -v[10:11]
	v_mul_f64 v[94:95], v[8:9], v[94:95]
	v_fmac_f64_e32 v[104:105], v[8:9], v[90:91]
	v_fmac_f64_e32 v[94:95], v[10:11], v[90:91]
	v_add_u32_e32 v46, s31, v12
	v_ashrrev_i32_e32 v13, 31, v12
	s_waitcnt vmcnt(1)
	v_add_f64 v[100:101], v[54:55], v[100:101]
	v_add_f64 v[102:103], v[72:73], v[102:103]
	global_store_dwordx4 v[14:15], v[100:103], off
	global_load_dwordx4 v[100:103], v[88:89], off
	v_mul_f64 v[14:15], v[6:7], v[80:81]
	v_mul_f64 v[54:55], v[80:81], -v[4:5]
	v_mul_f64 v[72:73], v[82:83], -v[10:11]
	v_mul_f64 v[80:81], v[8:9], v[82:83]
	v_mul_f64 v[82:83], v[6:7], v[92:93]
	v_fma_f64 v[14:15], -v[4:5], v[70:71], v[14:15]
	v_fma_f64 v[54:55], -v[6:7], v[70:71], v[54:55]
	v_fmac_f64_e32 v[72:73], v[8:9], v[74:75]
	v_fmac_f64_e32 v[80:81], v[10:11], v[74:75]
	v_mul_f64 v[92:93], v[92:93], -v[4:5]
	v_fma_f64 v[70:71], -v[4:5], v[86:87], v[82:83]
	v_add_f64 v[14:15], v[14:15], -v[72:73]
	v_add_f64 v[54:55], v[54:55], -v[80:81]
	v_fma_f64 v[74:75], -v[6:7], v[86:87], v[92:93]
	v_add_f64 v[80:81], v[70:71], -v[104:105]
	v_add_f64 v[74:75], v[74:75], -v[94:95]
	v_lshl_add_u64 v[86:87], v[46:47], 4, s[8:9]
	v_add_u32_e32 v46, s33, v12
	s_waitcnt vmcnt(2)
	v_add_f64 v[70:71], v[14:15], v[96:97]
	v_add_f64 v[72:73], v[54:55], v[98:99]
	global_store_dwordx4 v[84:85], v[70:73], off
	global_load_dwordx4 v[70:73], v[86:87], off
	v_lshl_add_u64 v[90:91], v[46:47], 4, s[8:9]
	v_mul_f64 v[14:15], v[6:7], v[58:59]
	v_mul_f64 v[54:55], v[58:59], -v[4:5]
	v_mul_f64 v[58:59], v[62:63], -v[10:11]
	v_mul_f64 v[62:63], v[8:9], v[62:63]
	v_mul_f64 v[84:85], v[78:79], -v[10:11]
	v_mul_f64 v[78:79], v[8:9], v[78:79]
	v_fma_f64 v[14:15], -v[4:5], v[48:49], v[14:15]
	v_fma_f64 v[48:49], -v[6:7], v[48:49], v[54:55]
	v_fmac_f64_e32 v[58:59], v[8:9], v[50:51]
	v_fmac_f64_e32 v[62:63], v[10:11], v[50:51]
	;; [unrolled: 1-line block ×4, first 2 shown]
	v_add_f64 v[14:15], v[14:15], -v[58:59]
	v_add_f64 v[58:59], v[48:49], -v[62:63]
	v_add_u32_e32 v46, s34, v12
	s_waitcnt vmcnt(2)
	v_add_f64 v[80:81], v[80:81], v[100:101]
	v_add_f64 v[82:83], v[74:75], v[102:103]
	global_store_dwordx4 v[88:89], v[80:83], off
	global_load_dwordx4 v[80:83], v[90:91], off
	v_mul_f64 v[74:75], v[6:7], v[76:77]
	v_mul_f64 v[76:77], v[76:77], -v[4:5]
	v_fma_f64 v[50:51], -v[4:5], v[66:67], v[74:75]
	v_fma_f64 v[54:55], -v[6:7], v[66:67], v[76:77]
	v_add_f64 v[62:63], v[50:51], -v[84:85]
	v_add_f64 v[54:55], v[54:55], -v[78:79]
	v_lshl_add_u64 v[66:67], v[46:47], 4, s[8:9]
	v_add_u32_e32 v46, s35, v12
	s_waitcnt vmcnt(2)
	v_add_f64 v[48:49], v[14:15], v[70:71]
	v_add_f64 v[50:51], v[58:59], v[72:73]
	global_store_dwordx4 v[86:87], v[48:51], off
	v_mul_f64 v[14:15], v[6:7], v[60:61]
	v_mul_f64 v[58:59], v[64:65], -v[10:11]
	v_fma_f64 v[14:15], -v[4:5], v[52:53], v[14:15]
	v_fmac_f64_e32 v[58:59], v[8:9], v[56:57]
	v_add_f64 v[14:15], v[14:15], -v[58:59]
	s_waitcnt vmcnt(1)
	v_add_f64 v[48:49], v[62:63], v[80:81]
	v_add_f64 v[50:51], v[54:55], v[82:83]
	global_store_dwordx4 v[90:91], v[48:51], off
	global_load_dwordx4 v[48:51], v[66:67], off
	v_mul_f64 v[54:55], v[60:61], -v[4:5]
	v_mul_f64 v[60:61], v[8:9], v[64:65]
	v_fma_f64 v[52:53], -v[6:7], v[52:53], v[54:55]
	v_fmac_f64_e32 v[60:61], v[10:11], v[56:57]
	v_add_f64 v[52:53], v[52:53], -v[60:61]
	v_lshl_add_u64 v[54:55], v[46:47], 4, s[8:9]
	v_lshl_add_u64 v[56:57], v[12:13], 4, s[14:15]
	v_add_u32_e32 v46, s36, v12
	s_waitcnt vmcnt(0)
	v_add_f64 v[48:49], v[14:15], v[48:49]
	v_add_f64 v[50:51], v[52:53], v[50:51]
	global_store_dwordx4 v[66:67], v[48:51], off
	global_load_dwordx4 v[48:51], v[54:55], off
	v_mul_f64 v[14:15], v[6:7], v[40:41]
	v_mul_f64 v[40:41], v[40:41], -v[4:5]
	v_mul_f64 v[52:53], v[42:43], -v[10:11]
	v_mul_f64 v[42:43], v[8:9], v[42:43]
	v_fma_f64 v[14:15], -v[4:5], v[32:33], v[14:15]
	v_fma_f64 v[40:41], -v[6:7], v[32:33], v[40:41]
	v_fmac_f64_e32 v[52:53], v[8:9], v[34:35]
	v_fmac_f64_e32 v[42:43], v[10:11], v[34:35]
	v_add_f64 v[14:15], v[14:15], -v[52:53]
	v_add_f64 v[40:41], v[40:41], -v[42:43]
	v_lshl_add_u64 v[42:43], v[46:47], 4, s[8:9]
	global_load_dwordx4 v[32:35], v[56:57], off
	s_waitcnt vmcnt(1)
	v_add_f64 v[12:13], v[14:15], v[48:49]
	v_add_f64 v[14:15], v[40:41], v[50:51]
	global_store_dwordx4 v[54:55], v[12:15], off
	global_load_dwordx4 v[12:15], v[42:43], off
	v_mul_f64 v[40:41], v[2:3], -v[22:23]
	v_mul_f64 v[2:3], v[2:3], v[20:21]
	v_fmac_f64_e32 v[40:41], v[20:21], v[0:1]
	v_fmac_f64_e32 v[2:3], v[22:23], v[0:1]
	v_mul_f64 v[0:1], v[6:7], v[36:37]
	v_mul_f64 v[20:21], v[36:37], -v[4:5]
	v_mul_f64 v[22:23], v[38:39], -v[10:11]
	v_mul_f64 v[36:37], v[8:9], v[38:39]
	v_mul_f64 v[38:39], v[18:19], -v[2:3]
	v_mul_f64 v[18:19], v[18:19], v[40:41]
	v_fma_f64 v[0:1], -v[4:5], v[24:25], v[0:1]
	v_fma_f64 v[4:5], -v[6:7], v[24:25], v[20:21]
	v_fmac_f64_e32 v[36:37], v[10:11], v[26:27]
	v_fmac_f64_e32 v[38:39], v[40:41], v[16:17]
	v_fmac_f64_e32 v[18:19], v[2:3], v[16:17]
	v_fmac_f64_e32 v[22:23], v[8:9], v[26:27]
	v_add_f64 v[2:3], v[4:5], -v[36:37]
	v_mul_f64 v[4:5], v[30:31], -v[18:19]
	v_mul_f64 v[6:7], v[30:31], v[38:39]
	v_add_f64 v[0:1], v[0:1], -v[22:23]
	v_fmac_f64_e32 v[4:5], v[38:39], v[28:29]
	v_fmac_f64_e32 v[6:7], v[18:19], v[28:29]
	s_waitcnt vmcnt(2)
	v_add_f64 v[8:9], v[32:33], -v[4:5]
	v_add_f64 v[10:11], v[34:35], -v[6:7]
	s_waitcnt vmcnt(0)
	v_add_f64 v[0:1], v[0:1], v[12:13]
	v_add_f64 v[2:3], v[2:3], v[14:15]
	global_store_dwordx4 v[42:43], v[0:3], off
.LBB348_16:                             ;   in Loop: Header=BB348_5 Depth=1
	s_or_b64 exec, exec, s[20:21]
	s_nop 0
	v_mov_b64_e32 v[2:3], v[10:11]
	v_mov_b64_e32 v[0:1], v[8:9]
                                        ; implicit-def: $vgpr4_vgpr5
                                        ; implicit-def: $vgpr12_vgpr13
                                        ; implicit-def: $vgpr8_vgpr9
                                        ; implicit-def: $vgpr50_vgpr51
                                        ; implicit-def: $vgpr48_vgpr49
                                        ; implicit-def: $vgpr42
                                        ; implicit-def: $vgpr40
                                        ; implicit-def: $vgpr38
                                        ; implicit-def: $vgpr36
                                        ; implicit-def: $vgpr32
                                        ; implicit-def: $vgpr30
                                        ; implicit-def: $vgpr28
.LBB348_17:                             ;   in Loop: Header=BB348_5 Depth=1
	s_or_saveexec_b64 s[2:3], s[4:5]
	v_mov_b32_e32 v10, s27
	s_xor_b64 exec, exec, s[2:3]
	s_cbranch_execz .LBB348_4
; %bb.18:                               ;   in Loop: Header=BB348_5 Depth=1
	v_mov_b32_e32 v41, v47
	v_mov_b32_e32 v37, v47
	;; [unrolled: 1-line block ×4, first 2 shown]
	v_lshl_add_u64 v[82:83], v[46:47], 4, s[8:9]
	v_mov_b32_e32 v43, v47
	v_lshl_add_u64 v[86:87], v[40:41], 4, s[8:9]
	v_mov_b32_e32 v39, v47
	;; [unrolled: 2-line block ×3, first 2 shown]
	v_lshl_add_u64 v[94:95], v[30:31], 4, s[8:9]
	v_lshl_add_u64 v[96:97], v[28:29], 4, s[8:9]
	;; [unrolled: 1-line block ×3, first 2 shown]
	global_load_dwordx4 v[16:19], v[82:83], off
	global_load_dwordx4 v[54:57], v[84:85], off
	v_lshl_add_u64 v[88:89], v[38:39], 4, s[8:9]
	global_load_dwordx4 v[58:61], v[86:87], off
	global_load_dwordx4 v[62:65], v[88:89], off
	v_lshl_add_u64 v[92:93], v[32:33], 4, s[8:9]
	global_load_dwordx4 v[66:69], v[90:91], off
	global_load_dwordx4 v[70:73], v[92:93], off
	;; [unrolled: 1-line block ×4, first 2 shown]
	v_mul_f64 v[10:11], v[2:3], v[2:3]
	v_fmac_f64_e32 v[10:11], v[0:1], v[0:1]
	v_div_scale_f64 v[22:23], s[4:5], v[10:11], v[10:11], 1.0
	v_rcp_f64_e32 v[24:25], v[22:23]
	v_fma_f64 v[20:21], 0, v[2:3], v[0:1]
	v_fma_f64 v[0:1], v[0:1], 0, -v[2:3]
	v_div_scale_f64 v[2:3], vcc, 1.0, v[10:11], 1.0
	v_fma_f64 v[26:27], -v[22:23], v[24:25], 1.0
	v_fmac_f64_e32 v[24:25], v[24:25], v[26:27]
	v_fma_f64 v[26:27], -v[22:23], v[24:25], 1.0
	v_fmac_f64_e32 v[24:25], v[24:25], v[26:27]
	v_mul_f64 v[26:27], v[2:3], v[24:25]
	v_fma_f64 v[2:3], -v[22:23], v[26:27], v[2:3]
	v_div_fmas_f64 v[2:3], v[2:3], v[24:25], v[26:27]
	v_div_fixup_f64 v[2:3], v[2:3], v[10:11], 1.0
	v_mul_f64 v[52:53], v[0:1], v[2:3]
	v_mul_f64 v[10:11], v[20:21], v[2:3]
	s_waitcnt vmcnt(7)
	v_mul_f64 v[40:41], v[52:53], -v[18:19]
	v_mul_f64 v[42:43], v[52:53], v[16:17]
	v_fmac_f64_e32 v[40:41], v[16:17], v[10:11]
	v_fmac_f64_e32 v[42:43], v[18:19], v[10:11]
	s_waitcnt vmcnt(6)
	v_mul_f64 v[36:37], v[52:53], -v[56:57]
	v_mul_f64 v[38:39], v[52:53], v[54:55]
	s_waitcnt vmcnt(5)
	v_mul_f64 v[32:33], v[52:53], -v[60:61]
	v_mul_f64 v[34:35], v[52:53], v[58:59]
	;; [unrolled: 3-line block ×7, first 2 shown]
	v_fmac_f64_e32 v[36:37], v[54:55], v[10:11]
	v_fmac_f64_e32 v[38:39], v[56:57], v[10:11]
	;; [unrolled: 1-line block ×14, first 2 shown]
	global_store_dwordx4 v[82:83], v[40:43], off
	global_store_dwordx4 v[84:85], v[36:39], off
	;; [unrolled: 1-line block ×8, first 2 shown]
	s_and_saveexec_b64 s[4:5], s[0:1]
	s_cbranch_execz .LBB348_3
; %bb.19:                               ;   in Loop: Header=BB348_5 Depth=1
	v_add_u32_e32 v70, v114, v115
	v_add_u32_e32 v46, s28, v70
	v_lshl_add_u64 v[62:63], v[46:47], 4, s[8:9]
	global_load_dwordx4 v[54:57], v[62:63], off
	v_add_u32_e32 v46, s29, v70
	v_lshl_add_u64 v[64:65], v[46:47], 4, s[8:9]
	global_load_dwordx4 v[58:61], v[64:65], off
	v_add_u32_e32 v46, s30, v70
	v_lshl_add_u64 v[66:67], v[46:47], 4, s[8:9]
	v_add_u32_e32 v46, s31, v70
	s_waitcnt vmcnt(1)
	v_fma_f64 v[54:55], -v[4:5], v[40:41], v[54:55]
	v_fma_f64 v[40:41], -v[6:7], v[40:41], v[56:57]
	v_fmac_f64_e32 v[54:55], v[6:7], v[42:43]
	v_fma_f64 v[56:57], -v[4:5], v[42:43], v[40:41]
	global_store_dwordx4 v[62:63], v[54:57], off
	global_load_dwordx4 v[40:43], v[66:67], off
	v_lshl_add_u64 v[62:63], v[46:47], 4, s[8:9]
	s_waitcnt vmcnt(2)
	v_fma_f64 v[54:55], -v[4:5], v[36:37], v[58:59]
	v_fma_f64 v[36:37], -v[6:7], v[36:37], v[60:61]
	v_fmac_f64_e32 v[54:55], v[6:7], v[38:39]
	v_fma_f64 v[56:57], -v[4:5], v[38:39], v[36:37]
	global_store_dwordx4 v[64:65], v[54:57], off
	global_load_dwordx4 v[36:39], v[62:63], off
	v_add_u32_e32 v46, s33, v70
	v_lshl_add_u64 v[68:69], v[46:47], 4, s[8:9]
	v_add_u32_e32 v46, s34, v70
	s_waitcnt vmcnt(2)
	v_fma_f64 v[40:41], -v[4:5], v[32:33], v[40:41]
	v_fma_f64 v[32:33], -v[6:7], v[32:33], v[42:43]
	v_fmac_f64_e32 v[40:41], v[6:7], v[34:35]
	v_fma_f64 v[42:43], -v[4:5], v[34:35], v[32:33]
	global_store_dwordx4 v[66:67], v[40:43], off
	global_load_dwordx4 v[32:35], v[68:69], off
	s_waitcnt vmcnt(2)
	v_fma_f64 v[36:37], -v[4:5], v[28:29], v[36:37]
	v_fma_f64 v[28:29], -v[6:7], v[28:29], v[38:39]
	;; [unrolled: 1-line block ×3, first 2 shown]
	v_fmac_f64_e32 v[36:37], v[6:7], v[30:31]
	v_lshl_add_u64 v[40:41], v[46:47], 4, s[8:9]
	global_store_dwordx4 v[62:63], v[36:39], off
	v_add_u32_e32 v46, s35, v70
	s_waitcnt vmcnt(1)
	v_fma_f64 v[28:29], -v[4:5], v[24:25], v[32:33]
	v_fma_f64 v[24:25], -v[6:7], v[24:25], v[34:35]
	v_fmac_f64_e32 v[28:29], v[6:7], v[26:27]
	v_fma_f64 v[30:31], -v[4:5], v[26:27], v[24:25]
	global_store_dwordx4 v[68:69], v[28:31], off
	global_load_dwordx4 v[24:27], v[40:41], off
	s_waitcnt vmcnt(0)
	v_fma_f64 v[24:25], -v[4:5], v[20:21], v[24:25]
	v_fma_f64 v[20:21], -v[6:7], v[20:21], v[26:27]
	v_fmac_f64_e32 v[24:25], v[6:7], v[22:23]
	v_fma_f64 v[26:27], -v[4:5], v[22:23], v[20:21]
	v_lshl_add_u64 v[28:29], v[46:47], 4, s[8:9]
	global_store_dwordx4 v[40:41], v[24:27], off
	global_load_dwordx4 v[20:23], v[28:29], off
	v_add_u32_e32 v46, s36, v70
	v_lshl_add_u64 v[24:25], v[46:47], 4, s[8:9]
	s_waitcnt vmcnt(0)
	v_fma_f64 v[20:21], -v[4:5], v[16:17], v[20:21]
	v_fma_f64 v[16:17], -v[6:7], v[16:17], v[22:23]
	v_fmac_f64_e32 v[20:21], v[6:7], v[18:19]
	v_fma_f64 v[22:23], -v[4:5], v[18:19], v[16:17]
	global_store_dwordx4 v[28:29], v[20:23], off
	global_load_dwordx4 v[16:19], v[24:25], off
	s_waitcnt vmcnt(0)
	v_fma_f64 v[16:17], -v[4:5], v[0:1], v[16:17]
	v_fma_f64 v[0:1], -v[6:7], v[0:1], v[18:19]
	v_fmac_f64_e32 v[16:17], v[6:7], v[2:3]
	v_fma_f64 v[18:19], -v[4:5], v[2:3], v[0:1]
	global_store_dwordx4 v[24:25], v[16:19], off
	s_branch .LBB348_3
.LBB348_20:
	s_or_b64 exec, exec, s[18:19]
	s_branch .LBB348_22
.LBB348_21:
	v_mov_b32_e32 v115, 0
.LBB348_22:
	v_subrev_u32_e32 v2, s22, v115
	v_add_u32_e32 v0, v2, v44
	v_ashrrev_i32_e32 v1, 31, v0
	s_waitcnt lgkmcnt(0)
	v_lshl_add_u64 v[0:1], v[0:1], 2, s[6:7]
	buffer_wbl2 sc1
	s_waitcnt vmcnt(0)
	buffer_inv sc1
	global_load_dword v0, v[0:1], off
	s_waitcnt vmcnt(0)
	v_mul_lo_u32 v0, v0, s22
	v_sub_u32_e32 v36, v2, v0
	v_cmp_lt_i32_e32 vcc, -1, v36
	s_and_b64 exec, exec, vcc
	s_cbranch_execz .LBB348_29
; %bb.23:
	s_lshl_b32 s4, s24, 3
	s_add_i32 s5, s4, s23
	s_add_i32 s12, s5, s23
	s_add_i32 s13, s12, s23
	s_add_i32 s14, s13, s23
	s_add_i32 s15, s14, s23
	s_add_i32 s16, s15, s23
	s_add_i32 s17, s16, s23
	s_lshl_b32 s18, s22, 1
	s_mov_b64 s[0:1], 0
	v_mov_b32_e32 v33, 0
	s_branch .LBB348_25
.LBB348_24:                             ;   in Loop: Header=BB348_25 Depth=1
	s_or_b64 exec, exec, s[2:3]
	v_sub_u32_e32 v36, v36, v4
	v_cmp_gt_i32_e32 vcc, 0, v36
	s_or_b64 s[0:1], vcc, s[0:1]
	s_andn2_b64 exec, exec, s[0:1]
	s_cbranch_execz .LBB348_29
.LBB348_25:                             ; =>This Inner Loop Header: Depth=1
	v_add_u32_e32 v34, v36, v44
	v_ashrrev_i32_e32 v35, 31, v34
	s_waitcnt vmcnt(0)
	v_lshl_add_u64 v[0:1], v[34:35], 2, s[6:7]
	global_load_dword v4, v[0:1], off
	v_lshl_add_u64 v[0:1], v[34:35], 4, s[10:11]
	global_load_dwordx4 v[0:3], v[0:1], off
	s_waitcnt vmcnt(1)
	v_cmp_ne_u32_e32 vcc, 1, v4
	s_and_saveexec_b64 s[2:3], vcc
	s_xor_b64 s[2:3], exec, s[2:3]
	s_cbranch_execz .LBB348_27
; %bb.26:                               ;   in Loop: Header=BB348_25 Depth=1
	v_add_u32_e32 v4, v114, v36
	v_add_u32_e32 v32, s4, v4
	v_lshl_add_u64 v[42:43], v[32:33], 4, s[8:9]
	v_add_u32_e32 v32, s5, v4
	v_lshl_add_u64 v[50:51], v[32:33], 4, s[8:9]
	;; [unrolled: 2-line block ×9, first 2 shown]
	global_load_dwordx4 v[38:41], v[64:65], off
	global_load_dwordx4 v[46:49], v[42:43], off
	;; [unrolled: 1-line block ×9, first 2 shown]
	v_add_u32_e32 v32, s5, v34
	v_lshl_add_u64 v[42:43], v[32:33], 4, s[8:9]
	v_add_u32_e32 v32, s12, v34
	v_lshl_add_u64 v[50:51], v[32:33], 4, s[8:9]
	v_add_u32_e32 v32, s13, v34
	s_waitcnt vmcnt(7)
	v_fma_f64 v[38:39], -v[0:1], v[46:47], v[38:39]
	v_fma_f64 v[40:41], -v[2:3], v[46:47], v[40:41]
	v_fmac_f64_e32 v[38:39], v[2:3], v[48:49]
	v_fma_f64 v[40:41], -v[0:1], v[48:49], v[40:41]
	global_store_dwordx4 v[64:65], v[38:41], off
	global_load_dwordx4 v[38:41], v[42:43], off
	s_waitcnt vmcnt(0)
	v_fma_f64 v[38:39], -v[0:1], v[28:29], v[38:39]
	v_fma_f64 v[40:41], -v[2:3], v[28:29], v[40:41]
	v_fmac_f64_e32 v[38:39], v[2:3], v[30:31]
	v_fma_f64 v[40:41], -v[0:1], v[30:31], v[40:41]
	global_store_dwordx4 v[42:43], v[38:41], off
	global_load_dwordx4 v[38:41], v[50:51], off
	v_lshl_add_u64 v[42:43], v[32:33], 4, s[8:9]
	v_add_u32_e32 v32, s14, v34
	s_waitcnt vmcnt(0)
	v_fma_f64 v[38:39], -v[0:1], v[24:25], v[38:39]
	v_fma_f64 v[40:41], -v[2:3], v[24:25], v[40:41]
	v_fmac_f64_e32 v[38:39], v[2:3], v[26:27]
	v_fma_f64 v[40:41], -v[0:1], v[26:27], v[40:41]
	global_store_dwordx4 v[50:51], v[38:41], off
	global_load_dwordx4 v[38:41], v[42:43], off
	v_lshl_add_u64 v[50:51], v[32:33], 4, s[8:9]
	v_add_u32_e32 v32, s15, v34
	;; [unrolled: 9-line block ×4, first 2 shown]
	v_lshl_add_u64 v[34:35], v[32:33], 4, s[8:9]
	v_subrev_u32_e32 v32, s22, v36
	s_waitcnt vmcnt(0)
	v_fma_f64 v[38:39], -v[0:1], v[12:13], v[38:39]
	v_fma_f64 v[40:41], -v[2:3], v[12:13], v[40:41]
	v_fmac_f64_e32 v[38:39], v[2:3], v[14:15]
	v_fma_f64 v[40:41], -v[0:1], v[14:15], v[40:41]
	global_store_dwordx4 v[42:43], v[38:41], off
	global_load_dwordx4 v[38:41], v[50:51], off
	v_add_u32_e32 v42, v32, v44
	v_ashrrev_i32_e32 v43, 31, v42
	v_add_u32_e32 v32, s4, v42
	v_lshl_add_u64 v[54:55], v[32:33], 4, s[8:9]
	v_add_u32_e32 v32, s5, v42
	s_waitcnt vmcnt(0)
	v_fma_f64 v[38:39], -v[0:1], v[8:9], v[38:39]
	v_fma_f64 v[40:41], -v[2:3], v[8:9], v[40:41]
	v_fmac_f64_e32 v[38:39], v[2:3], v[10:11]
	v_fma_f64 v[40:41], -v[0:1], v[10:11], v[40:41]
	global_store_dwordx4 v[50:51], v[38:41], off
	global_load_dwordx4 v[38:41], v[34:35], off
	v_lshl_add_u64 v[50:51], v[42:43], 4, s[10:11]
	global_load_dwordx4 v[50:53], v[50:51], off
	s_waitcnt vmcnt(1)
	v_fma_f64 v[38:39], -v[0:1], v[4:5], v[38:39]
	v_fma_f64 v[40:41], -v[2:3], v[4:5], v[40:41]
	v_fmac_f64_e32 v[38:39], v[2:3], v[6:7]
	v_fma_f64 v[40:41], -v[0:1], v[6:7], v[40:41]
	global_store_dwordx4 v[34:35], v[38:41], off
	global_load_dwordx4 v[0:3], v[54:55], off
	v_lshl_add_u64 v[34:35], v[32:33], 4, s[8:9]
	v_add_u32_e32 v32, s12, v42
	v_lshl_add_u64 v[38:39], v[32:33], 4, s[8:9]
	v_add_u32_e32 v32, s13, v42
	s_waitcnt vmcnt(0)
	v_fma_f64 v[0:1], -v[50:51], v[46:47], v[0:1]
	v_fma_f64 v[2:3], -v[52:53], v[46:47], v[2:3]
	v_fmac_f64_e32 v[0:1], v[52:53], v[48:49]
	v_fma_f64 v[2:3], -v[50:51], v[48:49], v[2:3]
	global_store_dwordx4 v[54:55], v[0:3], off
	global_load_dwordx4 v[0:3], v[34:35], off
	s_waitcnt vmcnt(0)
	v_fma_f64 v[0:1], -v[50:51], v[28:29], v[0:1]
	v_fma_f64 v[2:3], -v[52:53], v[28:29], v[2:3]
	v_fmac_f64_e32 v[0:1], v[52:53], v[30:31]
	v_fma_f64 v[2:3], -v[50:51], v[30:31], v[2:3]
	global_store_dwordx4 v[34:35], v[0:3], off
	global_load_dwordx4 v[0:3], v[38:39], off
	v_lshl_add_u64 v[28:29], v[32:33], 4, s[8:9]
	v_add_u32_e32 v32, s14, v42
                                        ; implicit-def: $vgpr34
	s_waitcnt vmcnt(0)
	v_fma_f64 v[0:1], -v[50:51], v[24:25], v[0:1]
	v_fma_f64 v[2:3], -v[52:53], v[24:25], v[2:3]
	v_fmac_f64_e32 v[0:1], v[52:53], v[26:27]
	v_fma_f64 v[2:3], -v[50:51], v[26:27], v[2:3]
	global_store_dwordx4 v[38:39], v[0:3], off
	global_load_dwordx4 v[0:3], v[28:29], off
	v_lshl_add_u64 v[24:25], v[32:33], 4, s[8:9]
	v_add_u32_e32 v32, s15, v42
	s_waitcnt vmcnt(0)
	v_fma_f64 v[0:1], -v[50:51], v[20:21], v[0:1]
	v_fma_f64 v[2:3], -v[52:53], v[20:21], v[2:3]
	v_fmac_f64_e32 v[0:1], v[52:53], v[22:23]
	v_fma_f64 v[2:3], -v[50:51], v[22:23], v[2:3]
	global_store_dwordx4 v[28:29], v[0:3], off
	global_load_dwordx4 v[0:3], v[24:25], off
	v_lshl_add_u64 v[20:21], v[32:33], 4, s[8:9]
	v_add_u32_e32 v32, s16, v42
	;; [unrolled: 9-line block ×3, first 2 shown]
	s_waitcnt vmcnt(0)
	v_fma_f64 v[0:1], -v[50:51], v[12:13], v[0:1]
	v_fma_f64 v[2:3], -v[52:53], v[12:13], v[2:3]
	v_fmac_f64_e32 v[0:1], v[52:53], v[14:15]
	v_fma_f64 v[2:3], -v[50:51], v[14:15], v[2:3]
	global_store_dwordx4 v[20:21], v[0:3], off
	global_load_dwordx4 v[0:3], v[16:17], off
	v_lshl_add_u64 v[12:13], v[32:33], 4, s[8:9]
	s_waitcnt vmcnt(0)
	v_fma_f64 v[0:1], -v[50:51], v[8:9], v[0:1]
	v_fma_f64 v[2:3], -v[52:53], v[8:9], v[2:3]
	v_fmac_f64_e32 v[0:1], v[52:53], v[10:11]
	v_fma_f64 v[2:3], -v[50:51], v[10:11], v[2:3]
	global_store_dwordx4 v[16:17], v[0:3], off
	global_load_dwordx4 v[0:3], v[12:13], off
	s_waitcnt vmcnt(0)
	v_fma_f64 v[0:1], -v[50:51], v[4:5], v[0:1]
	v_fma_f64 v[2:3], -v[52:53], v[4:5], v[2:3]
	v_fmac_f64_e32 v[0:1], v[52:53], v[6:7]
	v_fma_f64 v[2:3], -v[50:51], v[6:7], v[2:3]
	global_store_dwordx4 v[12:13], v[0:3], off
                                        ; implicit-def: $vgpr0_vgpr1
.LBB348_27:                             ;   in Loop: Header=BB348_25 Depth=1
	s_or_saveexec_b64 s[2:3], s[2:3]
	v_mov_b32_e32 v4, s18
	s_xor_b64 exec, exec, s[2:3]
	s_cbranch_execz .LBB348_24
; %bb.28:                               ;   in Loop: Header=BB348_25 Depth=1
	v_add_u32_e32 v18, v114, v36
	v_add_u32_e32 v32, s4, v18
	v_lshl_add_u64 v[12:13], v[32:33], 4, s[8:9]
	v_add_u32_e32 v32, s4, v34
	v_lshl_add_u64 v[14:15], v[32:33], 4, s[8:9]
	global_load_dwordx4 v[4:7], v[12:13], off
	global_load_dwordx4 v[8:11], v[14:15], off
	v_add_u32_e32 v32, s5, v18
	v_lshl_add_u64 v[12:13], v[32:33], 4, s[8:9]
	v_add_u32_e32 v32, s5, v34
	v_lshl_add_u64 v[16:17], v[32:33], 4, s[8:9]
	v_add_u32_e32 v32, s12, v18
	s_waitcnt vmcnt(0)
	v_fma_f64 v[8:9], -v[0:1], v[4:5], v[8:9]
	v_fma_f64 v[4:5], -v[2:3], v[4:5], v[10:11]
	v_fmac_f64_e32 v[8:9], v[2:3], v[6:7]
	v_fma_f64 v[10:11], -v[0:1], v[6:7], v[4:5]
	global_store_dwordx4 v[14:15], v[8:11], off
	global_load_dwordx4 v[4:7], v[12:13], off
	s_nop 0
	global_load_dwordx4 v[8:11], v[16:17], off
	v_lshl_add_u64 v[12:13], v[32:33], 4, s[8:9]
	v_add_u32_e32 v32, s12, v34
	v_lshl_add_u64 v[14:15], v[32:33], 4, s[8:9]
	v_add_u32_e32 v32, s13, v18
	s_waitcnt vmcnt(0)
	v_fma_f64 v[8:9], -v[0:1], v[4:5], v[8:9]
	v_fma_f64 v[4:5], -v[2:3], v[4:5], v[10:11]
	v_fmac_f64_e32 v[8:9], v[2:3], v[6:7]
	v_fma_f64 v[10:11], -v[0:1], v[6:7], v[4:5]
	global_store_dwordx4 v[16:17], v[8:11], off
	global_load_dwordx4 v[4:7], v[12:13], off
	s_nop 0
	global_load_dwordx4 v[8:11], v[14:15], off
	v_lshl_add_u64 v[12:13], v[32:33], 4, s[8:9]
	v_add_u32_e32 v32, s13, v34
	v_lshl_add_u64 v[16:17], v[32:33], 4, s[8:9]
	v_add_u32_e32 v32, s14, v18
	s_waitcnt vmcnt(0)
	v_fma_f64 v[8:9], -v[0:1], v[4:5], v[8:9]
	v_fma_f64 v[4:5], -v[2:3], v[4:5], v[10:11]
	v_fmac_f64_e32 v[8:9], v[2:3], v[6:7]
	v_fma_f64 v[10:11], -v[0:1], v[6:7], v[4:5]
	global_store_dwordx4 v[14:15], v[8:11], off
	global_load_dwordx4 v[4:7], v[12:13], off
	s_nop 0
	global_load_dwordx4 v[8:11], v[16:17], off
	v_lshl_add_u64 v[12:13], v[32:33], 4, s[8:9]
	v_add_u32_e32 v32, s14, v34
	v_lshl_add_u64 v[14:15], v[32:33], 4, s[8:9]
	v_add_u32_e32 v32, s15, v18
	s_waitcnt vmcnt(0)
	v_fma_f64 v[8:9], -v[0:1], v[4:5], v[8:9]
	v_fma_f64 v[4:5], -v[2:3], v[4:5], v[10:11]
	v_fmac_f64_e32 v[8:9], v[2:3], v[6:7]
	v_fma_f64 v[10:11], -v[0:1], v[6:7], v[4:5]
	global_store_dwordx4 v[16:17], v[8:11], off
	global_load_dwordx4 v[4:7], v[12:13], off
	s_nop 0
	global_load_dwordx4 v[8:11], v[14:15], off
	v_lshl_add_u64 v[12:13], v[32:33], 4, s[8:9]
	v_add_u32_e32 v32, s15, v34
	v_lshl_add_u64 v[16:17], v[32:33], 4, s[8:9]
	v_add_u32_e32 v32, s16, v18
	s_waitcnt vmcnt(0)
	v_fma_f64 v[8:9], -v[0:1], v[4:5], v[8:9]
	v_fma_f64 v[4:5], -v[2:3], v[4:5], v[10:11]
	v_fmac_f64_e32 v[8:9], v[2:3], v[6:7]
	v_fma_f64 v[10:11], -v[0:1], v[6:7], v[4:5]
	global_store_dwordx4 v[14:15], v[8:11], off
	global_load_dwordx4 v[4:7], v[12:13], off
	s_nop 0
	global_load_dwordx4 v[8:11], v[16:17], off
	v_lshl_add_u64 v[12:13], v[32:33], 4, s[8:9]
	v_add_u32_e32 v32, s16, v34
	v_lshl_add_u64 v[14:15], v[32:33], 4, s[8:9]
	v_add_u32_e32 v32, s17, v18
	s_waitcnt vmcnt(0)
	v_fma_f64 v[8:9], -v[0:1], v[4:5], v[8:9]
	v_fma_f64 v[4:5], -v[2:3], v[4:5], v[10:11]
	v_fmac_f64_e32 v[8:9], v[2:3], v[6:7]
	v_fma_f64 v[10:11], -v[0:1], v[6:7], v[4:5]
	global_store_dwordx4 v[16:17], v[8:11], off
	global_load_dwordx4 v[4:7], v[12:13], off
	s_nop 0
	global_load_dwordx4 v[8:11], v[14:15], off
	v_lshl_add_u64 v[12:13], v[32:33], 4, s[8:9]
	v_add_u32_e32 v32, s17, v34
	v_lshl_add_u64 v[16:17], v[32:33], 4, s[8:9]
	s_waitcnt vmcnt(0)
	v_fma_f64 v[8:9], -v[0:1], v[4:5], v[8:9]
	v_fma_f64 v[4:5], -v[2:3], v[4:5], v[10:11]
	v_fmac_f64_e32 v[8:9], v[2:3], v[6:7]
	v_fma_f64 v[10:11], -v[0:1], v[6:7], v[4:5]
	global_store_dwordx4 v[14:15], v[8:11], off
	global_load_dwordx4 v[4:7], v[12:13], off
	s_nop 0
	global_load_dwordx4 v[8:11], v[16:17], off
	s_waitcnt vmcnt(0)
	v_fma_f64 v[8:9], -v[0:1], v[4:5], v[8:9]
	v_fma_f64 v[4:5], -v[2:3], v[4:5], v[10:11]
	v_fmac_f64_e32 v[8:9], v[2:3], v[6:7]
	v_fma_f64 v[10:11], -v[0:1], v[6:7], v[4:5]
	v_mov_b32_e32 v4, s22
	global_store_dwordx4 v[16:17], v[8:11], off
	s_branch .LBB348_24
.LBB348_29:
	s_endpgm
	.section	.rodata,"a",@progbits
	.p2align	6, 0x0
	.amdhsa_kernel _ZN9rocsparseL19gtsv_LBM_rhs_kernelILj256ELj256ELj8E21rocsparse_complex_numIdEEEviiiPKT2_S5_S5_PS3_S5_PKi
		.amdhsa_group_segment_fixed_size 0
		.amdhsa_private_segment_fixed_size 0
		.amdhsa_kernarg_size 64
		.amdhsa_user_sgpr_count 2
		.amdhsa_user_sgpr_dispatch_ptr 0
		.amdhsa_user_sgpr_queue_ptr 0
		.amdhsa_user_sgpr_kernarg_segment_ptr 1
		.amdhsa_user_sgpr_dispatch_id 0
		.amdhsa_user_sgpr_kernarg_preload_length 0
		.amdhsa_user_sgpr_kernarg_preload_offset 0
		.amdhsa_user_sgpr_private_segment_size 0
		.amdhsa_uses_dynamic_stack 0
		.amdhsa_enable_private_segment 0
		.amdhsa_system_sgpr_workgroup_id_x 1
		.amdhsa_system_sgpr_workgroup_id_y 1
		.amdhsa_system_sgpr_workgroup_id_z 0
		.amdhsa_system_sgpr_workgroup_info 0
		.amdhsa_system_vgpr_workitem_id 0
		.amdhsa_next_free_vgpr 156
		.amdhsa_next_free_sgpr 37
		.amdhsa_accum_offset 156
		.amdhsa_reserve_vcc 1
		.amdhsa_float_round_mode_32 0
		.amdhsa_float_round_mode_16_64 0
		.amdhsa_float_denorm_mode_32 3
		.amdhsa_float_denorm_mode_16_64 3
		.amdhsa_dx10_clamp 1
		.amdhsa_ieee_mode 1
		.amdhsa_fp16_overflow 0
		.amdhsa_tg_split 0
		.amdhsa_exception_fp_ieee_invalid_op 0
		.amdhsa_exception_fp_denorm_src 0
		.amdhsa_exception_fp_ieee_div_zero 0
		.amdhsa_exception_fp_ieee_overflow 0
		.amdhsa_exception_fp_ieee_underflow 0
		.amdhsa_exception_fp_ieee_inexact 0
		.amdhsa_exception_int_div_zero 0
	.end_amdhsa_kernel
	.section	.text._ZN9rocsparseL19gtsv_LBM_rhs_kernelILj256ELj256ELj8E21rocsparse_complex_numIdEEEviiiPKT2_S5_S5_PS3_S5_PKi,"axG",@progbits,_ZN9rocsparseL19gtsv_LBM_rhs_kernelILj256ELj256ELj8E21rocsparse_complex_numIdEEEviiiPKT2_S5_S5_PS3_S5_PKi,comdat
.Lfunc_end348:
	.size	_ZN9rocsparseL19gtsv_LBM_rhs_kernelILj256ELj256ELj8E21rocsparse_complex_numIdEEEviiiPKT2_S5_S5_PS3_S5_PKi, .Lfunc_end348-_ZN9rocsparseL19gtsv_LBM_rhs_kernelILj256ELj256ELj8E21rocsparse_complex_numIdEEEviiiPKT2_S5_S5_PS3_S5_PKi
                                        ; -- End function
	.set _ZN9rocsparseL19gtsv_LBM_rhs_kernelILj256ELj256ELj8E21rocsparse_complex_numIdEEEviiiPKT2_S5_S5_PS3_S5_PKi.num_vgpr, 156
	.set _ZN9rocsparseL19gtsv_LBM_rhs_kernelILj256ELj256ELj8E21rocsparse_complex_numIdEEEviiiPKT2_S5_S5_PS3_S5_PKi.num_agpr, 0
	.set _ZN9rocsparseL19gtsv_LBM_rhs_kernelILj256ELj256ELj8E21rocsparse_complex_numIdEEEviiiPKT2_S5_S5_PS3_S5_PKi.numbered_sgpr, 37
	.set _ZN9rocsparseL19gtsv_LBM_rhs_kernelILj256ELj256ELj8E21rocsparse_complex_numIdEEEviiiPKT2_S5_S5_PS3_S5_PKi.num_named_barrier, 0
	.set _ZN9rocsparseL19gtsv_LBM_rhs_kernelILj256ELj256ELj8E21rocsparse_complex_numIdEEEviiiPKT2_S5_S5_PS3_S5_PKi.private_seg_size, 0
	.set _ZN9rocsparseL19gtsv_LBM_rhs_kernelILj256ELj256ELj8E21rocsparse_complex_numIdEEEviiiPKT2_S5_S5_PS3_S5_PKi.uses_vcc, 1
	.set _ZN9rocsparseL19gtsv_LBM_rhs_kernelILj256ELj256ELj8E21rocsparse_complex_numIdEEEviiiPKT2_S5_S5_PS3_S5_PKi.uses_flat_scratch, 0
	.set _ZN9rocsparseL19gtsv_LBM_rhs_kernelILj256ELj256ELj8E21rocsparse_complex_numIdEEEviiiPKT2_S5_S5_PS3_S5_PKi.has_dyn_sized_stack, 0
	.set _ZN9rocsparseL19gtsv_LBM_rhs_kernelILj256ELj256ELj8E21rocsparse_complex_numIdEEEviiiPKT2_S5_S5_PS3_S5_PKi.has_recursion, 0
	.set _ZN9rocsparseL19gtsv_LBM_rhs_kernelILj256ELj256ELj8E21rocsparse_complex_numIdEEEviiiPKT2_S5_S5_PS3_S5_PKi.has_indirect_call, 0
	.section	.AMDGPU.csdata,"",@progbits
; Kernel info:
; codeLenInByte = 7036
; TotalNumSgprs: 43
; NumVgprs: 156
; NumAgprs: 0
; TotalNumVgprs: 156
; ScratchSize: 0
; MemoryBound: 1
; FloatMode: 240
; IeeeMode: 1
; LDSByteSize: 0 bytes/workgroup (compile time only)
; SGPRBlocks: 5
; VGPRBlocks: 19
; NumSGPRsForWavesPerEU: 43
; NumVGPRsForWavesPerEU: 156
; AccumOffset: 156
; Occupancy: 3
; WaveLimiterHint : 0
; COMPUTE_PGM_RSRC2:SCRATCH_EN: 0
; COMPUTE_PGM_RSRC2:USER_SGPR: 2
; COMPUTE_PGM_RSRC2:TRAP_HANDLER: 0
; COMPUTE_PGM_RSRC2:TGID_X_EN: 1
; COMPUTE_PGM_RSRC2:TGID_Y_EN: 1
; COMPUTE_PGM_RSRC2:TGID_Z_EN: 0
; COMPUTE_PGM_RSRC2:TIDIG_COMP_CNT: 0
; COMPUTE_PGM_RSRC3_GFX90A:ACCUM_OFFSET: 38
; COMPUTE_PGM_RSRC3_GFX90A:TG_SPLIT: 0
	.section	.text._ZN9rocsparseL19gtsv_LBM_rhs_kernelILj256ELj256ELj4E21rocsparse_complex_numIdEEEviiiPKT2_S5_S5_PS3_S5_PKi,"axG",@progbits,_ZN9rocsparseL19gtsv_LBM_rhs_kernelILj256ELj256ELj4E21rocsparse_complex_numIdEEEviiiPKT2_S5_S5_PS3_S5_PKi,comdat
	.globl	_ZN9rocsparseL19gtsv_LBM_rhs_kernelILj256ELj256ELj4E21rocsparse_complex_numIdEEEviiiPKT2_S5_S5_PS3_S5_PKi ; -- Begin function _ZN9rocsparseL19gtsv_LBM_rhs_kernelILj256ELj256ELj4E21rocsparse_complex_numIdEEEviiiPKT2_S5_S5_PS3_S5_PKi
	.p2align	8
	.type	_ZN9rocsparseL19gtsv_LBM_rhs_kernelILj256ELj256ELj4E21rocsparse_complex_numIdEEEviiiPKT2_S5_S5_PS3_S5_PKi,@function
_ZN9rocsparseL19gtsv_LBM_rhs_kernelILj256ELj256ELj4E21rocsparse_complex_numIdEEEviiiPKT2_S5_S5_PS3_S5_PKi: ; @_ZN9rocsparseL19gtsv_LBM_rhs_kernelILj256ELj256ELj4E21rocsparse_complex_numIdEEEviiiPKT2_S5_S5_PS3_S5_PKi
; %bb.0:
	s_load_dword s23, s[0:1], 0x0
	v_lshl_or_b32 v28, s2, 8, v0
	s_waitcnt lgkmcnt(0)
	s_lshr_b32 s22, s23, 8
	v_cmp_gt_i32_e32 vcc, s22, v28
	s_and_saveexec_b64 s[4:5], vcc
	s_cbranch_execz .LBB349_29
; %bb.1:
	s_load_dwordx4 s[8:11], s[0:1], 0x28
	s_load_dwordx2 s[6:7], s[0:1], 0x38
	s_cmp_lt_i32 s23, 1
	v_add_u32_e32 v64, s22, v28
	s_mul_i32 s24, s3, s23
	s_cbranch_scc1 .LBB349_21
; %bb.2:
	s_load_dwordx4 s[12:15], s[0:1], 0x10
	s_load_dwordx2 s[16:17], s[0:1], 0x20
	v_ashrrev_i32_e32 v29, 31, v28
	s_lshl_b32 s28, s24, 2
	s_add_i32 s29, s28, s23
	s_waitcnt lgkmcnt(0)
	v_lshl_add_u64 v[0:1], v[28:29], 4, s[14:15]
	global_load_dwordx4 v[0:3], v[0:1], off
	s_add_i32 s30, s29, s23
	s_mul_i32 s25, s22, 0xff
	s_mul_i32 s26, s22, 0xfe
	s_lshl_b32 s27, s22, 1
	v_add_u32_e32 v65, s22, v64
	s_add_i32 s31, s30, s23
	v_mov_b32_e32 v31, 0
	s_mov_b64 s[18:19], 0
	v_mov_b32_e32 v29, 0
	s_branch .LBB349_5
.LBB349_3:                              ;   in Loop: Header=BB349_5 Depth=1
	s_or_b64 exec, exec, s[4:5]
	v_fmac_f64_e32 v[34:35], v[4:5], v[8:9]
	v_fmac_f64_e32 v[32:33], v[6:7], v[8:9]
	v_mul_f64 v[0:1], v[36:37], -v[32:33]
	v_mul_f64 v[2:3], v[36:37], v[34:35]
	v_fmac_f64_e32 v[0:1], v[34:35], v[10:11]
	v_fmac_f64_e32 v[2:3], v[32:33], v[10:11]
	v_add_f64 v[0:1], v[12:13], -v[0:1]
	v_add_f64 v[2:3], v[14:15], -v[2:3]
	v_mov_b32_e32 v10, s22
.LBB349_4:                              ;   in Loop: Header=BB349_5 Depth=1
	s_or_b64 exec, exec, s[2:3]
	v_add_u32_e32 v29, v10, v29
	v_cmp_le_i32_e32 vcc, s23, v29
	s_or_b64 s[18:19], vcc, s[18:19]
	s_andn2_b64 exec, exec, s[18:19]
	s_cbranch_execz .LBB349_20
.LBB349_5:                              ; =>This Inner Loop Header: Depth=1
	v_add_u32_e32 v24, v29, v28
	v_ashrrev_i32_e32 v25, 31, v24
	v_lshl_add_u64 v[4:5], v[24:25], 4, s[16:17]
	global_load_dwordx4 v[8:11], v[4:5], off
	v_cmp_gt_u32_e64 s[0:1], s25, v29
	v_mov_b64_e32 v[12:13], 0
	v_mov_b64_e32 v[4:5], 0
	;; [unrolled: 1-line block ×3, first 2 shown]
	s_and_saveexec_b64 s[2:3], s[0:1]
	s_cbranch_execz .LBB349_7
; %bb.6:                                ;   in Loop: Header=BB349_5 Depth=1
	v_add_u32_e32 v4, v64, v29
	v_ashrrev_i32_e32 v5, 31, v4
	v_lshl_add_u64 v[4:5], v[4:5], 4, s[12:13]
	global_load_dwordx4 v[4:7], v[4:5], off
.LBB349_7:                              ;   in Loop: Header=BB349_5 Depth=1
	s_or_b64 exec, exec, s[2:3]
	v_mov_b64_e32 v[14:15], 0
	s_and_saveexec_b64 s[2:3], s[0:1]
	s_cbranch_execz .LBB349_9
; %bb.8:                                ;   in Loop: Header=BB349_5 Depth=1
	v_add_u32_e32 v12, v64, v29
	v_ashrrev_i32_e32 v13, 31, v12
	v_lshl_add_u64 v[12:13], v[12:13], 4, s[14:15]
	global_load_dwordx4 v[12:15], v[12:13], off
.LBB349_9:                              ;   in Loop: Header=BB349_5 Depth=1
	s_or_b64 exec, exec, s[2:3]
	v_mov_b64_e32 v[20:21], 0
	v_mov_b64_e32 v[16:17], 0
	;; [unrolled: 1-line block ×3, first 2 shown]
	s_and_saveexec_b64 s[2:3], s[0:1]
	s_cbranch_execz .LBB349_11
; %bb.10:                               ;   in Loop: Header=BB349_5 Depth=1
	v_add_u32_e32 v16, v64, v29
	v_ashrrev_i32_e32 v17, 31, v16
	v_lshl_add_u64 v[16:17], v[16:17], 4, s[16:17]
	global_load_dwordx4 v[16:19], v[16:17], off
.LBB349_11:                             ;   in Loop: Header=BB349_5 Depth=1
	s_or_b64 exec, exec, s[2:3]
	v_cmp_gt_u32_e64 s[2:3], s26, v29
	v_mov_b64_e32 v[22:23], 0
	s_and_saveexec_b64 s[4:5], s[2:3]
	s_cbranch_execz .LBB349_13
; %bb.12:                               ;   in Loop: Header=BB349_5 Depth=1
	v_add_u32_e32 v20, v65, v29
	v_ashrrev_i32_e32 v21, 31, v20
	v_lshl_add_u64 v[20:21], v[20:21], 4, s[12:13]
	global_load_dwordx4 v[20:23], v[20:21], off
.LBB349_13:                             ;   in Loop: Header=BB349_5 Depth=1
	s_or_b64 exec, exec, s[4:5]
	v_lshl_add_u64 v[26:27], v[24:25], 2, s[6:7]
	global_load_dword v25, v[26:27], off
	v_cmp_ne_u32_e32 vcc, s25, v29
	s_waitcnt vmcnt(1)
	v_mul_f64 v[34:35], v[10:11], -v[6:7]
	v_mul_f64 v[32:33], v[10:11], v[4:5]
	v_add_u32_e32 v30, s28, v24
	v_add_u32_e32 v42, s29, v24
	;; [unrolled: 1-line block ×4, first 2 shown]
	s_waitcnt vmcnt(0)
	v_cmp_ne_u32_e64 s[4:5], 1, v25
	s_and_b64 s[4:5], vcc, s[4:5]
	s_and_saveexec_b64 s[20:21], s[4:5]
	s_xor_b64 s[4:5], exec, s[20:21]
	s_cbranch_execz .LBB349_17
; %bb.14:                               ;   in Loop: Header=BB349_5 Depth=1
	v_add_u32_e32 v44, v64, v29
	v_lshl_add_u64 v[40:41], v[30:31], 4, s[8:9]
	v_add_u32_e32 v30, s28, v44
	v_mov_b32_e32 v43, v31
	v_lshl_add_u64 v[48:49], v[42:43], 4, s[8:9]
	v_lshl_add_u64 v[82:83], v[30:31], 4, s[8:9]
	v_add_u32_e32 v30, s29, v44
	global_load_dwordx4 v[24:27], v[40:41], off
	global_load_dwordx4 v[52:55], v[48:49], off
	;; [unrolled: 1-line block ×3, first 2 shown]
	v_lshl_add_u64 v[84:85], v[30:31], 4, s[8:9]
	global_load_dwordx4 v[60:63], v[84:85], off
	v_mov_b32_e32 v39, v31
	v_add_u32_e32 v30, s30, v44
	v_lshl_add_u64 v[86:87], v[38:39], 4, s[8:9]
	v_lshl_add_u64 v[88:89], v[30:31], 4, s[8:9]
	global_load_dwordx4 v[66:69], v[86:87], off
	global_load_dwordx4 v[70:73], v[88:89], off
	v_mov_b32_e32 v37, v31
	v_lshl_add_u64 v[90:91], v[36:37], 4, s[8:9]
	global_load_dwordx4 v[74:77], v[90:91], off
	v_add_u32_e32 v30, s31, v44
	v_lshl_add_u64 v[92:93], v[30:31], 4, s[8:9]
	global_load_dwordx4 v[78:81], v[92:93], off
	v_mul_f64 v[42:43], v[0:1], v[14:15]
	v_mul_f64 v[38:39], v[14:15], -v[2:3]
	v_fmac_f64_e32 v[32:33], v[6:7], v[8:9]
	v_fmac_f64_e32 v[42:43], v[2:3], v[12:13]
	;; [unrolled: 1-line block ×4, first 2 shown]
	v_add_f64 v[32:33], v[42:43], -v[32:33]
	v_add_f64 v[34:35], v[38:39], -v[34:35]
	v_mul_f64 v[36:37], v[32:33], v[32:33]
	v_fmac_f64_e32 v[36:37], v[34:35], v[34:35]
	v_div_scale_f64 v[42:43], s[20:21], v[36:37], v[36:37], 1.0
	v_rcp_f64_e32 v[44:45], v[42:43]
	v_fma_f64 v[38:39], 0, v[32:33], v[34:35]
	v_fma_f64 v[34:35], v[34:35], 0, -v[32:33]
	v_div_scale_f64 v[32:33], vcc, 1.0, v[36:37], 1.0
	v_fma_f64 v[46:47], -v[42:43], v[44:45], 1.0
	v_fmac_f64_e32 v[44:45], v[44:45], v[46:47]
	v_fma_f64 v[46:47], -v[42:43], v[44:45], 1.0
	v_fmac_f64_e32 v[44:45], v[44:45], v[46:47]
	v_mul_f64 v[46:47], v[32:33], v[44:45]
	v_fma_f64 v[32:33], -v[42:43], v[46:47], v[32:33]
	v_div_fmas_f64 v[32:33], v[32:33], v[44:45], v[46:47]
	v_div_fixup_f64 v[36:37], v[32:33], v[36:37], 1.0
	v_mul_f64 v[34:35], v[34:35], v[36:37]
	v_mul_f64 v[32:33], v[38:39], v[36:37]
	s_waitcnt vmcnt(7)
	v_mul_f64 v[36:37], v[34:35], -v[26:27]
	v_mul_f64 v[42:43], v[34:35], v[24:25]
	s_waitcnt vmcnt(6)
	v_mul_f64 v[46:47], v[34:35], v[52:53]
	s_waitcnt vmcnt(5)
	v_mul_f64 v[50:51], v[34:35], v[56:57]
	v_fmac_f64_e32 v[36:37], v[24:25], v[32:33]
	v_fmac_f64_e32 v[42:43], v[26:27], v[32:33]
	v_mul_f64 v[24:25], v[34:35], -v[54:55]
	v_mul_f64 v[38:39], v[34:35], -v[58:59]
	v_fmac_f64_e32 v[46:47], v[54:55], v[32:33]
	v_fmac_f64_e32 v[50:51], v[58:59], v[32:33]
	s_waitcnt vmcnt(4)
	v_mul_f64 v[54:55], v[34:35], v[60:61]
	v_mul_f64 v[26:27], v[42:43], -v[14:15]
	v_mul_f64 v[94:95], v[12:13], v[42:43]
	v_fmac_f64_e32 v[38:39], v[56:57], v[32:33]
	v_mul_f64 v[44:45], v[34:35], -v[62:63]
	v_mul_f64 v[56:57], v[50:51], -v[10:11]
	v_mul_f64 v[58:59], v[8:9], v[50:51]
	v_fmac_f64_e32 v[54:55], v[62:63], v[32:33]
	v_fmac_f64_e32 v[24:25], v[52:53], v[32:33]
	;; [unrolled: 1-line block ×4, first 2 shown]
	v_mul_f64 v[52:53], v[46:47], -v[14:15]
	v_mul_f64 v[96:97], v[12:13], v[46:47]
	v_fmac_f64_e32 v[44:45], v[60:61], v[32:33]
	v_fmac_f64_e32 v[56:57], v[8:9], v[38:39]
	;; [unrolled: 1-line block ×3, first 2 shown]
	v_mul_f64 v[60:61], v[54:55], -v[10:11]
	v_mul_f64 v[62:63], v[8:9], v[54:55]
	v_fmac_f64_e32 v[52:53], v[12:13], v[24:25]
	v_fmac_f64_e32 v[96:97], v[14:15], v[24:25]
	v_add_f64 v[56:57], v[26:27], -v[56:57]
	v_add_f64 v[58:59], v[94:95], -v[58:59]
	v_fmac_f64_e32 v[60:61], v[8:9], v[44:45]
	v_fmac_f64_e32 v[62:63], v[10:11], v[44:45]
	global_store_dwordx4 v[40:41], v[56:59], off
	s_waitcnt vmcnt(4)
	v_mul_f64 v[26:27], v[34:35], -v[68:69]
	s_waitcnt vmcnt(3)
	v_mul_f64 v[40:41], v[34:35], -v[72:73]
	v_add_f64 v[56:57], v[52:53], -v[60:61]
	v_add_f64 v[58:59], v[96:97], -v[62:63]
	global_store_dwordx4 v[48:49], v[56:59], off
	v_mul_f64 v[48:49], v[34:35], v[66:67]
	v_mul_f64 v[52:53], v[34:35], v[70:71]
	v_fmac_f64_e32 v[48:49], v[68:69], v[32:33]
	v_fmac_f64_e32 v[52:53], v[72:73], v[32:33]
	;; [unrolled: 1-line block ×4, first 2 shown]
	v_mul_f64 v[56:57], v[48:49], -v[14:15]
	v_mul_f64 v[58:59], v[12:13], v[48:49]
	v_mul_f64 v[60:61], v[52:53], -v[10:11]
	v_mul_f64 v[62:63], v[8:9], v[52:53]
	v_fmac_f64_e32 v[56:57], v[12:13], v[26:27]
	v_fmac_f64_e32 v[58:59], v[14:15], v[26:27]
	;; [unrolled: 1-line block ×4, first 2 shown]
	v_add_f64 v[56:57], v[56:57], -v[60:61]
	v_add_f64 v[58:59], v[58:59], -v[62:63]
	s_waitcnt vmcnt(3)
	v_mul_f64 v[60:61], v[34:35], v[74:75]
	global_store_dwordx4 v[86:87], v[56:59], off
	v_fmac_f64_e32 v[60:61], v[76:77], v[32:33]
	s_waitcnt vmcnt(3)
	v_mul_f64 v[62:63], v[34:35], v[78:79]
	v_mul_f64 v[56:57], v[34:35], -v[76:77]
	v_fmac_f64_e32 v[56:57], v[74:75], v[32:33]
	v_mul_f64 v[66:67], v[60:61], -v[14:15]
	v_mul_f64 v[58:59], v[34:35], -v[80:81]
	v_fmac_f64_e32 v[62:63], v[80:81], v[32:33]
	v_fmac_f64_e32 v[66:67], v[12:13], v[56:57]
	v_mul_f64 v[12:13], v[12:13], v[60:61]
	v_fmac_f64_e32 v[58:59], v[78:79], v[32:33]
	v_fmac_f64_e32 v[12:13], v[14:15], v[56:57]
	v_mul_f64 v[14:15], v[62:63], -v[10:11]
	v_mul_f64 v[68:69], v[8:9], v[62:63]
	v_fmac_f64_e32 v[14:15], v[8:9], v[58:59]
	v_fmac_f64_e32 v[68:69], v[10:11], v[58:59]
	v_add_f64 v[8:9], v[66:67], -v[14:15]
	v_add_f64 v[10:11], v[12:13], -v[68:69]
	global_store_dwordx4 v[90:91], v[8:11], off
	v_mul_f64 v[12:13], v[50:51], -v[2:3]
	v_mul_f64 v[14:15], v[0:1], v[50:51]
	v_mul_f64 v[8:9], v[6:7], v[42:43]
	v_mul_f64 v[10:11], v[42:43], -v[4:5]
	v_fma_f64 v[8:9], -v[4:5], v[36:37], v[8:9]
	v_fma_f64 v[10:11], -v[6:7], v[36:37], v[10:11]
	v_fmac_f64_e32 v[12:13], v[0:1], v[38:39]
	v_fmac_f64_e32 v[14:15], v[2:3], v[38:39]
	v_add_f64 v[8:9], v[8:9], v[12:13]
	v_add_f64 v[10:11], v[10:11], v[14:15]
	global_store_dwordx4 v[82:83], v[8:11], off
	v_mul_f64 v[12:13], v[54:55], -v[2:3]
	v_mul_f64 v[14:15], v[0:1], v[54:55]
	v_mul_f64 v[8:9], v[6:7], v[46:47]
	v_mul_f64 v[10:11], v[46:47], -v[4:5]
	v_fma_f64 v[8:9], -v[4:5], v[24:25], v[8:9]
	v_fma_f64 v[10:11], -v[6:7], v[24:25], v[10:11]
	v_fmac_f64_e32 v[12:13], v[0:1], v[44:45]
	v_fmac_f64_e32 v[14:15], v[2:3], v[44:45]
	v_add_f64 v[8:9], v[8:9], v[12:13]
	v_add_f64 v[10:11], v[10:11], v[14:15]
	global_store_dwordx4 v[84:85], v[8:11], off
	v_mul_f64 v[14:15], v[0:1], v[52:53]
	v_fmac_f64_e32 v[14:15], v[2:3], v[40:41]
	v_mul_f64 v[10:11], v[48:49], -v[4:5]
	v_mul_f64 v[8:9], v[6:7], v[48:49]
	v_fma_f64 v[12:13], -v[6:7], v[26:27], v[10:11]
	v_mul_f64 v[10:11], v[52:53], -v[2:3]
	v_fma_f64 v[8:9], -v[4:5], v[26:27], v[8:9]
	v_fmac_f64_e32 v[10:11], v[0:1], v[40:41]
	v_add_f64 v[10:11], v[8:9], v[10:11]
	v_add_f64 v[12:13], v[12:13], v[14:15]
	global_store_dwordx4 v[88:89], v[10:13], off
	v_mul_f64 v[14:15], v[62:63], -v[2:3]
	v_mul_f64 v[66:67], v[0:1], v[62:63]
	v_mul_f64 v[10:11], v[6:7], v[60:61]
	v_mul_f64 v[12:13], v[60:61], -v[4:5]
	v_fma_f64 v[10:11], -v[4:5], v[56:57], v[10:11]
	v_fma_f64 v[12:13], -v[6:7], v[56:57], v[12:13]
	v_fmac_f64_e32 v[14:15], v[0:1], v[58:59]
	v_fmac_f64_e32 v[66:67], v[2:3], v[58:59]
	v_add_f64 v[10:11], v[10:11], v[14:15]
	v_add_f64 v[12:13], v[12:13], v[66:67]
	v_mov_b64_e32 v[8:9], 0
	global_store_dwordx4 v[92:93], v[10:13], off
	s_nop 1
	v_mov_b64_e32 v[10:11], 0
	s_and_saveexec_b64 s[20:21], s[2:3]
	s_cbranch_execz .LBB349_16
; %bb.15:                               ;   in Loop: Header=BB349_5 Depth=1
	v_add_u32_e32 v66, v65, v29
	v_add_u32_e32 v30, s28, v66
	v_lshl_add_u64 v[68:69], v[30:31], 4, s[8:9]
	v_add_u32_e32 v30, s29, v66
	global_load_dwordx4 v[8:11], v[68:69], off
	v_lshl_add_u64 v[70:71], v[30:31], 4, s[8:9]
	global_load_dwordx4 v[12:15], v[70:71], off
	v_mul_f64 v[72:73], v[6:7], v[22:23]
	v_mul_f64 v[74:75], v[22:23], -v[4:5]
	v_mul_f64 v[76:77], v[22:23], -v[2:3]
	v_mul_f64 v[78:79], v[0:1], v[22:23]
	v_fma_f64 v[72:73], -v[4:5], v[20:21], v[72:73]
	v_fma_f64 v[74:75], -v[6:7], v[20:21], v[74:75]
	v_fmac_f64_e32 v[76:77], v[0:1], v[20:21]
	v_fmac_f64_e32 v[78:79], v[2:3], v[20:21]
	v_mul_f64 v[4:5], v[74:75], v[42:43]
	v_mul_f64 v[6:7], v[42:43], -v[72:73]
	v_mul_f64 v[42:43], v[50:51], -v[78:79]
	v_mul_f64 v[50:51], v[76:77], v[50:51]
	v_mul_f64 v[80:81], v[74:75], v[46:47]
	v_mul_f64 v[46:47], v[46:47], -v[72:73]
	v_mul_f64 v[82:83], v[54:55], -v[78:79]
	v_mul_f64 v[54:55], v[76:77], v[54:55]
	v_fma_f64 v[86:87], -v[72:73], v[36:37], v[4:5]
	v_fma_f64 v[36:37], -v[74:75], v[36:37], v[6:7]
	v_fmac_f64_e32 v[42:43], v[76:77], v[38:39]
	v_fmac_f64_e32 v[50:51], v[78:79], v[38:39]
	v_fma_f64 v[38:39], -v[72:73], v[24:25], v[80:81]
	v_fma_f64 v[24:25], -v[74:75], v[24:25], v[46:47]
	v_fmac_f64_e32 v[82:83], v[76:77], v[44:45]
	v_fmac_f64_e32 v[54:55], v[78:79], v[44:45]
	v_add_f64 v[42:43], v[86:87], -v[42:43]
	v_add_f64 v[36:37], v[36:37], -v[50:51]
	v_add_u32_e32 v30, s30, v66
	v_add_f64 v[38:39], v[38:39], -v[82:83]
	v_add_f64 v[24:25], v[24:25], -v[54:55]
	v_ashrrev_i32_e32 v67, 31, v66
	v_lshl_add_u64 v[44:45], v[30:31], 4, s[8:9]
	v_add_u32_e32 v30, s31, v66
	v_lshl_add_u64 v[84:85], v[66:67], 4, s[14:15]
	v_lshl_add_u64 v[46:47], v[30:31], 4, s[8:9]
	global_load_dwordx4 v[4:7], v[84:85], off
	v_mul_f64 v[50:51], v[76:77], v[62:63]
	v_fmac_f64_e32 v[50:51], v[78:79], v[58:59]
	s_waitcnt vmcnt(2)
	v_add_f64 v[8:9], v[42:43], v[8:9]
	v_add_f64 v[10:11], v[36:37], v[10:11]
	global_store_dwordx4 v[68:69], v[8:11], off
	v_mul_f64 v[42:43], v[60:61], -v[72:73]
	s_waitcnt vmcnt(2)
	v_add_f64 v[8:9], v[38:39], v[12:13]
	v_add_f64 v[10:11], v[24:25], v[14:15]
	global_load_dwordx4 v[36:39], v[44:45], off
	v_mul_f64 v[24:25], v[74:75], v[60:61]
	global_store_dwordx4 v[70:71], v[8:11], off
	global_load_dwordx4 v[12:15], v[46:47], off
	v_fma_f64 v[24:25], -v[72:73], v[56:57], v[24:25]
	v_mul_f64 v[8:9], v[2:3], -v[22:23]
	v_mul_f64 v[2:3], v[2:3], v[20:21]
	v_fmac_f64_e32 v[8:9], v[20:21], v[0:1]
	v_fmac_f64_e32 v[2:3], v[22:23], v[0:1]
	v_mul_f64 v[0:1], v[74:75], v[48:49]
	v_mul_f64 v[10:11], v[48:49], -v[72:73]
	v_mul_f64 v[20:21], v[52:53], -v[78:79]
	v_mul_f64 v[22:23], v[76:77], v[52:53]
	v_mul_f64 v[52:53], v[18:19], -v[2:3]
	v_mul_f64 v[18:19], v[18:19], v[8:9]
	v_mul_f64 v[48:49], v[62:63], -v[78:79]
	v_fma_f64 v[0:1], -v[72:73], v[26:27], v[0:1]
	v_fma_f64 v[10:11], -v[74:75], v[26:27], v[10:11]
	v_fmac_f64_e32 v[20:21], v[76:77], v[40:41]
	v_fmac_f64_e32 v[22:23], v[78:79], v[40:41]
	;; [unrolled: 1-line block ×4, first 2 shown]
	v_fma_f64 v[26:27], -v[74:75], v[56:57], v[42:43]
	v_fmac_f64_e32 v[48:49], v[76:77], v[58:59]
	v_add_f64 v[0:1], v[0:1], -v[20:21]
	v_add_f64 v[2:3], v[10:11], -v[22:23]
	v_mul_f64 v[10:11], v[34:35], -v[18:19]
	v_mul_f64 v[20:21], v[34:35], v[52:53]
	v_add_f64 v[8:9], v[24:25], -v[48:49]
	v_add_f64 v[16:17], v[26:27], -v[50:51]
	v_fmac_f64_e32 v[10:11], v[52:53], v[32:33]
	v_fmac_f64_e32 v[20:21], v[18:19], v[32:33]
	s_waitcnt vmcnt(4)
	v_add_f64 v[10:11], v[4:5], -v[10:11]
	s_waitcnt vmcnt(2)
	v_add_f64 v[0:1], v[0:1], v[36:37]
	v_add_f64 v[2:3], v[2:3], v[38:39]
	global_store_dwordx4 v[44:45], v[0:3], off
	s_waitcnt vmcnt(1)
	s_nop 0
	v_add_f64 v[0:1], v[8:9], v[12:13]
	v_add_f64 v[2:3], v[16:17], v[14:15]
	v_add_f64 v[8:9], v[6:7], -v[20:21]
	global_store_dwordx4 v[46:47], v[0:3], off
.LBB349_16:                             ;   in Loop: Header=BB349_5 Depth=1
	s_or_b64 exec, exec, s[20:21]
	s_nop 0
	v_mov_b64_e32 v[2:3], v[8:9]
	v_mov_b64_e32 v[0:1], v[10:11]
                                        ; implicit-def: $vgpr4_vgpr5
                                        ; implicit-def: $vgpr12_vgpr13
                                        ; implicit-def: $vgpr8_vgpr9
                                        ; implicit-def: $vgpr34_vgpr35
                                        ; implicit-def: $vgpr32_vgpr33
                                        ; implicit-def: $vgpr42
                                        ; implicit-def: $vgpr38
                                        ; implicit-def: $vgpr36
.LBB349_17:                             ;   in Loop: Header=BB349_5 Depth=1
	s_or_saveexec_b64 s[2:3], s[4:5]
	v_mov_b32_e32 v10, s27
	s_xor_b64 exec, exec, s[2:3]
	s_cbranch_execz .LBB349_4
; %bb.18:                               ;   in Loop: Header=BB349_5 Depth=1
	v_lshl_add_u64 v[52:53], v[30:31], 4, s[8:9]
	v_mov_b32_e32 v43, v31
	v_mov_b32_e32 v39, v31
	;; [unrolled: 1-line block ×3, first 2 shown]
	global_load_dwordx4 v[16:19], v[52:53], off
	v_lshl_add_u64 v[54:55], v[42:43], 4, s[8:9]
	v_lshl_add_u64 v[38:39], v[38:39], 4, s[8:9]
	;; [unrolled: 1-line block ×3, first 2 shown]
	global_load_dwordx4 v[40:43], v[54:55], off
	global_load_dwordx4 v[48:51], v[56:57], off
	;; [unrolled: 1-line block ×3, first 2 shown]
	v_mul_f64 v[10:11], v[2:3], v[2:3]
	v_fmac_f64_e32 v[10:11], v[0:1], v[0:1]
	v_div_scale_f64 v[22:23], s[4:5], v[10:11], v[10:11], 1.0
	v_rcp_f64_e32 v[24:25], v[22:23]
	v_fma_f64 v[20:21], 0, v[2:3], v[0:1]
	v_fma_f64 v[0:1], v[0:1], 0, -v[2:3]
	v_div_scale_f64 v[2:3], vcc, 1.0, v[10:11], 1.0
	v_fma_f64 v[26:27], -v[22:23], v[24:25], 1.0
	v_fmac_f64_e32 v[24:25], v[24:25], v[26:27]
	v_fma_f64 v[26:27], -v[22:23], v[24:25], 1.0
	v_fmac_f64_e32 v[24:25], v[24:25], v[26:27]
	v_mul_f64 v[26:27], v[2:3], v[24:25]
	v_fma_f64 v[2:3], -v[22:23], v[26:27], v[2:3]
	v_div_fmas_f64 v[2:3], v[2:3], v[24:25], v[26:27]
	v_div_fixup_f64 v[2:3], v[2:3], v[10:11], 1.0
	v_mul_f64 v[36:37], v[0:1], v[2:3]
	v_mul_f64 v[10:11], v[20:21], v[2:3]
	s_waitcnt vmcnt(3)
	v_mul_f64 v[24:25], v[36:37], -v[18:19]
	v_mul_f64 v[26:27], v[36:37], v[16:17]
	v_fmac_f64_e32 v[24:25], v[16:17], v[10:11]
	v_fmac_f64_e32 v[26:27], v[18:19], v[10:11]
	s_waitcnt vmcnt(2)
	v_mul_f64 v[20:21], v[36:37], -v[42:43]
	v_mul_f64 v[22:23], v[36:37], v[40:41]
	s_waitcnt vmcnt(0)
	v_mul_f64 v[16:17], v[36:37], -v[46:47]
	v_mul_f64 v[18:19], v[36:37], v[44:45]
	v_mul_f64 v[0:1], v[36:37], -v[50:51]
	v_mul_f64 v[2:3], v[36:37], v[48:49]
	v_fmac_f64_e32 v[20:21], v[40:41], v[10:11]
	v_fmac_f64_e32 v[22:23], v[42:43], v[10:11]
	;; [unrolled: 1-line block ×6, first 2 shown]
	global_store_dwordx4 v[52:53], v[24:27], off
	global_store_dwordx4 v[54:55], v[20:23], off
	;; [unrolled: 1-line block ×4, first 2 shown]
	s_and_saveexec_b64 s[4:5], s[0:1]
	s_cbranch_execz .LBB349_3
; %bb.19:                               ;   in Loop: Header=BB349_5 Depth=1
	v_add_u32_e32 v52, v64, v29
	v_add_u32_e32 v30, s28, v52
	v_lshl_add_u64 v[46:47], v[30:31], 4, s[8:9]
	v_add_u32_e32 v30, s29, v52
	global_load_dwordx4 v[38:41], v[46:47], off
	v_lshl_add_u64 v[48:49], v[30:31], 4, s[8:9]
	global_load_dwordx4 v[42:45], v[48:49], off
	v_add_u32_e32 v30, s30, v52
	v_lshl_add_u64 v[50:51], v[30:31], 4, s[8:9]
	v_add_u32_e32 v30, s31, v52
	v_lshl_add_u64 v[52:53], v[30:31], 4, s[8:9]
	s_waitcnt vmcnt(1)
	v_fma_f64 v[38:39], -v[4:5], v[24:25], v[38:39]
	v_fma_f64 v[24:25], -v[6:7], v[24:25], v[40:41]
	v_fmac_f64_e32 v[38:39], v[6:7], v[26:27]
	v_fma_f64 v[40:41], -v[4:5], v[26:27], v[24:25]
	s_waitcnt vmcnt(0)
	v_fma_f64 v[24:25], -v[4:5], v[20:21], v[42:43]
	v_fma_f64 v[20:21], -v[6:7], v[20:21], v[44:45]
	global_store_dwordx4 v[46:47], v[38:41], off
	v_fmac_f64_e32 v[24:25], v[6:7], v[22:23]
	v_fma_f64 v[26:27], -v[4:5], v[22:23], v[20:21]
	global_load_dwordx4 v[38:41], v[50:51], off
	s_nop 0
	global_store_dwordx4 v[48:49], v[24:27], off
	global_load_dwordx4 v[20:23], v[52:53], off
	s_waitcnt vmcnt(2)
	v_fma_f64 v[24:25], -v[4:5], v[16:17], v[38:39]
	v_fma_f64 v[16:17], -v[6:7], v[16:17], v[40:41]
	;; [unrolled: 1-line block ×3, first 2 shown]
	s_waitcnt vmcnt(0)
	v_fma_f64 v[16:17], -v[4:5], v[0:1], v[20:21]
	v_fma_f64 v[0:1], -v[6:7], v[0:1], v[22:23]
	v_fmac_f64_e32 v[24:25], v[6:7], v[18:19]
	v_fmac_f64_e32 v[16:17], v[6:7], v[2:3]
	v_fma_f64 v[18:19], -v[4:5], v[2:3], v[0:1]
	global_store_dwordx4 v[50:51], v[24:27], off
	global_store_dwordx4 v[52:53], v[16:19], off
	s_branch .LBB349_3
.LBB349_20:
	s_or_b64 exec, exec, s[18:19]
	s_branch .LBB349_22
.LBB349_21:
	v_mov_b32_e32 v29, 0
.LBB349_22:
	v_subrev_u32_e32 v2, s22, v29
	v_add_u32_e32 v0, v2, v28
	v_ashrrev_i32_e32 v1, 31, v0
	s_waitcnt lgkmcnt(0)
	v_lshl_add_u64 v[0:1], v[0:1], 2, s[6:7]
	buffer_wbl2 sc1
	s_waitcnt vmcnt(0)
	buffer_inv sc1
	global_load_dword v0, v[0:1], off
	s_waitcnt vmcnt(0)
	v_mul_lo_u32 v0, v0, s22
	v_sub_u32_e32 v8, v2, v0
	v_cmp_lt_i32_e32 vcc, -1, v8
	s_and_b64 exec, exec, vcc
	s_cbranch_execz .LBB349_29
; %bb.23:
	s_lshl_b32 s4, s24, 2
	s_add_i32 s5, s4, s23
	s_add_i32 s12, s5, s23
	;; [unrolled: 1-line block ×3, first 2 shown]
	s_lshl_b32 s14, s22, 1
	s_mov_b64 s[0:1], 0
	v_mov_b32_e32 v5, 0
	s_branch .LBB349_25
.LBB349_24:                             ;   in Loop: Header=BB349_25 Depth=1
	s_or_b64 exec, exec, s[2:3]
	v_sub_u32_e32 v8, v8, v4
	v_cmp_gt_i32_e32 vcc, 0, v8
	s_or_b64 s[0:1], vcc, s[0:1]
	s_andn2_b64 exec, exec, s[0:1]
	s_cbranch_execz .LBB349_29
.LBB349_25:                             ; =>This Inner Loop Header: Depth=1
	v_add_u32_e32 v6, v8, v28
	v_ashrrev_i32_e32 v7, 31, v6
	s_waitcnt vmcnt(0)
	v_lshl_add_u64 v[0:1], v[6:7], 2, s[6:7]
	global_load_dword v4, v[0:1], off
	v_lshl_add_u64 v[0:1], v[6:7], 4, s[10:11]
	global_load_dwordx4 v[0:3], v[0:1], off
	s_waitcnt vmcnt(1)
	v_cmp_ne_u32_e32 vcc, 1, v4
	s_and_saveexec_b64 s[2:3], vcc
	s_xor_b64 s[2:3], exec, s[2:3]
	s_cbranch_execz .LBB349_27
; %bb.26:                               ;   in Loop: Header=BB349_25 Depth=1
	v_add_u32_e32 v7, v64, v8
	v_add_u32_e32 v4, s4, v7
	v_lshl_add_u64 v[26:27], v[4:5], 4, s[8:9]
	v_add_u32_e32 v4, s5, v7
	v_lshl_add_u64 v[34:35], v[4:5], 4, s[8:9]
	;; [unrolled: 2-line block ×5, first 2 shown]
	global_load_dwordx4 v[10:13], v[40:41], off
	global_load_dwordx4 v[14:17], v[26:27], off
	;; [unrolled: 1-line block ×5, first 2 shown]
	v_add_u32_e32 v4, s5, v6
	v_lshl_add_u64 v[26:27], v[4:5], 4, s[8:9]
	v_add_u32_e32 v4, s12, v6
	v_lshl_add_u64 v[34:35], v[4:5], 4, s[8:9]
	v_add_u32_e32 v4, s13, v6
	v_lshl_add_u64 v[6:7], v[4:5], 4, s[8:9]
	v_subrev_u32_e32 v4, s22, v8
	s_waitcnt vmcnt(3)
	v_fma_f64 v[10:11], -v[0:1], v[14:15], v[10:11]
	v_fma_f64 v[12:13], -v[2:3], v[14:15], v[12:13]
	v_fmac_f64_e32 v[10:11], v[2:3], v[16:17]
	v_fma_f64 v[12:13], -v[0:1], v[16:17], v[12:13]
	global_store_dwordx4 v[40:41], v[10:13], off
	global_load_dwordx4 v[10:13], v[26:27], off
	s_waitcnt vmcnt(0)
	v_fma_f64 v[10:11], -v[0:1], v[18:19], v[10:11]
	v_fma_f64 v[12:13], -v[2:3], v[18:19], v[12:13]
	v_fmac_f64_e32 v[10:11], v[2:3], v[20:21]
	v_fma_f64 v[12:13], -v[0:1], v[20:21], v[12:13]
	global_store_dwordx4 v[26:27], v[10:13], off
	global_load_dwordx4 v[10:13], v[34:35], off
	v_add_u32_e32 v26, v4, v28
	v_ashrrev_i32_e32 v27, 31, v26
	v_add_u32_e32 v4, s4, v26
	v_lshl_add_u64 v[38:39], v[4:5], 4, s[8:9]
	v_add_u32_e32 v4, s5, v26
	s_waitcnt vmcnt(0)
	v_fma_f64 v[10:11], -v[0:1], v[22:23], v[10:11]
	v_fma_f64 v[12:13], -v[2:3], v[22:23], v[12:13]
	v_fmac_f64_e32 v[10:11], v[2:3], v[24:25]
	v_fma_f64 v[12:13], -v[0:1], v[24:25], v[12:13]
	global_store_dwordx4 v[34:35], v[10:13], off
	global_load_dwordx4 v[10:13], v[6:7], off
	v_lshl_add_u64 v[34:35], v[26:27], 4, s[10:11]
	global_load_dwordx4 v[34:37], v[34:35], off
	s_waitcnt vmcnt(1)
	v_fma_f64 v[10:11], -v[0:1], v[30:31], v[10:11]
	v_fma_f64 v[12:13], -v[2:3], v[30:31], v[12:13]
	v_fmac_f64_e32 v[10:11], v[2:3], v[32:33]
	v_fma_f64 v[12:13], -v[0:1], v[32:33], v[12:13]
	global_store_dwordx4 v[6:7], v[10:13], off
	global_load_dwordx4 v[0:3], v[38:39], off
	v_lshl_add_u64 v[6:7], v[4:5], 4, s[8:9]
	v_add_u32_e32 v4, s12, v26
	v_lshl_add_u64 v[10:11], v[4:5], 4, s[8:9]
	v_add_u32_e32 v4, s13, v26
	s_waitcnt vmcnt(0)
	v_fma_f64 v[0:1], -v[34:35], v[14:15], v[0:1]
	v_fma_f64 v[2:3], -v[36:37], v[14:15], v[2:3]
	v_fmac_f64_e32 v[0:1], v[36:37], v[16:17]
	v_fma_f64 v[2:3], -v[34:35], v[16:17], v[2:3]
	global_store_dwordx4 v[38:39], v[0:3], off
	global_load_dwordx4 v[0:3], v[6:7], off
	s_waitcnt vmcnt(0)
	v_fma_f64 v[0:1], -v[34:35], v[18:19], v[0:1]
	v_fma_f64 v[2:3], -v[36:37], v[18:19], v[2:3]
	v_fmac_f64_e32 v[0:1], v[36:37], v[20:21]
	v_fma_f64 v[2:3], -v[34:35], v[20:21], v[2:3]
	global_store_dwordx4 v[6:7], v[0:3], off
	global_load_dwordx4 v[0:3], v[10:11], off
	v_lshl_add_u64 v[6:7], v[4:5], 4, s[8:9]
	s_waitcnt vmcnt(0)
	v_fma_f64 v[0:1], -v[34:35], v[22:23], v[0:1]
	v_fma_f64 v[2:3], -v[36:37], v[22:23], v[2:3]
	v_fmac_f64_e32 v[0:1], v[36:37], v[24:25]
	v_fma_f64 v[2:3], -v[34:35], v[24:25], v[2:3]
	global_store_dwordx4 v[10:11], v[0:3], off
	global_load_dwordx4 v[0:3], v[6:7], off
	s_waitcnt vmcnt(0)
	v_fma_f64 v[0:1], -v[34:35], v[30:31], v[0:1]
	v_fma_f64 v[2:3], -v[36:37], v[30:31], v[2:3]
	v_fmac_f64_e32 v[0:1], v[36:37], v[32:33]
	v_fma_f64 v[2:3], -v[34:35], v[32:33], v[2:3]
	global_store_dwordx4 v[6:7], v[0:3], off
                                        ; implicit-def: $vgpr6
                                        ; implicit-def: $vgpr0_vgpr1
.LBB349_27:                             ;   in Loop: Header=BB349_25 Depth=1
	s_or_saveexec_b64 s[2:3], s[2:3]
	v_mov_b32_e32 v4, s14
	s_xor_b64 exec, exec, s[2:3]
	s_cbranch_execz .LBB349_24
; %bb.28:                               ;   in Loop: Header=BB349_25 Depth=1
	v_add_u32_e32 v7, v64, v8
	v_add_u32_e32 v4, s4, v7
	v_lshl_add_u64 v[18:19], v[4:5], 4, s[8:9]
	v_add_u32_e32 v4, s4, v6
	v_lshl_add_u64 v[20:21], v[4:5], 4, s[8:9]
	global_load_dwordx4 v[10:13], v[18:19], off
	global_load_dwordx4 v[14:17], v[20:21], off
	v_add_u32_e32 v4, s5, v7
	v_lshl_add_u64 v[18:19], v[4:5], 4, s[8:9]
	v_add_u32_e32 v4, s5, v6
	v_lshl_add_u64 v[22:23], v[4:5], 4, s[8:9]
	v_add_u32_e32 v4, s12, v7
	s_waitcnt vmcnt(0)
	v_fma_f64 v[14:15], -v[0:1], v[10:11], v[14:15]
	v_fma_f64 v[10:11], -v[2:3], v[10:11], v[16:17]
	v_fmac_f64_e32 v[14:15], v[2:3], v[12:13]
	v_fma_f64 v[16:17], -v[0:1], v[12:13], v[10:11]
	global_store_dwordx4 v[20:21], v[14:17], off
	global_load_dwordx4 v[10:13], v[18:19], off
	s_nop 0
	global_load_dwordx4 v[14:17], v[22:23], off
	v_lshl_add_u64 v[18:19], v[4:5], 4, s[8:9]
	v_add_u32_e32 v4, s12, v6
	v_lshl_add_u64 v[20:21], v[4:5], 4, s[8:9]
	v_add_u32_e32 v4, s13, v7
	s_waitcnt vmcnt(0)
	v_fma_f64 v[14:15], -v[0:1], v[10:11], v[14:15]
	v_fma_f64 v[10:11], -v[2:3], v[10:11], v[16:17]
	v_fmac_f64_e32 v[14:15], v[2:3], v[12:13]
	v_fma_f64 v[16:17], -v[0:1], v[12:13], v[10:11]
	global_store_dwordx4 v[22:23], v[14:17], off
	global_load_dwordx4 v[10:13], v[18:19], off
	s_nop 0
	global_load_dwordx4 v[14:17], v[20:21], off
	v_lshl_add_u64 v[18:19], v[4:5], 4, s[8:9]
	v_add_u32_e32 v4, s13, v6
	v_lshl_add_u64 v[6:7], v[4:5], 4, s[8:9]
	v_mov_b32_e32 v4, s22
	s_waitcnt vmcnt(0)
	v_fma_f64 v[14:15], -v[0:1], v[10:11], v[14:15]
	v_fma_f64 v[10:11], -v[2:3], v[10:11], v[16:17]
	v_fmac_f64_e32 v[14:15], v[2:3], v[12:13]
	v_fma_f64 v[16:17], -v[0:1], v[12:13], v[10:11]
	global_store_dwordx4 v[20:21], v[14:17], off
	global_load_dwordx4 v[10:13], v[18:19], off
	s_nop 0
	global_load_dwordx4 v[14:17], v[6:7], off
	s_waitcnt vmcnt(0)
	v_fma_f64 v[14:15], -v[0:1], v[10:11], v[14:15]
	v_fma_f64 v[10:11], -v[2:3], v[10:11], v[16:17]
	v_fmac_f64_e32 v[14:15], v[2:3], v[12:13]
	v_fma_f64 v[16:17], -v[0:1], v[12:13], v[10:11]
	global_store_dwordx4 v[6:7], v[14:17], off
	s_branch .LBB349_24
.LBB349_29:
	s_endpgm
	.section	.rodata,"a",@progbits
	.p2align	6, 0x0
	.amdhsa_kernel _ZN9rocsparseL19gtsv_LBM_rhs_kernelILj256ELj256ELj4E21rocsparse_complex_numIdEEEviiiPKT2_S5_S5_PS3_S5_PKi
		.amdhsa_group_segment_fixed_size 0
		.amdhsa_private_segment_fixed_size 0
		.amdhsa_kernarg_size 64
		.amdhsa_user_sgpr_count 2
		.amdhsa_user_sgpr_dispatch_ptr 0
		.amdhsa_user_sgpr_queue_ptr 0
		.amdhsa_user_sgpr_kernarg_segment_ptr 1
		.amdhsa_user_sgpr_dispatch_id 0
		.amdhsa_user_sgpr_kernarg_preload_length 0
		.amdhsa_user_sgpr_kernarg_preload_offset 0
		.amdhsa_user_sgpr_private_segment_size 0
		.amdhsa_uses_dynamic_stack 0
		.amdhsa_enable_private_segment 0
		.amdhsa_system_sgpr_workgroup_id_x 1
		.amdhsa_system_sgpr_workgroup_id_y 1
		.amdhsa_system_sgpr_workgroup_id_z 0
		.amdhsa_system_sgpr_workgroup_info 0
		.amdhsa_system_vgpr_workitem_id 0
		.amdhsa_next_free_vgpr 98
		.amdhsa_next_free_sgpr 32
		.amdhsa_accum_offset 100
		.amdhsa_reserve_vcc 1
		.amdhsa_float_round_mode_32 0
		.amdhsa_float_round_mode_16_64 0
		.amdhsa_float_denorm_mode_32 3
		.amdhsa_float_denorm_mode_16_64 3
		.amdhsa_dx10_clamp 1
		.amdhsa_ieee_mode 1
		.amdhsa_fp16_overflow 0
		.amdhsa_tg_split 0
		.amdhsa_exception_fp_ieee_invalid_op 0
		.amdhsa_exception_fp_denorm_src 0
		.amdhsa_exception_fp_ieee_div_zero 0
		.amdhsa_exception_fp_ieee_overflow 0
		.amdhsa_exception_fp_ieee_underflow 0
		.amdhsa_exception_fp_ieee_inexact 0
		.amdhsa_exception_int_div_zero 0
	.end_amdhsa_kernel
	.section	.text._ZN9rocsparseL19gtsv_LBM_rhs_kernelILj256ELj256ELj4E21rocsparse_complex_numIdEEEviiiPKT2_S5_S5_PS3_S5_PKi,"axG",@progbits,_ZN9rocsparseL19gtsv_LBM_rhs_kernelILj256ELj256ELj4E21rocsparse_complex_numIdEEEviiiPKT2_S5_S5_PS3_S5_PKi,comdat
.Lfunc_end349:
	.size	_ZN9rocsparseL19gtsv_LBM_rhs_kernelILj256ELj256ELj4E21rocsparse_complex_numIdEEEviiiPKT2_S5_S5_PS3_S5_PKi, .Lfunc_end349-_ZN9rocsparseL19gtsv_LBM_rhs_kernelILj256ELj256ELj4E21rocsparse_complex_numIdEEEviiiPKT2_S5_S5_PS3_S5_PKi
                                        ; -- End function
	.set _ZN9rocsparseL19gtsv_LBM_rhs_kernelILj256ELj256ELj4E21rocsparse_complex_numIdEEEviiiPKT2_S5_S5_PS3_S5_PKi.num_vgpr, 98
	.set _ZN9rocsparseL19gtsv_LBM_rhs_kernelILj256ELj256ELj4E21rocsparse_complex_numIdEEEviiiPKT2_S5_S5_PS3_S5_PKi.num_agpr, 0
	.set _ZN9rocsparseL19gtsv_LBM_rhs_kernelILj256ELj256ELj4E21rocsparse_complex_numIdEEEviiiPKT2_S5_S5_PS3_S5_PKi.numbered_sgpr, 32
	.set _ZN9rocsparseL19gtsv_LBM_rhs_kernelILj256ELj256ELj4E21rocsparse_complex_numIdEEEviiiPKT2_S5_S5_PS3_S5_PKi.num_named_barrier, 0
	.set _ZN9rocsparseL19gtsv_LBM_rhs_kernelILj256ELj256ELj4E21rocsparse_complex_numIdEEEviiiPKT2_S5_S5_PS3_S5_PKi.private_seg_size, 0
	.set _ZN9rocsparseL19gtsv_LBM_rhs_kernelILj256ELj256ELj4E21rocsparse_complex_numIdEEEviiiPKT2_S5_S5_PS3_S5_PKi.uses_vcc, 1
	.set _ZN9rocsparseL19gtsv_LBM_rhs_kernelILj256ELj256ELj4E21rocsparse_complex_numIdEEEviiiPKT2_S5_S5_PS3_S5_PKi.uses_flat_scratch, 0
	.set _ZN9rocsparseL19gtsv_LBM_rhs_kernelILj256ELj256ELj4E21rocsparse_complex_numIdEEEviiiPKT2_S5_S5_PS3_S5_PKi.has_dyn_sized_stack, 0
	.set _ZN9rocsparseL19gtsv_LBM_rhs_kernelILj256ELj256ELj4E21rocsparse_complex_numIdEEEviiiPKT2_S5_S5_PS3_S5_PKi.has_recursion, 0
	.set _ZN9rocsparseL19gtsv_LBM_rhs_kernelILj256ELj256ELj4E21rocsparse_complex_numIdEEEviiiPKT2_S5_S5_PS3_S5_PKi.has_indirect_call, 0
	.section	.AMDGPU.csdata,"",@progbits
; Kernel info:
; codeLenInByte = 4176
; TotalNumSgprs: 38
; NumVgprs: 98
; NumAgprs: 0
; TotalNumVgprs: 98
; ScratchSize: 0
; MemoryBound: 1
; FloatMode: 240
; IeeeMode: 1
; LDSByteSize: 0 bytes/workgroup (compile time only)
; SGPRBlocks: 4
; VGPRBlocks: 12
; NumSGPRsForWavesPerEU: 38
; NumVGPRsForWavesPerEU: 98
; AccumOffset: 100
; Occupancy: 4
; WaveLimiterHint : 0
; COMPUTE_PGM_RSRC2:SCRATCH_EN: 0
; COMPUTE_PGM_RSRC2:USER_SGPR: 2
; COMPUTE_PGM_RSRC2:TRAP_HANDLER: 0
; COMPUTE_PGM_RSRC2:TGID_X_EN: 1
; COMPUTE_PGM_RSRC2:TGID_Y_EN: 1
; COMPUTE_PGM_RSRC2:TGID_Z_EN: 0
; COMPUTE_PGM_RSRC2:TIDIG_COMP_CNT: 0
; COMPUTE_PGM_RSRC3_GFX90A:ACCUM_OFFSET: 24
; COMPUTE_PGM_RSRC3_GFX90A:TG_SPLIT: 0
	.section	.text._ZN9rocsparseL19gtsv_LBM_rhs_kernelILj256ELj256ELj2E21rocsparse_complex_numIdEEEviiiPKT2_S5_S5_PS3_S5_PKi,"axG",@progbits,_ZN9rocsparseL19gtsv_LBM_rhs_kernelILj256ELj256ELj2E21rocsparse_complex_numIdEEEviiiPKT2_S5_S5_PS3_S5_PKi,comdat
	.globl	_ZN9rocsparseL19gtsv_LBM_rhs_kernelILj256ELj256ELj2E21rocsparse_complex_numIdEEEviiiPKT2_S5_S5_PS3_S5_PKi ; -- Begin function _ZN9rocsparseL19gtsv_LBM_rhs_kernelILj256ELj256ELj2E21rocsparse_complex_numIdEEEviiiPKT2_S5_S5_PS3_S5_PKi
	.p2align	8
	.type	_ZN9rocsparseL19gtsv_LBM_rhs_kernelILj256ELj256ELj2E21rocsparse_complex_numIdEEEviiiPKT2_S5_S5_PS3_S5_PKi,@function
_ZN9rocsparseL19gtsv_LBM_rhs_kernelILj256ELj256ELj2E21rocsparse_complex_numIdEEEviiiPKT2_S5_S5_PS3_S5_PKi: ; @_ZN9rocsparseL19gtsv_LBM_rhs_kernelILj256ELj256ELj2E21rocsparse_complex_numIdEEEviiiPKT2_S5_S5_PS3_S5_PKi
; %bb.0:
	s_load_dword s23, s[0:1], 0x0
	v_lshl_or_b32 v24, s2, 8, v0
	s_waitcnt lgkmcnt(0)
	s_lshr_b32 s22, s23, 8
	v_cmp_gt_i32_e32 vcc, s22, v24
	s_and_saveexec_b64 s[4:5], vcc
	s_cbranch_execz .LBB350_29
; %bb.1:
	s_load_dwordx4 s[8:11], s[0:1], 0x28
	s_load_dwordx2 s[6:7], s[0:1], 0x38
	s_cmp_lt_i32 s23, 1
	v_add_u32_e32 v58, s22, v24
	s_mul_i32 s24, s3, s23
	s_cbranch_scc1 .LBB350_21
; %bb.2:
	s_load_dwordx4 s[12:15], s[0:1], 0x10
	s_load_dwordx2 s[16:17], s[0:1], 0x20
	v_ashrrev_i32_e32 v25, 31, v24
	s_lshl_b32 s28, s24, 1
	s_mul_i32 s25, s22, 0xff
	s_waitcnt lgkmcnt(0)
	v_lshl_add_u64 v[0:1], v[24:25], 4, s[14:15]
	global_load_dwordx4 v[4:7], v[0:1], off
	s_mul_i32 s26, s22, 0xfe
	s_lshl_b32 s27, s22, 1
	v_add_u32_e32 v59, s22, v58
	s_add_i32 s29, s28, s23
	v_mov_b32_e32 v27, 0
	s_mov_b64 s[18:19], 0
	v_mov_b32_e32 v25, 0
	s_branch .LBB350_5
.LBB350_3:                              ;   in Loop: Header=BB350_5 Depth=1
	s_or_b64 exec, exec, s[4:5]
	v_fmac_f64_e32 v[30:31], v[0:1], v[8:9]
	v_fmac_f64_e32 v[28:29], v[2:3], v[8:9]
	v_mul_f64 v[0:1], v[20:21], -v[28:29]
	v_mul_f64 v[2:3], v[20:21], v[30:31]
	v_fmac_f64_e32 v[0:1], v[30:31], v[10:11]
	v_fmac_f64_e32 v[2:3], v[28:29], v[10:11]
	v_add_f64 v[4:5], v[12:13], -v[0:1]
	v_add_f64 v[6:7], v[14:15], -v[2:3]
	v_mov_b32_e32 v10, s22
.LBB350_4:                              ;   in Loop: Header=BB350_5 Depth=1
	s_or_b64 exec, exec, s[2:3]
	v_add_u32_e32 v25, v10, v25
	v_cmp_le_i32_e32 vcc, s23, v25
	s_or_b64 s[18:19], vcc, s[18:19]
	s_andn2_b64 exec, exec, s[18:19]
	s_cbranch_execz .LBB350_20
.LBB350_5:                              ; =>This Inner Loop Header: Depth=1
	v_add_u32_e32 v32, v25, v24
	v_ashrrev_i32_e32 v33, 31, v32
	v_lshl_add_u64 v[0:1], v[32:33], 4, s[16:17]
	global_load_dwordx4 v[8:11], v[0:1], off
	v_cmp_gt_u32_e64 s[0:1], s25, v25
	v_mov_b64_e32 v[12:13], 0
	v_mov_b64_e32 v[0:1], 0
	;; [unrolled: 1-line block ×3, first 2 shown]
	s_and_saveexec_b64 s[2:3], s[0:1]
	s_cbranch_execz .LBB350_7
; %bb.6:                                ;   in Loop: Header=BB350_5 Depth=1
	v_add_u32_e32 v0, v58, v25
	v_ashrrev_i32_e32 v1, 31, v0
	v_lshl_add_u64 v[0:1], v[0:1], 4, s[12:13]
	global_load_dwordx4 v[0:3], v[0:1], off
.LBB350_7:                              ;   in Loop: Header=BB350_5 Depth=1
	s_or_b64 exec, exec, s[2:3]
	v_mov_b64_e32 v[14:15], 0
	s_and_saveexec_b64 s[2:3], s[0:1]
	s_cbranch_execz .LBB350_9
; %bb.8:                                ;   in Loop: Header=BB350_5 Depth=1
	v_add_u32_e32 v12, v58, v25
	v_ashrrev_i32_e32 v13, 31, v12
	v_lshl_add_u64 v[12:13], v[12:13], 4, s[14:15]
	global_load_dwordx4 v[12:15], v[12:13], off
.LBB350_9:                              ;   in Loop: Header=BB350_5 Depth=1
	s_or_b64 exec, exec, s[2:3]
	v_mov_b64_e32 v[20:21], 0
	v_mov_b64_e32 v[16:17], 0
	v_mov_b64_e32 v[18:19], 0
	s_and_saveexec_b64 s[2:3], s[0:1]
	s_cbranch_execz .LBB350_11
; %bb.10:                               ;   in Loop: Header=BB350_5 Depth=1
	v_add_u32_e32 v16, v58, v25
	v_ashrrev_i32_e32 v17, 31, v16
	v_lshl_add_u64 v[16:17], v[16:17], 4, s[16:17]
	global_load_dwordx4 v[16:19], v[16:17], off
.LBB350_11:                             ;   in Loop: Header=BB350_5 Depth=1
	s_or_b64 exec, exec, s[2:3]
	v_cmp_gt_u32_e64 s[2:3], s26, v25
	v_mov_b64_e32 v[22:23], 0
	s_and_saveexec_b64 s[4:5], s[2:3]
	s_cbranch_execz .LBB350_13
; %bb.12:                               ;   in Loop: Header=BB350_5 Depth=1
	v_add_u32_e32 v20, v59, v25
	v_ashrrev_i32_e32 v21, 31, v20
	v_lshl_add_u64 v[20:21], v[20:21], 4, s[12:13]
	global_load_dwordx4 v[20:23], v[20:21], off
.LBB350_13:                             ;   in Loop: Header=BB350_5 Depth=1
	s_or_b64 exec, exec, s[4:5]
	v_lshl_add_u64 v[28:29], v[32:33], 2, s[6:7]
	global_load_dword v33, v[28:29], off
	v_cmp_ne_u32_e32 vcc, s25, v25
	s_waitcnt vmcnt(1)
	v_mul_f64 v[30:31], v[10:11], -v[2:3]
	v_mul_f64 v[28:29], v[10:11], v[0:1]
	v_add_u32_e32 v26, s28, v32
	v_add_u32_e32 v32, s29, v32
	s_waitcnt vmcnt(0)
	v_cmp_ne_u32_e64 s[4:5], 1, v33
	s_and_b64 s[4:5], vcc, s[4:5]
	s_and_saveexec_b64 s[20:21], s[4:5]
	s_xor_b64 s[4:5], exec, s[20:21]
	s_cbranch_execz .LBB350_17
; %bb.14:                               ;   in Loop: Header=BB350_5 Depth=1
	v_mov_b32_e32 v33, v27
	v_lshl_add_u64 v[38:39], v[26:27], 4, s[8:9]
	v_lshl_add_u64 v[34:35], v[32:33], 4, s[8:9]
	v_add_u32_e32 v32, v58, v25
	global_load_dwordx4 v[42:45], v[38:39], off
	v_add_u32_e32 v26, s28, v32
	global_load_dwordx4 v[52:55], v[34:35], off
	v_lshl_add_u64 v[36:37], v[26:27], 4, s[8:9]
	global_load_dwordx4 v[60:63], v[36:37], off
	v_add_u32_e32 v26, s29, v32
	v_lshl_add_u64 v[32:33], v[26:27], 4, s[8:9]
	global_load_dwordx4 v[64:67], v[32:33], off
	v_mul_f64 v[46:47], v[4:5], v[14:15]
	v_mul_f64 v[40:41], v[14:15], -v[6:7]
	v_fmac_f64_e32 v[28:29], v[2:3], v[8:9]
	v_fmac_f64_e32 v[46:47], v[6:7], v[12:13]
	;; [unrolled: 1-line block ×4, first 2 shown]
	v_add_f64 v[28:29], v[46:47], -v[28:29]
	v_add_f64 v[30:31], v[40:41], -v[30:31]
	v_mul_f64 v[40:41], v[28:29], v[28:29]
	v_fmac_f64_e32 v[40:41], v[30:31], v[30:31]
	v_div_scale_f64 v[48:49], s[20:21], v[40:41], v[40:41], 1.0
	v_rcp_f64_e32 v[50:51], v[48:49]
	v_fma_f64 v[46:47], 0, v[28:29], v[30:31]
	v_fma_f64 v[30:31], v[30:31], 0, -v[28:29]
	v_div_scale_f64 v[28:29], vcc, 1.0, v[40:41], 1.0
	v_fma_f64 v[68:69], -v[48:49], v[50:51], 1.0
	v_fmac_f64_e32 v[50:51], v[50:51], v[68:69]
	v_fma_f64 v[68:69], -v[48:49], v[50:51], 1.0
	v_fmac_f64_e32 v[50:51], v[50:51], v[68:69]
	v_mul_f64 v[68:69], v[28:29], v[50:51]
	v_fma_f64 v[28:29], -v[48:49], v[68:69], v[28:29]
	v_div_fmas_f64 v[28:29], v[28:29], v[50:51], v[68:69]
	v_div_fixup_f64 v[40:41], v[28:29], v[40:41], 1.0
	v_mul_f64 v[30:31], v[30:31], v[40:41]
	v_mul_f64 v[28:29], v[46:47], v[40:41]
	v_mov_b64_e32 v[56:57], 0
	s_waitcnt vmcnt(3)
	v_mul_f64 v[40:41], v[30:31], -v[44:45]
	v_mul_f64 v[48:49], v[30:31], v[42:43]
	v_fmac_f64_e32 v[40:41], v[42:43], v[28:29]
	s_waitcnt vmcnt(2)
	v_mul_f64 v[42:43], v[30:31], -v[54:55]
	v_mul_f64 v[50:51], v[30:31], v[52:53]
	v_fmac_f64_e32 v[48:49], v[44:45], v[28:29]
	v_fmac_f64_e32 v[42:43], v[52:53], v[28:29]
	;; [unrolled: 1-line block ×3, first 2 shown]
	s_waitcnt vmcnt(1)
	v_mul_f64 v[44:45], v[30:31], -v[62:63]
	v_mul_f64 v[52:53], v[30:31], v[60:61]
	v_mul_f64 v[68:69], v[48:49], -v[14:15]
	v_fmac_f64_e32 v[44:45], v[60:61], v[28:29]
	v_fmac_f64_e32 v[52:53], v[62:63], v[28:29]
	v_mul_f64 v[60:61], v[50:51], -v[14:15]
	v_mul_f64 v[70:71], v[12:13], v[48:49]
	s_waitcnt vmcnt(0)
	v_mul_f64 v[54:55], v[30:31], v[64:65]
	v_fmac_f64_e32 v[68:69], v[12:13], v[40:41]
	v_mul_f64 v[62:63], v[12:13], v[50:51]
	v_fmac_f64_e32 v[60:61], v[12:13], v[42:43]
	v_mul_f64 v[12:13], v[52:53], -v[10:11]
	v_mul_f64 v[46:47], v[30:31], -v[66:67]
	v_fmac_f64_e32 v[70:71], v[14:15], v[40:41]
	v_fmac_f64_e32 v[54:55], v[66:67], v[28:29]
	;; [unrolled: 1-line block ×3, first 2 shown]
	v_mul_f64 v[14:15], v[8:9], v[52:53]
	v_fmac_f64_e32 v[12:13], v[8:9], v[44:45]
	v_mul_f64 v[72:73], v[2:3], v[48:49]
	v_mul_f64 v[74:75], v[48:49], -v[0:1]
	v_fmac_f64_e32 v[46:47], v[64:65], v[28:29]
	v_mul_f64 v[64:65], v[52:53], -v[6:7]
	v_mul_f64 v[66:67], v[4:5], v[52:53]
	v_fmac_f64_e32 v[14:15], v[10:11], v[44:45]
	v_mul_f64 v[76:77], v[54:55], -v[10:11]
	v_add_f64 v[12:13], v[68:69], -v[12:13]
	v_mul_f64 v[68:69], v[8:9], v[54:55]
	v_fma_f64 v[72:73], -v[0:1], v[40:41], v[72:73]
	v_fma_f64 v[74:75], -v[2:3], v[40:41], v[74:75]
	v_add_f64 v[14:15], v[70:71], -v[14:15]
	v_fmac_f64_e32 v[64:65], v[4:5], v[44:45]
	v_fmac_f64_e32 v[66:67], v[6:7], v[44:45]
	;; [unrolled: 1-line block ×4, first 2 shown]
	v_add_f64 v[8:9], v[72:73], v[64:65]
	v_add_f64 v[10:11], v[74:75], v[66:67]
	global_store_dwordx4 v[38:39], v[12:15], off
	s_nop 1
	v_add_f64 v[12:13], v[60:61], -v[76:77]
	v_add_f64 v[14:15], v[62:63], -v[68:69]
	global_store_dwordx4 v[34:35], v[12:15], off
	global_store_dwordx4 v[36:37], v[8:11], off
	s_nop 0
	v_mul_f64 v[12:13], v[54:55], -v[6:7]
	v_mul_f64 v[8:9], v[2:3], v[50:51]
	v_mul_f64 v[10:11], v[50:51], -v[0:1]
	v_mul_f64 v[14:15], v[4:5], v[54:55]
	v_fma_f64 v[8:9], -v[0:1], v[42:43], v[8:9]
	v_fma_f64 v[10:11], -v[2:3], v[42:43], v[10:11]
	v_fmac_f64_e32 v[12:13], v[4:5], v[46:47]
	v_fmac_f64_e32 v[14:15], v[6:7], v[46:47]
	v_add_f64 v[8:9], v[8:9], v[12:13]
	v_add_f64 v[10:11], v[10:11], v[14:15]
	global_store_dwordx4 v[32:33], v[8:11], off
	s_nop 1
	v_mov_b64_e32 v[8:9], 0
	s_and_saveexec_b64 s[20:21], s[2:3]
	s_cbranch_execz .LBB350_16
; %bb.15:                               ;   in Loop: Header=BB350_5 Depth=1
	v_add_u32_e32 v12, v59, v25
	v_add_u32_e32 v26, s28, v12
	v_lshl_add_u64 v[36:37], v[26:27], 4, s[8:9]
	v_add_u32_e32 v26, s29, v12
	v_ashrrev_i32_e32 v13, 31, v12
	global_load_dwordx4 v[8:11], v[36:37], off
	v_lshl_add_u64 v[12:13], v[12:13], 4, s[14:15]
	v_lshl_add_u64 v[38:39], v[26:27], 4, s[8:9]
	global_load_dwordx4 v[12:15], v[12:13], off
	v_mul_f64 v[56:57], v[2:3], v[22:23]
	global_load_dwordx4 v[32:35], v[38:39], off
	v_mul_f64 v[60:61], v[22:23], -v[0:1]
	v_mul_f64 v[62:63], v[22:23], -v[6:7]
	v_mul_f64 v[64:65], v[4:5], v[22:23]
	v_mul_f64 v[66:67], v[6:7], -v[22:23]
	v_mul_f64 v[68:69], v[6:7], v[20:21]
	v_fma_f64 v[0:1], -v[0:1], v[20:21], v[56:57]
	v_fma_f64 v[2:3], -v[2:3], v[20:21], v[60:61]
	v_fmac_f64_e32 v[62:63], v[4:5], v[20:21]
	v_fmac_f64_e32 v[64:65], v[6:7], v[20:21]
	;; [unrolled: 1-line block ×4, first 2 shown]
	v_mul_f64 v[4:5], v[2:3], v[48:49]
	v_mul_f64 v[6:7], v[48:49], -v[0:1]
	v_mul_f64 v[20:21], v[52:53], -v[64:65]
	v_mul_f64 v[22:23], v[62:63], v[52:53]
	v_mul_f64 v[56:57], v[18:19], -v[68:69]
	v_mul_f64 v[18:19], v[18:19], v[66:67]
	v_mul_f64 v[48:49], v[2:3], v[50:51]
	v_mul_f64 v[50:51], v[50:51], -v[0:1]
	v_mul_f64 v[52:53], v[54:55], -v[64:65]
	v_mul_f64 v[54:55], v[62:63], v[54:55]
	v_fma_f64 v[4:5], -v[0:1], v[40:41], v[4:5]
	v_fma_f64 v[6:7], -v[2:3], v[40:41], v[6:7]
	v_fmac_f64_e32 v[20:21], v[62:63], v[44:45]
	v_fmac_f64_e32 v[22:23], v[64:65], v[44:45]
	;; [unrolled: 1-line block ×4, first 2 shown]
	v_fma_f64 v[0:1], -v[0:1], v[42:43], v[48:49]
	v_fma_f64 v[2:3], -v[2:3], v[42:43], v[50:51]
	v_fmac_f64_e32 v[52:53], v[62:63], v[46:47]
	v_fmac_f64_e32 v[54:55], v[64:65], v[46:47]
	v_add_f64 v[4:5], v[4:5], -v[20:21]
	v_add_f64 v[6:7], v[6:7], -v[22:23]
	v_mul_f64 v[22:23], v[30:31], -v[18:19]
	v_mul_f64 v[30:31], v[30:31], v[56:57]
	v_add_f64 v[16:17], v[0:1], -v[52:53]
	v_add_f64 v[20:21], v[2:3], -v[54:55]
	v_fmac_f64_e32 v[22:23], v[56:57], v[28:29]
	v_fmac_f64_e32 v[30:31], v[18:19], v[28:29]
	s_waitcnt vmcnt(2)
	v_add_f64 v[0:1], v[4:5], v[8:9]
	v_add_f64 v[2:3], v[6:7], v[10:11]
	global_store_dwordx4 v[36:37], v[0:3], off
	s_waitcnt vmcnt(2)
	v_add_f64 v[8:9], v[12:13], -v[22:23]
	v_add_f64 v[56:57], v[14:15], -v[30:31]
	s_waitcnt vmcnt(1)
	v_add_f64 v[0:1], v[16:17], v[32:33]
	v_add_f64 v[2:3], v[20:21], v[34:35]
	global_store_dwordx4 v[38:39], v[0:3], off
.LBB350_16:                             ;   in Loop: Header=BB350_5 Depth=1
	s_or_b64 exec, exec, s[20:21]
	v_mov_b64_e32 v[6:7], v[56:57]
	v_mov_b64_e32 v[4:5], v[8:9]
                                        ; implicit-def: $vgpr0_vgpr1
                                        ; implicit-def: $vgpr12_vgpr13
                                        ; implicit-def: $vgpr8_vgpr9
                                        ; implicit-def: $vgpr30_vgpr31
                                        ; implicit-def: $vgpr28_vgpr29
                                        ; implicit-def: $vgpr32
.LBB350_17:                             ;   in Loop: Header=BB350_5 Depth=1
	s_or_saveexec_b64 s[2:3], s[4:5]
	v_mov_b32_e32 v10, s27
	s_xor_b64 exec, exec, s[2:3]
	s_cbranch_execz .LBB350_4
; %bb.18:                               ;   in Loop: Header=BB350_5 Depth=1
	v_mov_b32_e32 v33, v27
	v_lshl_add_u64 v[22:23], v[26:27], 4, s[8:9]
	v_lshl_add_u64 v[32:33], v[32:33], 4, s[8:9]
	global_load_dwordx4 v[34:37], v[22:23], off
	global_load_dwordx4 v[38:41], v[32:33], off
	v_mul_f64 v[10:11], v[6:7], v[6:7]
	v_fmac_f64_e32 v[10:11], v[4:5], v[4:5]
	v_div_scale_f64 v[18:19], s[4:5], v[10:11], v[10:11], 1.0
	v_rcp_f64_e32 v[20:21], v[18:19]
	v_fma_f64 v[16:17], 0, v[6:7], v[4:5]
	v_fma_f64 v[4:5], v[4:5], 0, -v[6:7]
	v_div_scale_f64 v[6:7], vcc, 1.0, v[10:11], 1.0
	v_fma_f64 v[42:43], -v[18:19], v[20:21], 1.0
	v_fmac_f64_e32 v[20:21], v[20:21], v[42:43]
	v_fma_f64 v[42:43], -v[18:19], v[20:21], 1.0
	v_fmac_f64_e32 v[20:21], v[20:21], v[42:43]
	v_mul_f64 v[42:43], v[6:7], v[20:21]
	v_fma_f64 v[6:7], -v[18:19], v[42:43], v[6:7]
	v_div_fmas_f64 v[6:7], v[6:7], v[20:21], v[42:43]
	v_div_fixup_f64 v[6:7], v[6:7], v[10:11], 1.0
	v_mul_f64 v[20:21], v[4:5], v[6:7]
	v_mul_f64 v[10:11], v[16:17], v[6:7]
	s_waitcnt vmcnt(1)
	v_mul_f64 v[16:17], v[20:21], -v[36:37]
	v_mul_f64 v[18:19], v[20:21], v[34:35]
	s_waitcnt vmcnt(0)
	v_mul_f64 v[4:5], v[20:21], -v[40:41]
	v_mul_f64 v[6:7], v[20:21], v[38:39]
	v_fmac_f64_e32 v[16:17], v[34:35], v[10:11]
	v_fmac_f64_e32 v[18:19], v[36:37], v[10:11]
	v_fmac_f64_e32 v[4:5], v[38:39], v[10:11]
	v_fmac_f64_e32 v[6:7], v[40:41], v[10:11]
	global_store_dwordx4 v[22:23], v[16:19], off
	global_store_dwordx4 v[32:33], v[4:7], off
	s_and_saveexec_b64 s[4:5], s[0:1]
	s_cbranch_execz .LBB350_3
; %bb.19:                               ;   in Loop: Header=BB350_5 Depth=1
	v_add_u32_e32 v36, v58, v25
	v_add_u32_e32 v26, s28, v36
	v_lshl_add_u64 v[22:23], v[26:27], 4, s[8:9]
	v_add_u32_e32 v26, s29, v36
	global_load_dwordx4 v[32:35], v[22:23], off
	v_lshl_add_u64 v[40:41], v[26:27], 4, s[8:9]
	global_load_dwordx4 v[36:39], v[40:41], off
	s_waitcnt vmcnt(1)
	v_fma_f64 v[32:33], -v[0:1], v[16:17], v[32:33]
	v_fma_f64 v[16:17], -v[2:3], v[16:17], v[34:35]
	;; [unrolled: 1-line block ×3, first 2 shown]
	s_waitcnt vmcnt(0)
	v_fma_f64 v[16:17], -v[0:1], v[4:5], v[36:37]
	v_fma_f64 v[4:5], -v[2:3], v[4:5], v[38:39]
	v_fmac_f64_e32 v[32:33], v[2:3], v[18:19]
	v_fmac_f64_e32 v[16:17], v[2:3], v[6:7]
	v_fma_f64 v[18:19], -v[0:1], v[6:7], v[4:5]
	global_store_dwordx4 v[22:23], v[32:35], off
	global_store_dwordx4 v[40:41], v[16:19], off
	s_branch .LBB350_3
.LBB350_20:
	s_or_b64 exec, exec, s[18:19]
	s_branch .LBB350_22
.LBB350_21:
	v_mov_b32_e32 v25, 0
.LBB350_22:
	v_subrev_u32_e32 v2, s22, v25
	v_add_u32_e32 v0, v2, v24
	v_ashrrev_i32_e32 v1, 31, v0
	s_waitcnt lgkmcnt(0)
	v_lshl_add_u64 v[0:1], v[0:1], 2, s[6:7]
	buffer_wbl2 sc1
	s_waitcnt vmcnt(0)
	buffer_inv sc1
	global_load_dword v0, v[0:1], off
	s_waitcnt vmcnt(0)
	v_mul_lo_u32 v0, v0, s22
	v_sub_u32_e32 v8, v2, v0
	v_cmp_lt_i32_e32 vcc, -1, v8
	s_and_b64 exec, exec, vcc
	s_cbranch_execz .LBB350_29
; %bb.23:
	s_lshl_b32 s4, s24, 1
	s_add_i32 s5, s4, s23
	s_lshl_b32 s12, s22, 1
	s_mov_b64 s[0:1], 0
	v_mov_b32_e32 v5, 0
	s_branch .LBB350_25
.LBB350_24:                             ;   in Loop: Header=BB350_25 Depth=1
	s_or_b64 exec, exec, s[2:3]
	v_sub_u32_e32 v8, v8, v4
	v_cmp_gt_i32_e32 vcc, 0, v8
	s_or_b64 s[0:1], vcc, s[0:1]
	s_andn2_b64 exec, exec, s[0:1]
	s_cbranch_execz .LBB350_29
.LBB350_25:                             ; =>This Inner Loop Header: Depth=1
	v_add_u32_e32 v6, v8, v24
	v_ashrrev_i32_e32 v7, 31, v6
	s_waitcnt vmcnt(0)
	v_lshl_add_u64 v[0:1], v[6:7], 2, s[6:7]
	global_load_dword v4, v[0:1], off
	v_lshl_add_u64 v[0:1], v[6:7], 4, s[10:11]
	global_load_dwordx4 v[0:3], v[0:1], off
	s_waitcnt vmcnt(1)
	v_cmp_ne_u32_e32 vcc, 1, v4
	s_and_saveexec_b64 s[2:3], vcc
	s_xor_b64 s[2:3], exec, s[2:3]
	s_cbranch_execz .LBB350_27
; %bb.26:                               ;   in Loop: Header=BB350_25 Depth=1
	v_add_u32_e32 v7, v58, v8
	v_add_u32_e32 v4, s4, v7
	v_lshl_add_u64 v[22:23], v[4:5], 4, s[8:9]
	v_add_u32_e32 v4, s5, v7
	v_lshl_add_u64 v[26:27], v[4:5], 4, s[8:9]
	;; [unrolled: 2-line block ×3, first 2 shown]
	global_load_dwordx4 v[10:13], v[28:29], off
	global_load_dwordx4 v[14:17], v[22:23], off
	;; [unrolled: 1-line block ×3, first 2 shown]
	v_add_u32_e32 v4, s5, v6
	v_lshl_add_u64 v[6:7], v[4:5], 4, s[8:9]
	v_subrev_u32_e32 v4, s22, v8
	v_add_u32_e32 v22, v4, v24
	v_ashrrev_i32_e32 v23, 31, v22
	v_add_u32_e32 v4, s4, v22
	v_lshl_add_u64 v[26:27], v[22:23], 4, s[10:11]
	v_lshl_add_u64 v[30:31], v[4:5], 4, s[8:9]
	v_add_u32_e32 v4, s5, v22
	s_waitcnt vmcnt(1)
	v_fma_f64 v[10:11], -v[0:1], v[14:15], v[10:11]
	v_fma_f64 v[12:13], -v[2:3], v[14:15], v[12:13]
	v_fmac_f64_e32 v[10:11], v[2:3], v[16:17]
	v_fma_f64 v[12:13], -v[0:1], v[16:17], v[12:13]
	global_store_dwordx4 v[28:29], v[10:13], off
	global_load_dwordx4 v[10:13], v[6:7], off
	s_nop 0
	global_load_dwordx4 v[26:29], v[26:27], off
	s_waitcnt vmcnt(1)
	v_fma_f64 v[10:11], -v[0:1], v[18:19], v[10:11]
	v_fma_f64 v[12:13], -v[2:3], v[18:19], v[12:13]
	v_fmac_f64_e32 v[10:11], v[2:3], v[20:21]
	v_fma_f64 v[12:13], -v[0:1], v[20:21], v[12:13]
	global_store_dwordx4 v[6:7], v[10:13], off
	global_load_dwordx4 v[0:3], v[30:31], off
	v_lshl_add_u64 v[6:7], v[4:5], 4, s[8:9]
	s_waitcnt vmcnt(0)
	v_fma_f64 v[0:1], -v[26:27], v[14:15], v[0:1]
	v_fma_f64 v[2:3], -v[28:29], v[14:15], v[2:3]
	v_fmac_f64_e32 v[0:1], v[28:29], v[16:17]
	v_fma_f64 v[2:3], -v[26:27], v[16:17], v[2:3]
	global_store_dwordx4 v[30:31], v[0:3], off
	global_load_dwordx4 v[0:3], v[6:7], off
	s_waitcnt vmcnt(0)
	v_fma_f64 v[0:1], -v[26:27], v[18:19], v[0:1]
	v_fma_f64 v[2:3], -v[28:29], v[18:19], v[2:3]
	v_fmac_f64_e32 v[0:1], v[28:29], v[20:21]
	v_fma_f64 v[2:3], -v[26:27], v[20:21], v[2:3]
	global_store_dwordx4 v[6:7], v[0:3], off
                                        ; implicit-def: $vgpr6
                                        ; implicit-def: $vgpr0_vgpr1
.LBB350_27:                             ;   in Loop: Header=BB350_25 Depth=1
	s_or_saveexec_b64 s[2:3], s[2:3]
	v_mov_b32_e32 v4, s12
	s_xor_b64 exec, exec, s[2:3]
	s_cbranch_execz .LBB350_24
; %bb.28:                               ;   in Loop: Header=BB350_25 Depth=1
	v_add_u32_e32 v7, v58, v8
	v_add_u32_e32 v4, s4, v7
	v_lshl_add_u64 v[18:19], v[4:5], 4, s[8:9]
	v_add_u32_e32 v4, s4, v6
	v_lshl_add_u64 v[20:21], v[4:5], 4, s[8:9]
	global_load_dwordx4 v[10:13], v[18:19], off
	global_load_dwordx4 v[14:17], v[20:21], off
	v_add_u32_e32 v4, s5, v7
	v_lshl_add_u64 v[18:19], v[4:5], 4, s[8:9]
	v_add_u32_e32 v4, s5, v6
	v_lshl_add_u64 v[6:7], v[4:5], 4, s[8:9]
	v_mov_b32_e32 v4, s22
	s_waitcnt vmcnt(0)
	v_fma_f64 v[14:15], -v[0:1], v[10:11], v[14:15]
	v_fma_f64 v[10:11], -v[2:3], v[10:11], v[16:17]
	v_fmac_f64_e32 v[14:15], v[2:3], v[12:13]
	v_fma_f64 v[16:17], -v[0:1], v[12:13], v[10:11]
	global_store_dwordx4 v[20:21], v[14:17], off
	global_load_dwordx4 v[10:13], v[18:19], off
	s_nop 0
	global_load_dwordx4 v[14:17], v[6:7], off
	s_waitcnt vmcnt(0)
	v_fma_f64 v[14:15], -v[0:1], v[10:11], v[14:15]
	v_fma_f64 v[10:11], -v[2:3], v[10:11], v[16:17]
	v_fmac_f64_e32 v[14:15], v[2:3], v[12:13]
	v_fma_f64 v[16:17], -v[0:1], v[12:13], v[10:11]
	global_store_dwordx4 v[6:7], v[14:17], off
	s_branch .LBB350_24
.LBB350_29:
	s_endpgm
	.section	.rodata,"a",@progbits
	.p2align	6, 0x0
	.amdhsa_kernel _ZN9rocsparseL19gtsv_LBM_rhs_kernelILj256ELj256ELj2E21rocsparse_complex_numIdEEEviiiPKT2_S5_S5_PS3_S5_PKi
		.amdhsa_group_segment_fixed_size 0
		.amdhsa_private_segment_fixed_size 0
		.amdhsa_kernarg_size 64
		.amdhsa_user_sgpr_count 2
		.amdhsa_user_sgpr_dispatch_ptr 0
		.amdhsa_user_sgpr_queue_ptr 0
		.amdhsa_user_sgpr_kernarg_segment_ptr 1
		.amdhsa_user_sgpr_dispatch_id 0
		.amdhsa_user_sgpr_kernarg_preload_length 0
		.amdhsa_user_sgpr_kernarg_preload_offset 0
		.amdhsa_user_sgpr_private_segment_size 0
		.amdhsa_uses_dynamic_stack 0
		.amdhsa_enable_private_segment 0
		.amdhsa_system_sgpr_workgroup_id_x 1
		.amdhsa_system_sgpr_workgroup_id_y 1
		.amdhsa_system_sgpr_workgroup_id_z 0
		.amdhsa_system_sgpr_workgroup_info 0
		.amdhsa_system_vgpr_workitem_id 0
		.amdhsa_next_free_vgpr 78
		.amdhsa_next_free_sgpr 30
		.amdhsa_accum_offset 80
		.amdhsa_reserve_vcc 1
		.amdhsa_float_round_mode_32 0
		.amdhsa_float_round_mode_16_64 0
		.amdhsa_float_denorm_mode_32 3
		.amdhsa_float_denorm_mode_16_64 3
		.amdhsa_dx10_clamp 1
		.amdhsa_ieee_mode 1
		.amdhsa_fp16_overflow 0
		.amdhsa_tg_split 0
		.amdhsa_exception_fp_ieee_invalid_op 0
		.amdhsa_exception_fp_denorm_src 0
		.amdhsa_exception_fp_ieee_div_zero 0
		.amdhsa_exception_fp_ieee_overflow 0
		.amdhsa_exception_fp_ieee_underflow 0
		.amdhsa_exception_fp_ieee_inexact 0
		.amdhsa_exception_int_div_zero 0
	.end_amdhsa_kernel
	.section	.text._ZN9rocsparseL19gtsv_LBM_rhs_kernelILj256ELj256ELj2E21rocsparse_complex_numIdEEEviiiPKT2_S5_S5_PS3_S5_PKi,"axG",@progbits,_ZN9rocsparseL19gtsv_LBM_rhs_kernelILj256ELj256ELj2E21rocsparse_complex_numIdEEEviiiPKT2_S5_S5_PS3_S5_PKi,comdat
.Lfunc_end350:
	.size	_ZN9rocsparseL19gtsv_LBM_rhs_kernelILj256ELj256ELj2E21rocsparse_complex_numIdEEEviiiPKT2_S5_S5_PS3_S5_PKi, .Lfunc_end350-_ZN9rocsparseL19gtsv_LBM_rhs_kernelILj256ELj256ELj2E21rocsparse_complex_numIdEEEviiiPKT2_S5_S5_PS3_S5_PKi
                                        ; -- End function
	.set _ZN9rocsparseL19gtsv_LBM_rhs_kernelILj256ELj256ELj2E21rocsparse_complex_numIdEEEviiiPKT2_S5_S5_PS3_S5_PKi.num_vgpr, 78
	.set _ZN9rocsparseL19gtsv_LBM_rhs_kernelILj256ELj256ELj2E21rocsparse_complex_numIdEEEviiiPKT2_S5_S5_PS3_S5_PKi.num_agpr, 0
	.set _ZN9rocsparseL19gtsv_LBM_rhs_kernelILj256ELj256ELj2E21rocsparse_complex_numIdEEEviiiPKT2_S5_S5_PS3_S5_PKi.numbered_sgpr, 30
	.set _ZN9rocsparseL19gtsv_LBM_rhs_kernelILj256ELj256ELj2E21rocsparse_complex_numIdEEEviiiPKT2_S5_S5_PS3_S5_PKi.num_named_barrier, 0
	.set _ZN9rocsparseL19gtsv_LBM_rhs_kernelILj256ELj256ELj2E21rocsparse_complex_numIdEEEviiiPKT2_S5_S5_PS3_S5_PKi.private_seg_size, 0
	.set _ZN9rocsparseL19gtsv_LBM_rhs_kernelILj256ELj256ELj2E21rocsparse_complex_numIdEEEviiiPKT2_S5_S5_PS3_S5_PKi.uses_vcc, 1
	.set _ZN9rocsparseL19gtsv_LBM_rhs_kernelILj256ELj256ELj2E21rocsparse_complex_numIdEEEviiiPKT2_S5_S5_PS3_S5_PKi.uses_flat_scratch, 0
	.set _ZN9rocsparseL19gtsv_LBM_rhs_kernelILj256ELj256ELj2E21rocsparse_complex_numIdEEEviiiPKT2_S5_S5_PS3_S5_PKi.has_dyn_sized_stack, 0
	.set _ZN9rocsparseL19gtsv_LBM_rhs_kernelILj256ELj256ELj2E21rocsparse_complex_numIdEEEviiiPKT2_S5_S5_PS3_S5_PKi.has_recursion, 0
	.set _ZN9rocsparseL19gtsv_LBM_rhs_kernelILj256ELj256ELj2E21rocsparse_complex_numIdEEEviiiPKT2_S5_S5_PS3_S5_PKi.has_indirect_call, 0
	.section	.AMDGPU.csdata,"",@progbits
; Kernel info:
; codeLenInByte = 2740
; TotalNumSgprs: 36
; NumVgprs: 78
; NumAgprs: 0
; TotalNumVgprs: 78
; ScratchSize: 0
; MemoryBound: 1
; FloatMode: 240
; IeeeMode: 1
; LDSByteSize: 0 bytes/workgroup (compile time only)
; SGPRBlocks: 4
; VGPRBlocks: 9
; NumSGPRsForWavesPerEU: 36
; NumVGPRsForWavesPerEU: 78
; AccumOffset: 80
; Occupancy: 6
; WaveLimiterHint : 0
; COMPUTE_PGM_RSRC2:SCRATCH_EN: 0
; COMPUTE_PGM_RSRC2:USER_SGPR: 2
; COMPUTE_PGM_RSRC2:TRAP_HANDLER: 0
; COMPUTE_PGM_RSRC2:TGID_X_EN: 1
; COMPUTE_PGM_RSRC2:TGID_Y_EN: 1
; COMPUTE_PGM_RSRC2:TGID_Z_EN: 0
; COMPUTE_PGM_RSRC2:TIDIG_COMP_CNT: 0
; COMPUTE_PGM_RSRC3_GFX90A:ACCUM_OFFSET: 19
; COMPUTE_PGM_RSRC3_GFX90A:TG_SPLIT: 0
	.section	.text._ZN9rocsparseL19gtsv_LBM_rhs_kernelILj256ELj256ELj1E21rocsparse_complex_numIdEEEviiiPKT2_S5_S5_PS3_S5_PKi,"axG",@progbits,_ZN9rocsparseL19gtsv_LBM_rhs_kernelILj256ELj256ELj1E21rocsparse_complex_numIdEEEviiiPKT2_S5_S5_PS3_S5_PKi,comdat
	.globl	_ZN9rocsparseL19gtsv_LBM_rhs_kernelILj256ELj256ELj1E21rocsparse_complex_numIdEEEviiiPKT2_S5_S5_PS3_S5_PKi ; -- Begin function _ZN9rocsparseL19gtsv_LBM_rhs_kernelILj256ELj256ELj1E21rocsparse_complex_numIdEEEviiiPKT2_S5_S5_PS3_S5_PKi
	.p2align	8
	.type	_ZN9rocsparseL19gtsv_LBM_rhs_kernelILj256ELj256ELj1E21rocsparse_complex_numIdEEEviiiPKT2_S5_S5_PS3_S5_PKi,@function
_ZN9rocsparseL19gtsv_LBM_rhs_kernelILj256ELj256ELj1E21rocsparse_complex_numIdEEEviiiPKT2_S5_S5_PS3_S5_PKi: ; @_ZN9rocsparseL19gtsv_LBM_rhs_kernelILj256ELj256ELj1E21rocsparse_complex_numIdEEEviiiPKT2_S5_S5_PS3_S5_PKi
; %bb.0:
	s_load_dword s24, s[0:1], 0x0
	v_lshl_or_b32 v24, s2, 8, v0
	s_waitcnt lgkmcnt(0)
	s_lshr_b32 s22, s24, 8
	v_cmp_gt_i32_e32 vcc, s22, v24
	s_and_saveexec_b64 s[4:5], vcc
	s_cbranch_execz .LBB351_29
; %bb.1:
	s_load_dwordx4 s[8:11], s[0:1], 0x28
	s_load_dwordx2 s[6:7], s[0:1], 0x38
	s_cmp_lt_i32 s24, 1
	s_mul_i32 s23, s24, s3
	s_cbranch_scc1 .LBB351_21
; %bb.2:
	s_load_dwordx4 s[12:15], s[0:1], 0x10
	s_load_dwordx2 s[16:17], s[0:1], 0x20
	v_ashrrev_i32_e32 v25, 31, v24
	v_add_u32_e32 v42, s22, v24
	s_mul_i32 s25, s22, 0xff
	s_waitcnt lgkmcnt(0)
	v_lshl_add_u64 v[0:1], v[24:25], 4, s[14:15]
	global_load_dwordx4 v[0:3], v[0:1], off
	s_mul_i32 s26, s22, 0xfe
	s_lshl_b32 s27, s22, 1
	v_add_u32_e32 v43, s22, v42
	v_add_u32_e32 v44, s23, v42
	v_mov_b32_e32 v27, 0
	s_mov_b64 s[18:19], 0
	v_mov_b32_e32 v25, 0
	s_branch .LBB351_5
.LBB351_3:                              ;   in Loop: Header=BB351_5 Depth=1
	s_or_b64 exec, exec, s[4:5]
	v_fmac_f64_e32 v[30:31], v[4:5], v[8:9]
	v_fmac_f64_e32 v[28:29], v[6:7], v[8:9]
	v_mul_f64 v[0:1], v[16:17], -v[28:29]
	v_mul_f64 v[2:3], v[16:17], v[30:31]
	v_fmac_f64_e32 v[0:1], v[30:31], v[10:11]
	v_fmac_f64_e32 v[2:3], v[28:29], v[10:11]
	v_add_f64 v[0:1], v[12:13], -v[0:1]
	v_add_f64 v[2:3], v[14:15], -v[2:3]
	v_mov_b32_e32 v10, s22
.LBB351_4:                              ;   in Loop: Header=BB351_5 Depth=1
	s_or_b64 exec, exec, s[2:3]
	v_add_u32_e32 v25, v10, v25
	v_cmp_le_i32_e32 vcc, s24, v25
	s_or_b64 s[18:19], vcc, s[18:19]
	s_andn2_b64 exec, exec, s[18:19]
	s_cbranch_execz .LBB351_20
.LBB351_5:                              ; =>This Inner Loop Header: Depth=1
	v_add_u32_e32 v32, v25, v24
	v_ashrrev_i32_e32 v33, 31, v32
	v_lshl_add_u64 v[4:5], v[32:33], 4, s[16:17]
	global_load_dwordx4 v[8:11], v[4:5], off
	v_cmp_gt_u32_e64 s[0:1], s25, v25
	v_mov_b64_e32 v[12:13], 0
	v_add_u32_e32 v22, v42, v25
	v_mov_b64_e32 v[4:5], 0
	v_mov_b64_e32 v[6:7], 0
	s_and_saveexec_b64 s[2:3], s[0:1]
	s_cbranch_execz .LBB351_7
; %bb.6:                                ;   in Loop: Header=BB351_5 Depth=1
	v_ashrrev_i32_e32 v23, 31, v22
	v_lshl_add_u64 v[4:5], v[22:23], 4, s[12:13]
	global_load_dwordx4 v[4:7], v[4:5], off
.LBB351_7:                              ;   in Loop: Header=BB351_5 Depth=1
	s_or_b64 exec, exec, s[2:3]
	v_mov_b64_e32 v[14:15], 0
	s_and_saveexec_b64 s[2:3], s[0:1]
	s_cbranch_execz .LBB351_9
; %bb.8:                                ;   in Loop: Header=BB351_5 Depth=1
	v_ashrrev_i32_e32 v23, 31, v22
	v_lshl_add_u64 v[12:13], v[22:23], 4, s[14:15]
	global_load_dwordx4 v[12:15], v[12:13], off
.LBB351_9:                              ;   in Loop: Header=BB351_5 Depth=1
	s_or_b64 exec, exec, s[2:3]
	v_mov_b64_e32 v[20:21], 0
	v_mov_b64_e32 v[16:17], 0
	;; [unrolled: 1-line block ×3, first 2 shown]
	s_and_saveexec_b64 s[2:3], s[0:1]
	s_cbranch_execz .LBB351_11
; %bb.10:                               ;   in Loop: Header=BB351_5 Depth=1
	v_ashrrev_i32_e32 v23, 31, v22
	v_lshl_add_u64 v[16:17], v[22:23], 4, s[16:17]
	global_load_dwordx4 v[16:19], v[16:17], off
.LBB351_11:                             ;   in Loop: Header=BB351_5 Depth=1
	s_or_b64 exec, exec, s[2:3]
	v_cmp_gt_u32_e64 s[2:3], s26, v25
	v_mov_b64_e32 v[22:23], 0
	s_and_saveexec_b64 s[4:5], s[2:3]
	s_cbranch_execz .LBB351_13
; %bb.12:                               ;   in Loop: Header=BB351_5 Depth=1
	v_add_u32_e32 v20, v43, v25
	v_ashrrev_i32_e32 v21, 31, v20
	v_lshl_add_u64 v[20:21], v[20:21], 4, s[12:13]
	global_load_dwordx4 v[20:23], v[20:21], off
.LBB351_13:                             ;   in Loop: Header=BB351_5 Depth=1
	s_or_b64 exec, exec, s[4:5]
	v_lshl_add_u64 v[28:29], v[32:33], 2, s[6:7]
	global_load_dword v26, v[28:29], off
	v_cmp_ne_u32_e32 vcc, s25, v25
	s_waitcnt vmcnt(1)
	v_mul_f64 v[30:31], v[10:11], -v[6:7]
	v_mul_f64 v[28:29], v[10:11], v[4:5]
	s_waitcnt vmcnt(0)
	v_cmp_ne_u32_e64 s[4:5], 1, v26
	s_and_b64 s[4:5], vcc, s[4:5]
	v_add_u32_e32 v26, s23, v32
	s_and_saveexec_b64 s[20:21], s[4:5]
	s_xor_b64 s[4:5], exec, s[20:21]
	s_cbranch_execz .LBB351_17
; %bb.14:                               ;   in Loop: Header=BB351_5 Depth=1
	v_lshl_add_u64 v[54:55], v[26:27], 4, s[8:9]
	v_add_u32_e32 v26, v44, v25
	global_load_dwordx4 v[46:49], v[54:55], off
	v_lshl_add_u64 v[56:57], v[26:27], 4, s[8:9]
	global_load_dwordx4 v[50:53], v[56:57], off
	v_mul_f64 v[34:35], v[0:1], v[14:15]
	v_mul_f64 v[32:33], v[14:15], -v[2:3]
	v_fmac_f64_e32 v[28:29], v[6:7], v[8:9]
	v_fmac_f64_e32 v[34:35], v[2:3], v[12:13]
	;; [unrolled: 1-line block ×4, first 2 shown]
	v_add_f64 v[28:29], v[34:35], -v[28:29]
	v_add_f64 v[30:31], v[32:33], -v[30:31]
	v_mul_f64 v[32:33], v[28:29], v[28:29]
	v_fmac_f64_e32 v[32:33], v[30:31], v[30:31]
	v_div_scale_f64 v[36:37], s[20:21], v[32:33], v[32:33], 1.0
	v_rcp_f64_e32 v[38:39], v[36:37]
	v_fma_f64 v[34:35], 0, v[28:29], v[30:31]
	v_fma_f64 v[30:31], v[30:31], 0, -v[28:29]
	v_div_scale_f64 v[28:29], vcc, 1.0, v[32:33], 1.0
	v_fma_f64 v[58:59], -v[36:37], v[38:39], 1.0
	v_fmac_f64_e32 v[38:39], v[38:39], v[58:59]
	v_fma_f64 v[58:59], -v[36:37], v[38:39], 1.0
	v_fmac_f64_e32 v[38:39], v[38:39], v[58:59]
	v_mul_f64 v[58:59], v[28:29], v[38:39]
	v_fma_f64 v[28:29], -v[36:37], v[58:59], v[28:29]
	v_div_fmas_f64 v[28:29], v[28:29], v[38:39], v[58:59]
	v_div_fixup_f64 v[32:33], v[28:29], v[32:33], 1.0
	v_mul_f64 v[30:31], v[30:31], v[32:33]
	v_mul_f64 v[28:29], v[34:35], v[32:33]
	v_mov_b64_e32 v[40:41], 0
	s_waitcnt vmcnt(1)
	v_mul_f64 v[36:37], v[30:31], v[46:47]
	v_mul_f64 v[32:33], v[30:31], -v[48:49]
	v_fmac_f64_e32 v[36:37], v[48:49], v[28:29]
	s_waitcnt vmcnt(0)
	v_mul_f64 v[38:39], v[30:31], v[50:51]
	v_fmac_f64_e32 v[32:33], v[46:47], v[28:29]
	v_mul_f64 v[34:35], v[30:31], -v[52:53]
	v_fmac_f64_e32 v[38:39], v[52:53], v[28:29]
	v_mul_f64 v[46:47], v[36:37], -v[14:15]
	v_mul_f64 v[48:49], v[12:13], v[36:37]
	v_fmac_f64_e32 v[34:35], v[50:51], v[28:29]
	v_fmac_f64_e32 v[46:47], v[12:13], v[32:33]
	;; [unrolled: 1-line block ×3, first 2 shown]
	v_mul_f64 v[12:13], v[38:39], -v[10:11]
	v_mul_f64 v[14:15], v[8:9], v[38:39]
	v_mul_f64 v[50:51], v[6:7], v[36:37]
	v_mul_f64 v[52:53], v[36:37], -v[4:5]
	v_mul_f64 v[58:59], v[38:39], -v[2:3]
	v_mul_f64 v[60:61], v[0:1], v[38:39]
	v_fmac_f64_e32 v[12:13], v[8:9], v[34:35]
	v_fmac_f64_e32 v[14:15], v[10:11], v[34:35]
	v_fma_f64 v[50:51], -v[4:5], v[32:33], v[50:51]
	v_fma_f64 v[52:53], -v[6:7], v[32:33], v[52:53]
	v_fmac_f64_e32 v[58:59], v[0:1], v[34:35]
	v_fmac_f64_e32 v[60:61], v[2:3], v[34:35]
	v_add_f64 v[8:9], v[46:47], -v[12:13]
	v_add_f64 v[10:11], v[48:49], -v[14:15]
	v_add_f64 v[12:13], v[50:51], v[58:59]
	v_add_f64 v[14:15], v[52:53], v[60:61]
	global_store_dwordx4 v[54:55], v[8:11], off
	global_store_dwordx4 v[56:57], v[12:15], off
	s_nop 0
	v_mov_b64_e32 v[8:9], 0
	s_and_saveexec_b64 s[20:21], s[2:3]
	s_cbranch_execz .LBB351_16
; %bb.15:                               ;   in Loop: Header=BB351_5 Depth=1
	v_add_u32_e32 v12, v43, v25
	v_add_u32_e32 v26, s23, v12
	v_lshl_add_u64 v[40:41], v[26:27], 4, s[8:9]
	v_ashrrev_i32_e32 v13, 31, v12
	global_load_dwordx4 v[8:11], v[40:41], off
	v_lshl_add_u64 v[12:13], v[12:13], 4, s[14:15]
	global_load_dwordx4 v[12:15], v[12:13], off
	v_mul_f64 v[46:47], v[6:7], v[22:23]
	v_mul_f64 v[48:49], v[22:23], -v[4:5]
	v_mul_f64 v[50:51], v[22:23], -v[2:3]
	v_mul_f64 v[52:53], v[0:1], v[22:23]
	v_mul_f64 v[54:55], v[2:3], -v[22:23]
	v_mul_f64 v[56:57], v[2:3], v[20:21]
	v_fma_f64 v[4:5], -v[4:5], v[20:21], v[46:47]
	v_fma_f64 v[6:7], -v[6:7], v[20:21], v[48:49]
	v_fmac_f64_e32 v[50:51], v[0:1], v[20:21]
	v_fmac_f64_e32 v[52:53], v[2:3], v[20:21]
	;; [unrolled: 1-line block ×4, first 2 shown]
	v_mul_f64 v[0:1], v[6:7], v[36:37]
	v_mul_f64 v[2:3], v[36:37], -v[4:5]
	v_mul_f64 v[20:21], v[38:39], -v[52:53]
	v_mul_f64 v[22:23], v[50:51], v[38:39]
	v_mul_f64 v[36:37], v[18:19], -v[56:57]
	v_mul_f64 v[18:19], v[18:19], v[54:55]
	v_fma_f64 v[0:1], -v[4:5], v[32:33], v[0:1]
	v_fma_f64 v[2:3], -v[6:7], v[32:33], v[2:3]
	v_fmac_f64_e32 v[20:21], v[50:51], v[34:35]
	v_fmac_f64_e32 v[22:23], v[52:53], v[34:35]
	;; [unrolled: 1-line block ×4, first 2 shown]
	v_add_f64 v[0:1], v[0:1], -v[20:21]
	v_add_f64 v[2:3], v[2:3], -v[22:23]
	v_mul_f64 v[4:5], v[30:31], -v[18:19]
	v_mul_f64 v[6:7], v[30:31], v[36:37]
	v_fmac_f64_e32 v[4:5], v[36:37], v[28:29]
	v_fmac_f64_e32 v[6:7], v[18:19], v[28:29]
	s_waitcnt vmcnt(1)
	v_add_f64 v[0:1], v[0:1], v[8:9]
	v_add_f64 v[2:3], v[2:3], v[10:11]
	s_waitcnt vmcnt(0)
	v_add_f64 v[8:9], v[12:13], -v[4:5]
	global_store_dwordx4 v[40:41], v[0:3], off
	v_add_f64 v[40:41], v[14:15], -v[6:7]
.LBB351_16:                             ;   in Loop: Header=BB351_5 Depth=1
	s_or_b64 exec, exec, s[20:21]
	v_mov_b64_e32 v[2:3], v[40:41]
	v_mov_b64_e32 v[0:1], v[8:9]
                                        ; implicit-def: $vgpr4_vgpr5
                                        ; implicit-def: $vgpr12_vgpr13
                                        ; implicit-def: $vgpr8_vgpr9
                                        ; implicit-def: $vgpr30_vgpr31
                                        ; implicit-def: $vgpr28_vgpr29
.LBB351_17:                             ;   in Loop: Header=BB351_5 Depth=1
	s_or_saveexec_b64 s[2:3], s[4:5]
	v_mov_b32_e32 v10, s27
	s_xor_b64 exec, exec, s[2:3]
	s_cbranch_execz .LBB351_4
; %bb.18:                               ;   in Loop: Header=BB351_5 Depth=1
	v_lshl_add_u64 v[22:23], v[26:27], 4, s[8:9]
	global_load_dwordx4 v[18:21], v[22:23], off
	v_mul_f64 v[10:11], v[2:3], v[2:3]
	v_fmac_f64_e32 v[10:11], v[0:1], v[0:1]
	v_div_scale_f64 v[32:33], s[4:5], v[10:11], v[10:11], 1.0
	v_rcp_f64_e32 v[34:35], v[32:33]
	v_fma_f64 v[16:17], 0, v[2:3], v[0:1]
	v_fma_f64 v[0:1], v[0:1], 0, -v[2:3]
	v_div_scale_f64 v[2:3], vcc, 1.0, v[10:11], 1.0
	v_fma_f64 v[36:37], -v[32:33], v[34:35], 1.0
	v_fmac_f64_e32 v[34:35], v[34:35], v[36:37]
	v_fma_f64 v[36:37], -v[32:33], v[34:35], 1.0
	v_fmac_f64_e32 v[34:35], v[34:35], v[36:37]
	v_mul_f64 v[36:37], v[2:3], v[34:35]
	v_fma_f64 v[2:3], -v[32:33], v[36:37], v[2:3]
	v_div_fmas_f64 v[2:3], v[2:3], v[34:35], v[36:37]
	v_div_fixup_f64 v[2:3], v[2:3], v[10:11], 1.0
	v_mul_f64 v[10:11], v[16:17], v[2:3]
	v_mul_f64 v[16:17], v[0:1], v[2:3]
	s_waitcnt vmcnt(0)
	v_mul_f64 v[0:1], v[16:17], -v[20:21]
	v_mul_f64 v[2:3], v[16:17], v[18:19]
	v_fmac_f64_e32 v[0:1], v[18:19], v[10:11]
	v_fmac_f64_e32 v[2:3], v[20:21], v[10:11]
	global_store_dwordx4 v[22:23], v[0:3], off
	s_and_saveexec_b64 s[4:5], s[0:1]
	s_cbranch_execz .LBB351_3
; %bb.19:                               ;   in Loop: Header=BB351_5 Depth=1
	v_add_u32_e32 v26, v44, v25
	v_lshl_add_u64 v[22:23], v[26:27], 4, s[8:9]
	global_load_dwordx4 v[18:21], v[22:23], off
	s_waitcnt vmcnt(0)
	v_fma_f64 v[18:19], -v[4:5], v[0:1], v[18:19]
	v_fma_f64 v[0:1], -v[6:7], v[0:1], v[20:21]
	v_fmac_f64_e32 v[18:19], v[6:7], v[2:3]
	v_fma_f64 v[20:21], -v[4:5], v[2:3], v[0:1]
	global_store_dwordx4 v[22:23], v[18:21], off
	s_branch .LBB351_3
.LBB351_20:
	s_or_b64 exec, exec, s[18:19]
	s_branch .LBB351_22
.LBB351_21:
	v_mov_b32_e32 v25, 0
.LBB351_22:
	v_subrev_u32_e32 v2, s22, v25
	v_add_u32_e32 v0, v2, v24
	v_ashrrev_i32_e32 v1, 31, v0
	s_waitcnt lgkmcnt(0)
	v_lshl_add_u64 v[0:1], v[0:1], 2, s[6:7]
	buffer_wbl2 sc1
	s_waitcnt vmcnt(0)
	buffer_inv sc1
	global_load_dword v0, v[0:1], off
	s_waitcnt vmcnt(0)
	v_mul_lo_u32 v0, v0, s22
	v_sub_u32_e32 v8, v2, v0
	v_cmp_lt_i32_e32 vcc, -1, v8
	s_and_b64 exec, exec, vcc
	s_cbranch_execz .LBB351_29
; %bb.23:
	s_add_i32 s0, s23, s22
	v_add_u32_e32 v9, s0, v24
	s_lshl_b32 s4, s22, 1
	s_mov_b64 s[0:1], 0
	v_mov_b32_e32 v5, 0
	s_branch .LBB351_25
.LBB351_24:                             ;   in Loop: Header=BB351_25 Depth=1
	s_or_b64 exec, exec, s[2:3]
	v_sub_u32_e32 v8, v8, v4
	v_cmp_gt_i32_e32 vcc, 0, v8
	s_or_b64 s[0:1], vcc, s[0:1]
	s_andn2_b64 exec, exec, s[0:1]
	s_cbranch_execz .LBB351_29
.LBB351_25:                             ; =>This Inner Loop Header: Depth=1
	v_add_u32_e32 v6, v8, v24
	v_ashrrev_i32_e32 v7, 31, v6
	s_waitcnt vmcnt(0)
	v_lshl_add_u64 v[0:1], v[6:7], 2, s[6:7]
	global_load_dword v4, v[0:1], off
	v_lshl_add_u64 v[0:1], v[6:7], 4, s[10:11]
	global_load_dwordx4 v[0:3], v[0:1], off
	s_waitcnt vmcnt(1)
	v_cmp_ne_u32_e32 vcc, 1, v4
	s_and_saveexec_b64 s[2:3], vcc
	s_xor_b64 s[2:3], exec, s[2:3]
	s_cbranch_execz .LBB351_27
; %bb.26:                               ;   in Loop: Header=BB351_25 Depth=1
	v_add_u32_e32 v4, v9, v8
	v_lshl_add_u64 v[18:19], v[4:5], 4, s[8:9]
	v_add_u32_e32 v4, s23, v6
	v_lshl_add_u64 v[6:7], v[4:5], 4, s[8:9]
	global_load_dwordx4 v[10:13], v[18:19], off
	global_load_dwordx4 v[14:17], v[6:7], off
	v_subrev_u32_e32 v4, s22, v8
	v_add_u32_e32 v18, v4, v24
	v_ashrrev_i32_e32 v19, 31, v18
	v_add_u32_e32 v4, s23, v18
	v_lshl_add_u64 v[18:19], v[18:19], 4, s[10:11]
	v_lshl_add_u64 v[22:23], v[4:5], 4, s[8:9]
	global_load_dwordx4 v[18:21], v[18:19], off
	s_waitcnt vmcnt(1)
	v_fma_f64 v[14:15], -v[0:1], v[10:11], v[14:15]
	v_fma_f64 v[16:17], -v[2:3], v[10:11], v[16:17]
	v_fmac_f64_e32 v[14:15], v[2:3], v[12:13]
	v_fma_f64 v[16:17], -v[0:1], v[12:13], v[16:17]
	global_store_dwordx4 v[6:7], v[14:17], off
	global_load_dwordx4 v[0:3], v[22:23], off
                                        ; implicit-def: $vgpr6
	s_waitcnt vmcnt(0)
	v_fma_f64 v[0:1], -v[18:19], v[10:11], v[0:1]
	v_fma_f64 v[2:3], -v[20:21], v[10:11], v[2:3]
	v_fmac_f64_e32 v[0:1], v[20:21], v[12:13]
	v_fma_f64 v[2:3], -v[18:19], v[12:13], v[2:3]
	global_store_dwordx4 v[22:23], v[0:3], off
                                        ; implicit-def: $vgpr0_vgpr1
.LBB351_27:                             ;   in Loop: Header=BB351_25 Depth=1
	s_or_saveexec_b64 s[2:3], s[2:3]
	v_mov_b32_e32 v4, s4
	s_xor_b64 exec, exec, s[2:3]
	s_cbranch_execz .LBB351_24
; %bb.28:                               ;   in Loop: Header=BB351_25 Depth=1
	v_add_u32_e32 v4, v9, v8
	v_lshl_add_u64 v[18:19], v[4:5], 4, s[8:9]
	v_add_u32_e32 v4, s23, v6
	v_lshl_add_u64 v[6:7], v[4:5], 4, s[8:9]
	global_load_dwordx4 v[10:13], v[18:19], off
	global_load_dwordx4 v[14:17], v[6:7], off
	v_mov_b32_e32 v4, s22
	s_waitcnt vmcnt(0)
	v_fma_f64 v[14:15], -v[0:1], v[10:11], v[14:15]
	v_fma_f64 v[10:11], -v[2:3], v[10:11], v[16:17]
	v_fmac_f64_e32 v[14:15], v[2:3], v[12:13]
	v_fma_f64 v[16:17], -v[0:1], v[12:13], v[10:11]
	global_store_dwordx4 v[6:7], v[14:17], off
	s_branch .LBB351_24
.LBB351_29:
	s_endpgm
	.section	.rodata,"a",@progbits
	.p2align	6, 0x0
	.amdhsa_kernel _ZN9rocsparseL19gtsv_LBM_rhs_kernelILj256ELj256ELj1E21rocsparse_complex_numIdEEEviiiPKT2_S5_S5_PS3_S5_PKi
		.amdhsa_group_segment_fixed_size 0
		.amdhsa_private_segment_fixed_size 0
		.amdhsa_kernarg_size 64
		.amdhsa_user_sgpr_count 2
		.amdhsa_user_sgpr_dispatch_ptr 0
		.amdhsa_user_sgpr_queue_ptr 0
		.amdhsa_user_sgpr_kernarg_segment_ptr 1
		.amdhsa_user_sgpr_dispatch_id 0
		.amdhsa_user_sgpr_kernarg_preload_length 0
		.amdhsa_user_sgpr_kernarg_preload_offset 0
		.amdhsa_user_sgpr_private_segment_size 0
		.amdhsa_uses_dynamic_stack 0
		.amdhsa_enable_private_segment 0
		.amdhsa_system_sgpr_workgroup_id_x 1
		.amdhsa_system_sgpr_workgroup_id_y 1
		.amdhsa_system_sgpr_workgroup_id_z 0
		.amdhsa_system_sgpr_workgroup_info 0
		.amdhsa_system_vgpr_workitem_id 0
		.amdhsa_next_free_vgpr 62
		.amdhsa_next_free_sgpr 28
		.amdhsa_accum_offset 64
		.amdhsa_reserve_vcc 1
		.amdhsa_float_round_mode_32 0
		.amdhsa_float_round_mode_16_64 0
		.amdhsa_float_denorm_mode_32 3
		.amdhsa_float_denorm_mode_16_64 3
		.amdhsa_dx10_clamp 1
		.amdhsa_ieee_mode 1
		.amdhsa_fp16_overflow 0
		.amdhsa_tg_split 0
		.amdhsa_exception_fp_ieee_invalid_op 0
		.amdhsa_exception_fp_denorm_src 0
		.amdhsa_exception_fp_ieee_div_zero 0
		.amdhsa_exception_fp_ieee_overflow 0
		.amdhsa_exception_fp_ieee_underflow 0
		.amdhsa_exception_fp_ieee_inexact 0
		.amdhsa_exception_int_div_zero 0
	.end_amdhsa_kernel
	.section	.text._ZN9rocsparseL19gtsv_LBM_rhs_kernelILj256ELj256ELj1E21rocsparse_complex_numIdEEEviiiPKT2_S5_S5_PS3_S5_PKi,"axG",@progbits,_ZN9rocsparseL19gtsv_LBM_rhs_kernelILj256ELj256ELj1E21rocsparse_complex_numIdEEEviiiPKT2_S5_S5_PS3_S5_PKi,comdat
.Lfunc_end351:
	.size	_ZN9rocsparseL19gtsv_LBM_rhs_kernelILj256ELj256ELj1E21rocsparse_complex_numIdEEEviiiPKT2_S5_S5_PS3_S5_PKi, .Lfunc_end351-_ZN9rocsparseL19gtsv_LBM_rhs_kernelILj256ELj256ELj1E21rocsparse_complex_numIdEEEviiiPKT2_S5_S5_PS3_S5_PKi
                                        ; -- End function
	.set _ZN9rocsparseL19gtsv_LBM_rhs_kernelILj256ELj256ELj1E21rocsparse_complex_numIdEEEviiiPKT2_S5_S5_PS3_S5_PKi.num_vgpr, 62
	.set _ZN9rocsparseL19gtsv_LBM_rhs_kernelILj256ELj256ELj1E21rocsparse_complex_numIdEEEviiiPKT2_S5_S5_PS3_S5_PKi.num_agpr, 0
	.set _ZN9rocsparseL19gtsv_LBM_rhs_kernelILj256ELj256ELj1E21rocsparse_complex_numIdEEEviiiPKT2_S5_S5_PS3_S5_PKi.numbered_sgpr, 28
	.set _ZN9rocsparseL19gtsv_LBM_rhs_kernelILj256ELj256ELj1E21rocsparse_complex_numIdEEEviiiPKT2_S5_S5_PS3_S5_PKi.num_named_barrier, 0
	.set _ZN9rocsparseL19gtsv_LBM_rhs_kernelILj256ELj256ELj1E21rocsparse_complex_numIdEEEviiiPKT2_S5_S5_PS3_S5_PKi.private_seg_size, 0
	.set _ZN9rocsparseL19gtsv_LBM_rhs_kernelILj256ELj256ELj1E21rocsparse_complex_numIdEEEviiiPKT2_S5_S5_PS3_S5_PKi.uses_vcc, 1
	.set _ZN9rocsparseL19gtsv_LBM_rhs_kernelILj256ELj256ELj1E21rocsparse_complex_numIdEEEviiiPKT2_S5_S5_PS3_S5_PKi.uses_flat_scratch, 0
	.set _ZN9rocsparseL19gtsv_LBM_rhs_kernelILj256ELj256ELj1E21rocsparse_complex_numIdEEEviiiPKT2_S5_S5_PS3_S5_PKi.has_dyn_sized_stack, 0
	.set _ZN9rocsparseL19gtsv_LBM_rhs_kernelILj256ELj256ELj1E21rocsparse_complex_numIdEEEviiiPKT2_S5_S5_PS3_S5_PKi.has_recursion, 0
	.set _ZN9rocsparseL19gtsv_LBM_rhs_kernelILj256ELj256ELj1E21rocsparse_complex_numIdEEEviiiPKT2_S5_S5_PS3_S5_PKi.has_indirect_call, 0
	.section	.AMDGPU.csdata,"",@progbits
; Kernel info:
; codeLenInByte = 1988
; TotalNumSgprs: 34
; NumVgprs: 62
; NumAgprs: 0
; TotalNumVgprs: 62
; ScratchSize: 0
; MemoryBound: 1
; FloatMode: 240
; IeeeMode: 1
; LDSByteSize: 0 bytes/workgroup (compile time only)
; SGPRBlocks: 4
; VGPRBlocks: 7
; NumSGPRsForWavesPerEU: 34
; NumVGPRsForWavesPerEU: 62
; AccumOffset: 64
; Occupancy: 8
; WaveLimiterHint : 0
; COMPUTE_PGM_RSRC2:SCRATCH_EN: 0
; COMPUTE_PGM_RSRC2:USER_SGPR: 2
; COMPUTE_PGM_RSRC2:TRAP_HANDLER: 0
; COMPUTE_PGM_RSRC2:TGID_X_EN: 1
; COMPUTE_PGM_RSRC2:TGID_Y_EN: 1
; COMPUTE_PGM_RSRC2:TGID_Z_EN: 0
; COMPUTE_PGM_RSRC2:TIDIG_COMP_CNT: 0
; COMPUTE_PGM_RSRC3_GFX90A:ACCUM_OFFSET: 15
; COMPUTE_PGM_RSRC3_GFX90A:TG_SPLIT: 0
	.section	.text._ZN9rocsparseL29gtsv_spike_block_level_kernelILj256ELj256E21rocsparse_complex_numIdEEEviiiPT1_PKS3_S6_S4_S4_S4_S4_S4_,"axG",@progbits,_ZN9rocsparseL29gtsv_spike_block_level_kernelILj256ELj256E21rocsparse_complex_numIdEEEviiiPT1_PKS3_S6_S4_S4_S4_S4_S4_,comdat
	.globl	_ZN9rocsparseL29gtsv_spike_block_level_kernelILj256ELj256E21rocsparse_complex_numIdEEEviiiPT1_PKS3_S6_S4_S4_S4_S4_S4_ ; -- Begin function _ZN9rocsparseL29gtsv_spike_block_level_kernelILj256ELj256E21rocsparse_complex_numIdEEEviiiPT1_PKS3_S6_S4_S4_S4_S4_S4_
	.p2align	8
	.type	_ZN9rocsparseL29gtsv_spike_block_level_kernelILj256ELj256E21rocsparse_complex_numIdEEEviiiPT1_PKS3_S6_S4_S4_S4_S4_S4_,@function
_ZN9rocsparseL29gtsv_spike_block_level_kernelILj256ELj256E21rocsparse_complex_numIdEEEviiiPT1_PKS3_S6_S4_S4_S4_S4_S4_: ; @_ZN9rocsparseL29gtsv_spike_block_level_kernelILj256ELj256E21rocsparse_complex_numIdEEEviiiPT1_PKS3_S6_S4_S4_S4_S4_S4_
; %bb.0:
	s_load_dword s12, s[0:1], 0x0
	s_load_dwordx2 s[8:9], s[0:1], 0x18
	v_lshl_or_b32 v6, s2, 8, v0
	v_mov_b64_e32 v[2:3], 0
	v_mov_b64_e32 v[12:13], 0
	s_waitcnt lgkmcnt(0)
	s_lshr_b32 s21, s12, 8
	v_cmp_gt_i32_e64 s[4:5], s21, v6
	v_mov_b64_e32 v[14:15], 0
	s_and_saveexec_b64 s[6:7], s[4:5]
	s_cbranch_execz .LBB352_2
; %bb.1:
	v_ashrrev_i32_e32 v7, 31, v6
	v_lshl_add_u64 v[4:5], v[6:7], 4, s[8:9]
	global_load_dwordx4 v[12:15], v[4:5], off
.LBB352_2:
	s_or_b64 exec, exec, s[6:7]
	s_load_dwordx2 s[6:7], s[0:1], 0x20
	v_lshlrev_b32_e32 v1, 4, v0
	v_or_b32_e32 v10, 0x2000, v1
	s_mul_i32 s20, s21, 0xff
	v_mov_b64_e32 v[4:5], 0
	s_waitcnt vmcnt(0)
	ds_write_b128 v1, v[12:15] offset:8192
	s_and_saveexec_b64 s[10:11], s[4:5]
	s_cbranch_execz .LBB352_4
; %bb.3:
	s_mul_i32 s13, s21, 0xff
	v_add_u32_e32 v2, s13, v6
	v_mov_b32_e32 v3, 0
	v_lshl_add_u64 v[2:3], v[2:3], 4, s[8:9]
	global_load_dwordx4 v[2:5], v[2:3], off
.LBB352_4:
	s_or_b64 exec, exec, s[10:11]
	s_waitcnt vmcnt(0)
	ds_write_b128 v10, v[2:5] offset:4096
	v_mov_b64_e32 v[2:3], 0
	v_mov_b64_e32 v[12:13], 0
	;; [unrolled: 1-line block ×3, first 2 shown]
	s_and_saveexec_b64 s[8:9], s[4:5]
	s_cbranch_execz .LBB352_6
; %bb.5:
	v_ashrrev_i32_e32 v7, 31, v6
	s_waitcnt lgkmcnt(0)
	v_lshl_add_u64 v[4:5], v[6:7], 4, s[6:7]
	global_load_dwordx4 v[12:15], v[4:5], off
.LBB352_6:
	s_or_b64 exec, exec, s[8:9]
	s_load_dwordx2 s[16:17], s[0:1], 0x10
	v_mov_b64_e32 v[4:5], 0
	s_waitcnt vmcnt(0)
	ds_write_b128 v1, v[12:15]
	s_and_saveexec_b64 s[8:9], s[4:5]
	s_cbranch_execz .LBB352_8
; %bb.7:
	s_mul_i32 s10, s21, 0xff
	v_add_u32_e32 v2, s10, v6
	v_mov_b32_e32 v3, 0
	s_waitcnt lgkmcnt(0)
	v_lshl_add_u64 v[2:3], v[2:3], 4, s[6:7]
	global_load_dwordx4 v[2:5], v[2:3], off
.LBB352_8:
	s_or_b64 exec, exec, s[8:9]
	s_mul_i32 s14, s12, s3
	s_waitcnt vmcnt(0)
	ds_write_b128 v1, v[2:5] offset:4096
	v_mov_b64_e32 v[2:3], 0
	v_add_u32_e32 v8, s14, v6
	v_mov_b64_e32 v[12:13], 0
	v_mov_b64_e32 v[14:15], 0
	s_waitcnt lgkmcnt(0)
	s_and_saveexec_b64 s[6:7], s[4:5]
	s_cbranch_execz .LBB352_10
; %bb.9:
	v_ashrrev_i32_e32 v9, 31, v8
	v_lshl_add_u64 v[4:5], v[8:9], 4, s[16:17]
	global_load_dwordx4 v[12:15], v[4:5], off
.LBB352_10:
	s_or_b64 exec, exec, s[6:7]
	s_load_dwordx2 s[6:7], s[0:1], 0x48
	s_load_dwordx4 s[8:11], s[0:1], 0x38
	v_or_b32_e32 v9, 0x4000, v1
	v_mov_b64_e32 v[4:5], 0
	s_waitcnt vmcnt(0)
	ds_write_b128 v1, v[12:15] offset:16384
	s_and_saveexec_b64 s[12:13], s[4:5]
	s_cbranch_execz .LBB352_12
; %bb.11:
	s_mul_i32 s15, s21, 0xff
	s_add_i32 s15, s15, s14
	v_add_u32_e32 v2, s15, v6
	v_mov_b32_e32 v3, 0
	v_lshl_add_u64 v[2:3], v[2:3], 4, s[16:17]
	global_load_dwordx4 v[2:5], v[2:3], off
.LBB352_12:
	s_or_b64 exec, exec, s[12:13]
	s_load_dwordx4 s[12:15], s[0:1], 0x28
	v_add_u32_e32 v13, 0x1000, v10
	v_or_b32_e32 v12, 0x1000, v1
	v_add_u32_e32 v11, 0x1000, v9
	s_mov_b32 s22, 2
	s_waitcnt vmcnt(0)
	ds_write_b128 v9, v[2:5] offset:4096
	s_waitcnt lgkmcnt(0)
	s_barrier
	s_branch .LBB352_14
.LBB352_13:                             ;   in Loop: Header=BB352_14 Depth=1
	s_or_b64 exec, exec, s[18:19]
	s_lshl_b32 s18, s22, 1
	s_cmpk_lt_u32 s22, 0x81
	s_mov_b32 s22, s18
	s_waitcnt lgkmcnt(0)
	s_barrier
	s_cbranch_scc0 .LBB352_16
.LBB352_14:                             ; =>This Inner Loop Header: Depth=1
	s_ff1_i32_b32 s18, s22
	s_lshr_b32 s18, 0x100, s18
	v_cmp_gt_u32_e32 vcc, s18, v0
	s_and_saveexec_b64 s[18:19], vcc
	s_cbranch_execz .LBB352_13
; %bb.15:                               ;   in Loop: Header=BB352_14 Depth=1
	v_mul_lo_u32 v7, s22, v0
	s_lshr_b32 s23, s22, 1
	v_add_u32_e32 v46, s23, v7
	v_lshlrev_b32_e32 v47, 4, v46
	ds_read_b128 v[14:17], v47 offset:8192
	ds_read_b128 v[2:5], v47 offset:4080
	ds_read_b128 v[18:21], v47
	ds_read_b128 v[22:25], v47 offset:12272
	v_lshlrev_b32_e32 v7, 4, v7
	v_add_lshl_u32 v46, v46, s23, 4
	s_waitcnt lgkmcnt(2)
	v_mul_f64 v[28:29], v[4:5], v[14:15]
	v_mul_f64 v[26:27], v[4:5], -v[16:17]
	v_fmac_f64_e32 v[28:29], v[16:17], v[2:3]
	v_fmac_f64_e32 v[26:27], v[14:15], v[2:3]
	v_add_f64 v[36:37], -v[28:29], 0
	v_add_f64 v[34:35], -v[26:27], 1.0
	v_mul_f64 v[26:27], v[36:37], v[36:37]
	v_fmac_f64_e32 v[26:27], v[34:35], v[34:35]
	v_div_scale_f64 v[28:29], s[24:25], v[26:27], v[26:27], 1.0
	v_rcp_f64_e32 v[30:31], v[28:29]
	v_fma_f64 v[40:41], 0, v[36:37], v[34:35]
	v_fma_f64 v[34:35], v[34:35], 0, -v[36:37]
	v_fma_f64 v[32:33], -v[28:29], v[30:31], 1.0
	v_fmac_f64_e32 v[30:31], v[30:31], v[32:33]
	v_fma_f64 v[32:33], -v[28:29], v[30:31], 1.0
	v_fmac_f64_e32 v[30:31], v[30:31], v[32:33]
	v_div_scale_f64 v[32:33], vcc, 1.0, v[26:27], 1.0
	v_mul_f64 v[38:39], v[32:33], v[30:31]
	v_fma_f64 v[28:29], -v[28:29], v[38:39], v[32:33]
	s_nop 1
	v_div_fmas_f64 v[28:29], v[28:29], v[30:31], v[38:39]
	v_div_fixup_f64 v[38:39], v[28:29], v[26:27], 1.0
	ds_read_b128 v[26:29], v47 offset:20464
	ds_read_b128 v[30:33], v47 offset:16384
	v_mul_f64 v[44:45], v[34:35], v[38:39]
	v_mul_f64 v[42:43], v[40:41], v[38:39]
	s_waitcnt lgkmcnt(0)
	v_mul_f64 v[34:35], v[32:33], -v[4:5]
	v_mul_f64 v[36:37], v[2:3], v[32:33]
	v_fmac_f64_e32 v[34:35], v[2:3], v[30:31]
	v_fmac_f64_e32 v[36:37], v[4:5], v[30:31]
	v_add_f64 v[38:39], v[26:27], -v[34:35]
	v_add_f64 v[40:41], v[28:29], -v[36:37]
	v_mul_f64 v[34:35], v[44:45], -v[40:41]
	v_mul_f64 v[36:37], v[44:45], v[38:39]
	v_fmac_f64_e32 v[34:35], v[38:39], v[42:43]
	v_fmac_f64_e32 v[36:37], v[40:41], v[42:43]
	ds_write_b128 v47, v[34:37] offset:20464
	v_mul_f64 v[34:35], v[16:17], -v[28:29]
	v_fmac_f64_e32 v[34:35], v[26:27], v[14:15]
	v_mul_f64 v[26:27], v[16:17], v[26:27]
	v_fmac_f64_e32 v[26:27], v[28:29], v[14:15]
	v_add_f64 v[28:29], v[30:31], -v[34:35]
	v_add_f64 v[30:31], v[32:33], -v[26:27]
	v_mul_f64 v[26:27], v[44:45], -v[30:31]
	v_fmac_f64_e32 v[26:27], v[28:29], v[42:43]
	v_mul_f64 v[28:29], v[28:29], v[44:45]
	v_mul_f64 v[38:39], v[16:17], -v[24:25]
	v_mul_f64 v[16:17], v[16:17], v[22:23]
	v_fmac_f64_e32 v[28:29], v[30:31], v[42:43]
	ds_read_b128 v[30:33], v7
	v_fmac_f64_e32 v[16:17], v[24:25], v[14:15]
	v_fmac_f64_e32 v[38:39], v[22:23], v[14:15]
	v_mul_f64 v[14:15], v[44:45], v[16:17]
	v_mul_f64 v[16:17], v[16:17], -v[42:43]
	v_fma_f64 v[14:15], -v[42:43], v[38:39], v[14:15]
	v_fma_f64 v[16:17], -v[44:45], v[38:39], v[16:17]
	v_mul_f64 v[38:39], v[24:25], -v[44:45]
	v_mul_f64 v[40:41], v[42:43], v[24:25]
	v_fmac_f64_e32 v[38:39], v[42:43], v[22:23]
	v_fmac_f64_e32 v[40:41], v[44:45], v[22:23]
	ds_read_b128 v[34:37], v46 offset:12272
	ds_write_b128 v47, v[14:17] offset:8192
	ds_write_b128 v47, v[38:41] offset:12272
	ds_read_b128 v[22:25], v7 offset:8192
	s_waitcnt lgkmcnt(4)
	v_mul_f64 v[38:39], v[28:29], -v[32:33]
	v_fmac_f64_e32 v[38:39], v[30:31], v[26:27]
	v_mul_f64 v[30:31], v[28:29], v[30:31]
	v_mul_f64 v[40:41], v[2:3], v[20:21]
	ds_write_b128 v47, v[26:29] offset:16384
	v_fmac_f64_e32 v[30:31], v[32:33], v[26:27]
	v_mul_f64 v[32:33], v[20:21], -v[4:5]
	v_fmac_f64_e32 v[40:41], v[4:5], v[18:19]
	ds_read_b128 v[26:29], v7 offset:16384
	v_fmac_f64_e32 v[32:33], v[2:3], v[18:19]
	v_mul_f64 v[2:3], v[44:45], v[40:41]
	v_mul_f64 v[4:5], v[40:41], -v[42:43]
	v_fma_f64 v[2:3], -v[42:43], v[32:33], v[2:3]
	v_fma_f64 v[4:5], -v[44:45], v[32:33], v[4:5]
	ds_write_b128 v47, v[2:5] offset:4080
	v_mul_f64 v[2:3], v[20:21], -v[44:45]
	v_mul_f64 v[4:5], v[42:43], v[20:21]
	v_fmac_f64_e32 v[2:3], v[42:43], v[18:19]
	v_fmac_f64_e32 v[4:5], v[44:45], v[18:19]
	ds_write_b128 v47, v[2:5]
	ds_read_b128 v[18:21], v7
	s_waitcnt lgkmcnt(3)
	v_add_f64 v[26:27], v[26:27], -v[38:39]
	v_add_f64 v[28:29], v[28:29], -v[30:31]
	ds_write_b128 v7, v[26:29] offset:16384
	ds_read_b128 v[26:29], v47 offset:20464
	s_waitcnt lgkmcnt(2)
	v_mul_f64 v[30:31], v[4:5], v[20:21]
	v_mul_f64 v[4:5], v[4:5], -v[18:19]
	v_fma_f64 v[30:31], -v[18:19], v[2:3], v[30:31]
	v_fma_f64 v[32:33], -v[20:21], v[2:3], v[4:5]
	ds_write_b128 v7, v[30:33]
	s_waitcnt lgkmcnt(1)
	v_mul_f64 v[30:31], v[28:29], -v[36:37]
	v_fmac_f64_e32 v[30:31], v[34:35], v[26:27]
	v_mul_f64 v[32:33], v[28:29], v[34:35]
	v_mul_f64 v[34:35], v[16:17], -v[20:21]
	v_mul_f64 v[16:17], v[16:17], v[18:19]
	v_fmac_f64_e32 v[34:35], v[18:19], v[14:15]
	v_fmac_f64_e32 v[16:17], v[20:21], v[14:15]
	ds_read_b128 v[2:5], v46 offset:4080
	v_fmac_f64_e32 v[32:33], v[36:37], v[26:27]
	ds_read_b128 v[26:29], v46 offset:20464
	v_add_f64 v[14:15], v[22:23], -v[34:35]
	v_add_f64 v[16:17], v[24:25], -v[16:17]
	ds_write_b128 v7, v[14:17] offset:8192
	ds_read_b128 v[14:17], v46 offset:12272
	ds_read_b128 v[18:21], v47 offset:4080
	s_waitcnt lgkmcnt(3)
	v_add_f64 v[22:23], v[26:27], -v[30:31]
	v_add_f64 v[24:25], v[28:29], -v[32:33]
	ds_write_b128 v46, v[22:25] offset:20464
	ds_read_b128 v[22:25], v47 offset:12272
	s_waitcnt lgkmcnt(2)
	v_mul_f64 v[26:27], v[16:17], -v[20:21]
	v_fmac_f64_e32 v[26:27], v[18:19], v[14:15]
	v_mul_f64 v[18:19], v[16:17], v[18:19]
	v_fmac_f64_e32 v[18:19], v[20:21], v[14:15]
	v_add_f64 v[2:3], v[2:3], -v[26:27]
	v_add_f64 v[4:5], v[4:5], -v[18:19]
	ds_write_b128 v46, v[2:5] offset:4080
	s_waitcnt lgkmcnt(1)
	v_mul_f64 v[2:3], v[16:17], v[24:25]
	v_mul_f64 v[4:5], v[24:25], -v[14:15]
	v_fma_f64 v[2:3], -v[14:15], v[22:23], v[2:3]
	v_fma_f64 v[4:5], -v[16:17], v[22:23], v[4:5]
	ds_write_b128 v46, v[2:5] offset:12272
	s_branch .LBB352_13
.LBB352_16:
	s_and_saveexec_b64 s[18:19], s[4:5]
	s_cbranch_execnz .LBB352_19
; %bb.17:
	s_or_b64 exec, exec, s[18:19]
	v_cmp_eq_u32_e32 vcc, 0, v0
	s_and_saveexec_b64 s[4:5], vcc
	s_cbranch_execnz .LBB352_23
.LBB352_18:
	s_endpgm
.LBB352_19:
	s_cmp_eq_u32 s3, 0
	s_cbranch_scc1 .LBB352_27
; %bb.20:
	s_mulk_i32 s21, 0xff
	s_cbranch_execnz .LBB352_22
.LBB352_21:
	ds_read2_b64 v[2:5], v10 offset1:1
	ds_read2_b64 v[14:17], v13 offset1:1
	v_ashrrev_i32_e32 v7, 31, v6
	v_lshlrev_b64 v[22:23], 4, v[6:7]
	v_lshl_add_u64 v[18:19], s[12:13], 0, v[22:23]
	s_waitcnt lgkmcnt(1)
	global_store_dwordx4 v[18:19], v[2:5], off
	ds_read2_b64 v[18:21], v12 offset1:1
	v_lshl_add_u64 v[12:13], s[14:15], 0, v[22:23]
	v_add_u32_e32 v2, s20, v6
	v_mov_b32_e32 v3, 0
	v_lshlrev_b64 v[6:7], 4, v[2:3]
	ds_read2_b64 v[2:5], v1 offset1:1
	v_lshl_add_u64 v[24:25], s[12:13], 0, v[6:7]
	s_mov_b32 s21, s20
	s_waitcnt lgkmcnt(2)
	global_store_dwordx4 v[24:25], v[14:17], off
	s_waitcnt lgkmcnt(0)
	global_store_dwordx4 v[12:13], v[2:5], off
	s_nop 1
	v_lshl_add_u64 v[2:3], s[14:15], 0, v[6:7]
	global_store_dwordx4 v[2:3], v[18:21], off
.LBB352_22:
	ds_read2_b64 v[2:5], v9 offset1:1
	ds_read2_b64 v[10:13], v11 offset1:1
	v_ashrrev_i32_e32 v9, 31, v8
	v_add_u32_e32 v6, s21, v8
	v_lshl_add_u64 v[8:9], v[8:9], 4, s[16:17]
	v_mov_b32_e32 v7, 0
	s_waitcnt lgkmcnt(1)
	global_store_dwordx4 v[8:9], v[2:5], off
	s_nop 1
	v_lshl_add_u64 v[2:3], v[6:7], 4, s[16:17]
	s_waitcnt lgkmcnt(0)
	global_store_dwordx4 v[2:3], v[10:13], off
	s_or_b64 exec, exec, s[18:19]
	v_cmp_eq_u32_e32 vcc, 0, v0
	s_and_saveexec_b64 s[4:5], vcc
	s_cbranch_execz .LBB352_18
.LBB352_23:
	s_cmp_eq_u32 s3, 0
	s_cbranch_scc1 .LBB352_28
; %bb.24:
	s_load_dword s12, s[0:1], 0x50
	s_cbranch_execnz .LBB352_26
.LBB352_25:
	v_mov_b32_e32 v8, 0
	ds_read_b128 v[0:3], v8 offset:8192
	ds_read_b128 v[4:7], v8 offset:16368
	s_waitcnt lgkmcnt(0)
	s_load_dword s12, s[0:1], 0x50
	s_mov_b32 s4, s3
	s_ashr_i32 s3, s2, 31
	s_lshl_b64 s[14:15], s[2:3], 4
	s_add_u32 s0, s10, s14
	s_addc_u32 s1, s11, s15
	global_store_dwordx4 v8, v[0:3], s[0:1]
	s_waitcnt lgkmcnt(0)
	s_add_i32 s0, s12, s2
	s_mov_b32 s1, 0
	s_lshl_b64 s[0:1], s[0:1], 4
	s_mov_b32 s3, s4
	s_add_u32 s4, s10, s0
	s_addc_u32 s5, s11, s1
	ds_read_b128 v[0:3], v8
	global_store_dwordx4 v8, v[4:7], s[4:5]
	ds_read_b128 v[4:7], v8 offset:8176
	s_add_u32 s4, s6, s14
	s_addc_u32 s5, s7, s15
	s_add_u32 s0, s6, s0
	s_addc_u32 s1, s7, s1
	s_waitcnt lgkmcnt(1)
	global_store_dwordx4 v8, v[0:3], s[4:5]
	s_waitcnt lgkmcnt(0)
	global_store_dwordx4 v8, v[4:7], s[0:1]
.LBB352_26:
	s_waitcnt lgkmcnt(0)
	s_mul_i32 s0, s12, s3
	s_lshl_b32 s0, s0, 1
	s_add_i32 s0, s0, s2
	s_mov_b32 s1, 0
	v_mov_b32_e32 v8, 0
	s_lshl_b64 s[2:3], s[0:1], 4
	ds_read_b128 v[0:3], v8 offset:16384
	ds_read_b128 v[4:7], v8 offset:24560
	s_add_u32 s2, s8, s2
	s_addc_u32 s3, s9, s3
	s_add_i32 s0, s0, s12
	s_lshl_b64 s[0:1], s[0:1], 4
	s_add_u32 s0, s8, s0
	s_addc_u32 s1, s9, s1
	s_waitcnt lgkmcnt(1)
	global_store_dwordx4 v8, v[0:3], s[2:3]
	s_waitcnt lgkmcnt(0)
	global_store_dwordx4 v8, v[4:7], s[0:1]
	s_endpgm
.LBB352_27:
                                        ; implicit-def: $sgpr21
	s_branch .LBB352_21
.LBB352_28:
                                        ; implicit-def: $sgpr12
	s_branch .LBB352_25
	.section	.rodata,"a",@progbits
	.p2align	6, 0x0
	.amdhsa_kernel _ZN9rocsparseL29gtsv_spike_block_level_kernelILj256ELj256E21rocsparse_complex_numIdEEEviiiPT1_PKS3_S6_S4_S4_S4_S4_S4_
		.amdhsa_group_segment_fixed_size 24576
		.amdhsa_private_segment_fixed_size 0
		.amdhsa_kernarg_size 336
		.amdhsa_user_sgpr_count 2
		.amdhsa_user_sgpr_dispatch_ptr 0
		.amdhsa_user_sgpr_queue_ptr 0
		.amdhsa_user_sgpr_kernarg_segment_ptr 1
		.amdhsa_user_sgpr_dispatch_id 0
		.amdhsa_user_sgpr_kernarg_preload_length 0
		.amdhsa_user_sgpr_kernarg_preload_offset 0
		.amdhsa_user_sgpr_private_segment_size 0
		.amdhsa_uses_dynamic_stack 0
		.amdhsa_enable_private_segment 0
		.amdhsa_system_sgpr_workgroup_id_x 1
		.amdhsa_system_sgpr_workgroup_id_y 1
		.amdhsa_system_sgpr_workgroup_id_z 0
		.amdhsa_system_sgpr_workgroup_info 0
		.amdhsa_system_vgpr_workitem_id 0
		.amdhsa_next_free_vgpr 73
		.amdhsa_next_free_sgpr 91
		.amdhsa_accum_offset 48
		.amdhsa_reserve_vcc 1
		.amdhsa_float_round_mode_32 0
		.amdhsa_float_round_mode_16_64 0
		.amdhsa_float_denorm_mode_32 3
		.amdhsa_float_denorm_mode_16_64 3
		.amdhsa_dx10_clamp 1
		.amdhsa_ieee_mode 1
		.amdhsa_fp16_overflow 0
		.amdhsa_tg_split 0
		.amdhsa_exception_fp_ieee_invalid_op 0
		.amdhsa_exception_fp_denorm_src 0
		.amdhsa_exception_fp_ieee_div_zero 0
		.amdhsa_exception_fp_ieee_overflow 0
		.amdhsa_exception_fp_ieee_underflow 0
		.amdhsa_exception_fp_ieee_inexact 0
		.amdhsa_exception_int_div_zero 0
	.end_amdhsa_kernel
	.section	.text._ZN9rocsparseL29gtsv_spike_block_level_kernelILj256ELj256E21rocsparse_complex_numIdEEEviiiPT1_PKS3_S6_S4_S4_S4_S4_S4_,"axG",@progbits,_ZN9rocsparseL29gtsv_spike_block_level_kernelILj256ELj256E21rocsparse_complex_numIdEEEviiiPT1_PKS3_S6_S4_S4_S4_S4_S4_,comdat
.Lfunc_end352:
	.size	_ZN9rocsparseL29gtsv_spike_block_level_kernelILj256ELj256E21rocsparse_complex_numIdEEEviiiPT1_PKS3_S6_S4_S4_S4_S4_S4_, .Lfunc_end352-_ZN9rocsparseL29gtsv_spike_block_level_kernelILj256ELj256E21rocsparse_complex_numIdEEEviiiPT1_PKS3_S6_S4_S4_S4_S4_S4_
                                        ; -- End function
	.set _ZN9rocsparseL29gtsv_spike_block_level_kernelILj256ELj256E21rocsparse_complex_numIdEEEviiiPT1_PKS3_S6_S4_S4_S4_S4_S4_.num_vgpr, 48
	.set _ZN9rocsparseL29gtsv_spike_block_level_kernelILj256ELj256E21rocsparse_complex_numIdEEEviiiPT1_PKS3_S6_S4_S4_S4_S4_S4_.num_agpr, 0
	.set _ZN9rocsparseL29gtsv_spike_block_level_kernelILj256ELj256E21rocsparse_complex_numIdEEEviiiPT1_PKS3_S6_S4_S4_S4_S4_S4_.numbered_sgpr, 26
	.set _ZN9rocsparseL29gtsv_spike_block_level_kernelILj256ELj256E21rocsparse_complex_numIdEEEviiiPT1_PKS3_S6_S4_S4_S4_S4_S4_.num_named_barrier, 0
	.set _ZN9rocsparseL29gtsv_spike_block_level_kernelILj256ELj256E21rocsparse_complex_numIdEEEviiiPT1_PKS3_S6_S4_S4_S4_S4_S4_.private_seg_size, 0
	.set _ZN9rocsparseL29gtsv_spike_block_level_kernelILj256ELj256E21rocsparse_complex_numIdEEEviiiPT1_PKS3_S6_S4_S4_S4_S4_S4_.uses_vcc, 1
	.set _ZN9rocsparseL29gtsv_spike_block_level_kernelILj256ELj256E21rocsparse_complex_numIdEEEviiiPT1_PKS3_S6_S4_S4_S4_S4_S4_.uses_flat_scratch, 0
	.set _ZN9rocsparseL29gtsv_spike_block_level_kernelILj256ELj256E21rocsparse_complex_numIdEEEviiiPT1_PKS3_S6_S4_S4_S4_S4_S4_.has_dyn_sized_stack, 0
	.set _ZN9rocsparseL29gtsv_spike_block_level_kernelILj256ELj256E21rocsparse_complex_numIdEEEviiiPT1_PKS3_S6_S4_S4_S4_S4_S4_.has_recursion, 0
	.set _ZN9rocsparseL29gtsv_spike_block_level_kernelILj256ELj256E21rocsparse_complex_numIdEEEviiiPT1_PKS3_S6_S4_S4_S4_S4_S4_.has_indirect_call, 0
	.section	.AMDGPU.csdata,"",@progbits
; Kernel info:
; codeLenInByte = 2104
; TotalNumSgprs: 32
; NumVgprs: 48
; NumAgprs: 0
; TotalNumVgprs: 48
; ScratchSize: 0
; MemoryBound: 1
; FloatMode: 240
; IeeeMode: 1
; LDSByteSize: 24576 bytes/workgroup (compile time only)
; SGPRBlocks: 12
; VGPRBlocks: 9
; NumSGPRsForWavesPerEU: 97
; NumVGPRsForWavesPerEU: 73
; AccumOffset: 48
; Occupancy: 6
; WaveLimiterHint : 0
; COMPUTE_PGM_RSRC2:SCRATCH_EN: 0
; COMPUTE_PGM_RSRC2:USER_SGPR: 2
; COMPUTE_PGM_RSRC2:TRAP_HANDLER: 0
; COMPUTE_PGM_RSRC2:TGID_X_EN: 1
; COMPUTE_PGM_RSRC2:TGID_Y_EN: 1
; COMPUTE_PGM_RSRC2:TGID_Z_EN: 0
; COMPUTE_PGM_RSRC2:TIDIG_COMP_CNT: 0
; COMPUTE_PGM_RSRC3_GFX90A:ACCUM_OFFSET: 11
; COMPUTE_PGM_RSRC3_GFX90A:TG_SPLIT: 0
	.section	.text._ZN9rocsparseL33gtsv_solve_spike_propagate_kernelILj256ELj256E21rocsparse_complex_numIdEEEviiiPT1_PKS3_S6_S6_,"axG",@progbits,_ZN9rocsparseL33gtsv_solve_spike_propagate_kernelILj256ELj256E21rocsparse_complex_numIdEEEviiiPT1_PKS3_S6_S6_,comdat
	.globl	_ZN9rocsparseL33gtsv_solve_spike_propagate_kernelILj256ELj256E21rocsparse_complex_numIdEEEviiiPT1_PKS3_S6_S6_ ; -- Begin function _ZN9rocsparseL33gtsv_solve_spike_propagate_kernelILj256ELj256E21rocsparse_complex_numIdEEEviiiPT1_PKS3_S6_S6_
	.p2align	8
	.type	_ZN9rocsparseL33gtsv_solve_spike_propagate_kernelILj256ELj256E21rocsparse_complex_numIdEEEviiiPT1_PKS3_S6_S6_,@function
_ZN9rocsparseL33gtsv_solve_spike_propagate_kernelILj256ELj256E21rocsparse_complex_numIdEEEviiiPT1_PKS3_S6_S6_: ; @_ZN9rocsparseL33gtsv_solve_spike_propagate_kernelILj256ELj256E21rocsparse_complex_numIdEEEviiiPT1_PKS3_S6_S6_
; %bb.0:
	s_load_dword s8, s[0:1], 0x0
	v_lshl_or_b32 v2, s2, 8, v0
	v_lshlrev_b32_e32 v4, 4, v0
	s_waitcnt lgkmcnt(0)
	s_lshr_b32 s20, s8, 8
	v_cmp_gt_i32_e32 vcc, s20, v2
	v_cmp_le_i32_e64 s[4:5], s20, v2
	s_and_saveexec_b64 s[6:7], s[4:5]
	s_xor_b64 s[6:7], exec, s[6:7]
; %bb.1:
	v_mov_b32_e32 v6, 0
	v_mov_b32_e32 v7, v6
	;; [unrolled: 1-line block ×4, first 2 shown]
	ds_write_b128 v4, v[6:9] offset:16416
; %bb.2:
	s_or_saveexec_b64 s[6:7], s[6:7]
	v_mov_b64_e32 v[6:7], 0
	v_ashrrev_i32_e32 v3, 31, v2
	s_mulk_i32 s20, 0xff
	v_mov_b64_e32 v[8:9], 0
	s_xor_b64 exec, exec, s[6:7]
	s_cbranch_execz .LBB353_4
; %bb.3:
	s_load_dwordx2 s[10:11], s[0:1], 0x18
	v_add_u32_e32 v6, s20, v2
	v_mov_b32_e32 v7, 0
	s_waitcnt lgkmcnt(0)
	v_lshl_add_u64 v[14:15], v[2:3], 4, s[10:11]
	v_lshl_add_u64 v[16:17], v[6:7], 4, s[10:11]
	global_load_dwordx4 v[10:13], v[14:15], off
	global_load_dwordx4 v[6:9], v[16:17], off
	s_waitcnt vmcnt(1)
	ds_write_b128 v4, v[10:13] offset:16416
.LBB353_4:
	s_or_b64 exec, exec, s[6:7]
	s_waitcnt vmcnt(0)
	ds_write_b128 v4, v[6:9] offset:20512
	s_and_saveexec_b64 s[6:7], s[4:5]
	s_xor_b64 s[4:5], exec, s[6:7]
; %bb.5:
	v_mov_b32_e32 v6, 0
	v_mov_b32_e32 v7, v6
	v_mov_b32_e32 v8, v6
	v_mov_b32_e32 v9, v6
	ds_write_b128 v4, v[6:9] offset:8224
; %bb.6:
	s_or_saveexec_b64 s[4:5], s[4:5]
	s_load_dwordx2 s[6:7], s[0:1], 0x10
	v_mov_b64_e32 v[8:9], 0
	v_mov_b64_e32 v[10:11], 0
	v_mov_b64_e32 v[12:13], 0
	s_xor_b64 exec, exec, s[4:5]
	s_cbranch_execz .LBB353_8
; %bb.7:
	s_load_dwordx2 s[10:11], s[0:1], 0x20
	v_add_u32_e32 v6, s20, v2
	v_mov_b32_e32 v7, 0
	s_waitcnt lgkmcnt(0)
	v_lshl_add_u64 v[18:19], v[2:3], 4, s[10:11]
	v_lshl_add_u64 v[6:7], v[6:7], 4, s[10:11]
	global_load_dwordx4 v[14:17], v[18:19], off
	global_load_dwordx4 v[10:13], v[6:7], off
	s_waitcnt vmcnt(1)
	ds_write_b128 v4, v[14:17] offset:8224
.LBB353_8:
	s_or_b64 exec, exec, s[4:5]
	s_mul_i32 s8, s8, s3
	v_mov_b64_e32 v[6:7], 0
	s_waitcnt vmcnt(0)
	ds_write_b128 v4, v[10:13] offset:12320
	s_and_saveexec_b64 s[4:5], vcc
	s_cbranch_execz .LBB353_10
; %bb.9:
	s_add_i32 s9, s20, s8
	v_add_u32_e32 v6, s9, v2
	v_mov_b32_e32 v7, 0
	s_waitcnt lgkmcnt(0)
	v_lshl_add_u64 v[6:7], v[6:7], 4, s[6:7]
	global_load_dwordx4 v[6:9], v[6:7], off
.LBB353_10:
	s_or_b64 exec, exec, s[4:5]
	s_waitcnt vmcnt(0)
	ds_write_b128 v4, v[6:9] offset:16
	v_mov_b64_e32 v[8:9], 0
	v_add_u32_e32 v2, s8, v2
	v_mov_b64_e32 v[6:7], 0
	s_and_saveexec_b64 s[4:5], vcc
	s_cbranch_execz .LBB353_12
; %bb.11:
	v_ashrrev_i32_e32 v3, 31, v2
	s_waitcnt lgkmcnt(0)
	v_lshl_add_u64 v[6:7], v[2:3], 4, s[6:7]
	global_load_dwordx4 v[6:9], v[6:7], off
.LBB353_12:
	s_or_b64 exec, exec, s[4:5]
	v_cmp_eq_u32_e64 s[4:5], 0, v0
	s_waitcnt vmcnt(0)
	ds_write_b128 v4, v[6:9] offset:4112
	s_waitcnt lgkmcnt(0)
	s_barrier
	s_and_saveexec_b64 s[16:17], s[4:5]
	s_cbranch_execz .LBB353_18
; %bb.13:
	s_load_dword s21, s[0:1], 0x30
	s_load_dwordx2 s[18:19], s[0:1], 0x28
	s_cmp_lt_i32 s2, 1
	s_mov_b64 s[10:11], 0
	s_mov_b64 s[14:15], 0
	s_waitcnt lgkmcnt(0)
	s_mul_i32 s3, s3, s21
	s_mov_b64 s[12:13], 0
	s_cbranch_scc1 .LBB353_15
; %bb.14:
	s_lshl_b32 s0, s3, 1
	s_add_i32 s1, s2, s21
	s_add_i32 s0, s1, s0
	s_add_i32 s0, s0, -1
	s_mov_b32 s1, 0
	s_lshl_b64 s[0:1], s[0:1], 4
	s_add_u32 s0, s18, s0
	s_addc_u32 s1, s19, s1
	s_load_dwordx4 s[12:15], s[0:1], 0x0
.LBB353_15:
	s_add_i32 s0, s21, -1
	s_waitcnt lgkmcnt(0)
	v_mov_b32_e32 v6, s12
	v_mov_b32_e32 v7, s13
	;; [unrolled: 1-line block ×5, first 2 shown]
	s_cmp_ge_u32 s2, s0
	s_mov_b64 s[8:9], 0
	ds_write_b128 v1, v[6:9]
	s_cbranch_scc1 .LBB353_17
; %bb.16:
	s_lshl_b32 s0, s3, 1
	s_add_i32 s0, s2, s0
	s_add_i32 s0, s0, 1
	s_mov_b32 s1, 0
	s_lshl_b64 s[0:1], s[0:1], 4
	s_add_u32 s0, s18, s0
	s_addc_u32 s1, s19, s1
	s_load_dwordx4 s[8:11], s[0:1], 0x0
.LBB353_17:
	s_lshl_b32 s0, s3, 1
	s_add_i32 s0, s0, s2
	s_mov_b32 s1, 0
	s_lshl_b64 s[2:3], s[0:1], 4
	s_add_u32 s2, s18, s2
	s_addc_u32 s3, s19, s3
	s_add_i32 s0, s0, s21
	s_lshl_b64 s[0:1], s[0:1], 4
	s_add_u32 s0, s18, s0
	s_addc_u32 s1, s19, s1
	global_load_dwordx4 v[6:9], v1, s[2:3]
	global_load_dwordx4 v[10:13], v1, s[0:1]
	s_waitcnt lgkmcnt(0)
	v_mov_b32_e32 v14, s8
	v_mov_b32_e32 v15, s9
	;; [unrolled: 1-line block ×4, first 2 shown]
	ds_write_b128 v1, v[14:17] offset:8208
	s_waitcnt vmcnt(1)
	ds_write_b128 v1, v[6:9] offset:4112
	s_waitcnt vmcnt(0)
	ds_write_b128 v1, v[10:13] offset:4096
.LBB353_18:
	s_or_b64 exec, exec, s[16:17]
	v_add_u32_e32 v1, 16, v4
	v_add_u32_e32 v3, 0x1010, v4
	s_waitcnt lgkmcnt(0)
	s_barrier
	s_and_saveexec_b64 s[0:1], s[4:5]
	s_cbranch_execz .LBB353_20
; %bb.19:
	v_mov_b32_e32 v34, 0
	ds_read_b128 v[4:7], v34 offset:8208
	ds_read_b128 v[8:11], v34 offset:14352
	;; [unrolled: 1-line block ×5, first 2 shown]
	ds_read_b128 v[24:27], v34
	ds_read_b128 v[28:31], v34 offset:22544
	s_waitcnt lgkmcnt(5)
	v_mul_f64 v[32:33], v[6:7], -v[10:11]
	v_fmac_f64_e32 v[32:33], v[8:9], v[4:5]
	v_mul_f64 v[8:9], v[6:7], v[8:9]
	v_fmac_f64_e32 v[8:9], v[10:11], v[4:5]
	s_waitcnt lgkmcnt(4)
	v_add_f64 v[12:13], v[12:13], -v[32:33]
	s_waitcnt lgkmcnt(0)
	v_mul_f64 v[32:33], v[26:27], -v[30:31]
	v_add_f64 v[14:15], v[14:15], -v[8:9]
	ds_read_b128 v[8:11], v34 offset:18464
	v_fmac_f64_e32 v[32:33], v[28:29], v[24:25]
	v_mul_f64 v[28:29], v[26:27], v[28:29]
	v_fmac_f64_e32 v[28:29], v[30:31], v[24:25]
	v_add_f64 v[12:13], v[12:13], -v[32:33]
	v_add_f64 v[14:15], v[14:15], -v[28:29]
	ds_write_b128 v34, v[12:15] offset:2048
	v_mul_f64 v[12:13], v[6:7], -v[18:19]
	v_fmac_f64_e32 v[12:13], v[16:17], v[4:5]
	v_mul_f64 v[6:7], v[6:7], v[16:17]
	v_fmac_f64_e32 v[6:7], v[18:19], v[4:5]
	v_add_f64 v[4:5], v[20:21], -v[12:13]
	s_waitcnt lgkmcnt(1)
	v_mul_f64 v[12:13], v[26:27], -v[10:11]
	v_fmac_f64_e32 v[12:13], v[8:9], v[24:25]
	v_mul_f64 v[8:9], v[26:27], v[8:9]
	v_add_f64 v[6:7], v[22:23], -v[6:7]
	v_fmac_f64_e32 v[8:9], v[10:11], v[24:25]
	v_add_f64 v[4:5], v[4:5], -v[12:13]
	v_add_f64 v[6:7], v[6:7], -v[8:9]
	ds_write_b128 v34, v[4:7] offset:6160
.LBB353_20:
	s_or_b64 exec, exec, s[0:1]
	v_cmp_gt_u32_e64 s[0:1], 2, v0
	s_waitcnt lgkmcnt(0)
	s_barrier
	s_and_saveexec_b64 s[2:3], s[0:1]
	s_cbranch_execz .LBB353_22
; %bb.21:
	v_lshlrev_b32_e32 v34, 11, v0
	ds_read_b128 v[4:7], v34 offset:6160
	ds_read_b128 v[8:11], v34 offset:13328
	ds_read_b128 v[12:15], v34 offset:1024
	ds_read_b128 v[16:19], v34 offset:9248
	ds_read_b128 v[20:23], v34 offset:5136
	ds_read_b128 v[24:27], v34
	ds_read_b128 v[28:31], v34 offset:21520
	s_waitcnt lgkmcnt(5)
	v_mul_f64 v[32:33], v[6:7], -v[10:11]
	v_fmac_f64_e32 v[32:33], v[8:9], v[4:5]
	v_mul_f64 v[8:9], v[6:7], v[8:9]
	v_fmac_f64_e32 v[8:9], v[10:11], v[4:5]
	s_waitcnt lgkmcnt(4)
	v_add_f64 v[12:13], v[12:13], -v[32:33]
	s_waitcnt lgkmcnt(0)
	v_mul_f64 v[32:33], v[26:27], -v[30:31]
	v_add_f64 v[14:15], v[14:15], -v[8:9]
	ds_read_b128 v[8:11], v34 offset:17440
	v_fmac_f64_e32 v[32:33], v[28:29], v[24:25]
	v_mul_f64 v[28:29], v[26:27], v[28:29]
	v_fmac_f64_e32 v[28:29], v[30:31], v[24:25]
	v_add_f64 v[12:13], v[12:13], -v[32:33]
	v_add_f64 v[14:15], v[14:15], -v[28:29]
	ds_write_b128 v34, v[12:15] offset:1024
	v_mul_f64 v[12:13], v[6:7], -v[18:19]
	v_fmac_f64_e32 v[12:13], v[16:17], v[4:5]
	v_mul_f64 v[6:7], v[6:7], v[16:17]
	v_fmac_f64_e32 v[6:7], v[18:19], v[4:5]
	v_add_f64 v[4:5], v[20:21], -v[12:13]
	s_waitcnt lgkmcnt(1)
	v_mul_f64 v[12:13], v[26:27], -v[10:11]
	v_fmac_f64_e32 v[12:13], v[8:9], v[24:25]
	v_mul_f64 v[8:9], v[26:27], v[8:9]
	v_add_f64 v[6:7], v[22:23], -v[6:7]
	v_fmac_f64_e32 v[8:9], v[10:11], v[24:25]
	v_add_f64 v[4:5], v[4:5], -v[12:13]
	v_add_f64 v[6:7], v[6:7], -v[8:9]
	ds_write_b128 v34, v[4:7] offset:5136
.LBB353_22:
	s_or_b64 exec, exec, s[2:3]
	v_cmp_gt_u32_e64 s[0:1], 4, v0
	s_waitcnt lgkmcnt(0)
	s_barrier
	s_and_saveexec_b64 s[2:3], s[0:1]
	s_cbranch_execz .LBB353_24
; %bb.23:
	v_lshlrev_b32_e32 v34, 10, v0
	ds_read_b128 v[4:7], v34 offset:5136
	ds_read_b128 v[8:11], v34 offset:12816
	ds_read_b128 v[12:15], v34 offset:512
	ds_read_b128 v[16:19], v34 offset:8736
	ds_read_b128 v[20:23], v34 offset:4624
	ds_read_b128 v[24:27], v34
	ds_read_b128 v[28:31], v34 offset:21008
	s_waitcnt lgkmcnt(5)
	v_mul_f64 v[32:33], v[6:7], -v[10:11]
	v_fmac_f64_e32 v[32:33], v[8:9], v[4:5]
	v_mul_f64 v[8:9], v[6:7], v[8:9]
	v_fmac_f64_e32 v[8:9], v[10:11], v[4:5]
	s_waitcnt lgkmcnt(4)
	v_add_f64 v[12:13], v[12:13], -v[32:33]
	s_waitcnt lgkmcnt(0)
	v_mul_f64 v[32:33], v[26:27], -v[30:31]
	v_add_f64 v[14:15], v[14:15], -v[8:9]
	ds_read_b128 v[8:11], v34 offset:16928
	v_fmac_f64_e32 v[32:33], v[28:29], v[24:25]
	v_mul_f64 v[28:29], v[26:27], v[28:29]
	v_fmac_f64_e32 v[28:29], v[30:31], v[24:25]
	v_add_f64 v[12:13], v[12:13], -v[32:33]
	v_add_f64 v[14:15], v[14:15], -v[28:29]
	ds_write_b128 v34, v[12:15] offset:512
	v_mul_f64 v[12:13], v[6:7], -v[18:19]
	v_fmac_f64_e32 v[12:13], v[16:17], v[4:5]
	v_mul_f64 v[6:7], v[6:7], v[16:17]
	v_fmac_f64_e32 v[6:7], v[18:19], v[4:5]
	v_add_f64 v[4:5], v[20:21], -v[12:13]
	s_waitcnt lgkmcnt(1)
	v_mul_f64 v[12:13], v[26:27], -v[10:11]
	v_fmac_f64_e32 v[12:13], v[8:9], v[24:25]
	v_mul_f64 v[8:9], v[26:27], v[8:9]
	v_add_f64 v[6:7], v[22:23], -v[6:7]
	v_fmac_f64_e32 v[8:9], v[10:11], v[24:25]
	v_add_f64 v[4:5], v[4:5], -v[12:13]
	v_add_f64 v[6:7], v[6:7], -v[8:9]
	ds_write_b128 v34, v[4:7] offset:4624
.LBB353_24:
	;; [unrolled: 47-line block ×5, first 2 shown]
	s_or_b64 exec, exec, s[2:3]
	v_cmp_gt_u32_e64 s[0:1], 64, v0
	s_waitcnt lgkmcnt(0)
	s_barrier
	s_and_saveexec_b64 s[2:3], s[0:1]
	s_cbranch_execz .LBB353_32
; %bb.31:
	v_lshlrev_b32_e32 v34, 6, v0
	ds_read_b128 v[4:7], v34 offset:4176
	ds_read_b128 v[8:11], v34 offset:12336
	;; [unrolled: 1-line block ×4, first 2 shown]
	ds_read_b128 v[20:23], v34
	ds_read_b128 v[24:27], v34 offset:32
	ds_read_b128 v[28:31], v34 offset:20528
	s_waitcnt lgkmcnt(5)
	v_mul_f64 v[32:33], v[6:7], -v[10:11]
	v_fmac_f64_e32 v[32:33], v[8:9], v[4:5]
	v_mul_f64 v[8:9], v[6:7], v[8:9]
	v_fmac_f64_e32 v[8:9], v[10:11], v[4:5]
	s_waitcnt lgkmcnt(1)
	v_add_f64 v[24:25], v[24:25], -v[32:33]
	v_add_f64 v[26:27], v[26:27], -v[8:9]
	ds_read_b128 v[8:11], v34 offset:16448
	s_waitcnt lgkmcnt(1)
	v_mul_f64 v[32:33], v[22:23], -v[30:31]
	v_fmac_f64_e32 v[32:33], v[28:29], v[20:21]
	v_mul_f64 v[28:29], v[22:23], v[28:29]
	v_fmac_f64_e32 v[28:29], v[30:31], v[20:21]
	v_add_f64 v[24:25], v[24:25], -v[32:33]
	v_add_f64 v[26:27], v[26:27], -v[28:29]
	ds_write_b128 v34, v[24:27] offset:32
	v_mul_f64 v[24:25], v[6:7], -v[14:15]
	v_fmac_f64_e32 v[24:25], v[12:13], v[4:5]
	v_mul_f64 v[6:7], v[6:7], v[12:13]
	s_waitcnt lgkmcnt(1)
	v_mul_f64 v[12:13], v[22:23], -v[10:11]
	v_fmac_f64_e32 v[6:7], v[14:15], v[4:5]
	v_fmac_f64_e32 v[12:13], v[8:9], v[20:21]
	v_mul_f64 v[8:9], v[22:23], v[8:9]
	v_add_f64 v[4:5], v[16:17], -v[24:25]
	v_add_f64 v[6:7], v[18:19], -v[6:7]
	v_fmac_f64_e32 v[8:9], v[10:11], v[20:21]
	v_add_f64 v[4:5], v[4:5], -v[12:13]
	v_add_f64 v[6:7], v[6:7], -v[8:9]
	ds_write_b128 v34, v[4:7] offset:4144
.LBB353_32:
	s_or_b64 exec, exec, s[2:3]
	s_movk_i32 s0, 0x80
	v_cmp_gt_u32_e64 s[0:1], s0, v0
	s_waitcnt lgkmcnt(0)
	s_barrier
	s_and_saveexec_b64 s[2:3], s[0:1]
	s_cbranch_execz .LBB353_34
; %bb.33:
	v_lshlrev_b32_e32 v0, 5, v0
	ds_read_b128 v[4:7], v0 offset:4144
	ds_read_b128 v[8:11], v0 offset:12320
	;; [unrolled: 1-line block ×4, first 2 shown]
	ds_read_b128 v[20:23], v0
	ds_read_b128 v[24:27], v0 offset:16
	ds_read_b128 v[28:31], v0 offset:20512
	s_waitcnt lgkmcnt(5)
	v_mul_f64 v[32:33], v[6:7], -v[10:11]
	v_fmac_f64_e32 v[32:33], v[8:9], v[4:5]
	v_mul_f64 v[8:9], v[6:7], v[8:9]
	v_fmac_f64_e32 v[8:9], v[10:11], v[4:5]
	s_waitcnt lgkmcnt(1)
	v_add_f64 v[24:25], v[24:25], -v[32:33]
	v_add_f64 v[26:27], v[26:27], -v[8:9]
	ds_read_b128 v[8:11], v0 offset:16432
	s_waitcnt lgkmcnt(1)
	v_mul_f64 v[32:33], v[22:23], -v[30:31]
	v_fmac_f64_e32 v[32:33], v[28:29], v[20:21]
	v_mul_f64 v[28:29], v[22:23], v[28:29]
	v_fmac_f64_e32 v[28:29], v[30:31], v[20:21]
	v_add_f64 v[24:25], v[24:25], -v[32:33]
	v_add_f64 v[26:27], v[26:27], -v[28:29]
	ds_write_b128 v0, v[24:27] offset:16
	v_mul_f64 v[24:25], v[6:7], -v[14:15]
	v_fmac_f64_e32 v[24:25], v[12:13], v[4:5]
	v_mul_f64 v[6:7], v[6:7], v[12:13]
	s_waitcnt lgkmcnt(1)
	v_mul_f64 v[12:13], v[22:23], -v[10:11]
	v_fmac_f64_e32 v[6:7], v[14:15], v[4:5]
	v_fmac_f64_e32 v[12:13], v[8:9], v[20:21]
	v_mul_f64 v[8:9], v[22:23], v[8:9]
	v_add_f64 v[4:5], v[16:17], -v[24:25]
	v_add_f64 v[6:7], v[18:19], -v[6:7]
	v_fmac_f64_e32 v[8:9], v[10:11], v[20:21]
	v_add_f64 v[4:5], v[4:5], -v[12:13]
	v_add_f64 v[6:7], v[6:7], -v[8:9]
	ds_write_b128 v0, v[4:7] offset:4128
.LBB353_34:
	s_or_b64 exec, exec, s[2:3]
	s_waitcnt lgkmcnt(0)
	s_barrier
	s_and_saveexec_b64 s[0:1], vcc
	s_cbranch_execz .LBB353_36
; %bb.35:
	ds_read2_b64 v[4:7], v3 offset1:1
	ds_read2_b64 v[8:11], v1 offset1:1
	v_ashrrev_i32_e32 v3, 31, v2
	v_add_u32_e32 v0, s20, v2
	v_mov_b32_e32 v1, 0
	v_lshl_add_u64 v[2:3], v[2:3], 4, s[6:7]
	v_lshl_add_u64 v[0:1], v[0:1], 4, s[6:7]
	s_waitcnt lgkmcnt(1)
	global_store_dwordx4 v[2:3], v[4:7], off
	s_waitcnt lgkmcnt(0)
	global_store_dwordx4 v[0:1], v[8:11], off
.LBB353_36:
	s_endpgm
	.section	.rodata,"a",@progbits
	.p2align	6, 0x0
	.amdhsa_kernel _ZN9rocsparseL33gtsv_solve_spike_propagate_kernelILj256ELj256E21rocsparse_complex_numIdEEEviiiPT1_PKS3_S6_S6_
		.amdhsa_group_segment_fixed_size 24608
		.amdhsa_private_segment_fixed_size 0
		.amdhsa_kernarg_size 304
		.amdhsa_user_sgpr_count 2
		.amdhsa_user_sgpr_dispatch_ptr 0
		.amdhsa_user_sgpr_queue_ptr 0
		.amdhsa_user_sgpr_kernarg_segment_ptr 1
		.amdhsa_user_sgpr_dispatch_id 0
		.amdhsa_user_sgpr_kernarg_preload_length 0
		.amdhsa_user_sgpr_kernarg_preload_offset 0
		.amdhsa_user_sgpr_private_segment_size 0
		.amdhsa_uses_dynamic_stack 0
		.amdhsa_enable_private_segment 0
		.amdhsa_system_sgpr_workgroup_id_x 1
		.amdhsa_system_sgpr_workgroup_id_y 1
		.amdhsa_system_sgpr_workgroup_id_z 0
		.amdhsa_system_sgpr_workgroup_info 0
		.amdhsa_system_vgpr_workitem_id 0
		.amdhsa_next_free_vgpr 73
		.amdhsa_next_free_sgpr 91
		.amdhsa_accum_offset 36
		.amdhsa_reserve_vcc 1
		.amdhsa_float_round_mode_32 0
		.amdhsa_float_round_mode_16_64 0
		.amdhsa_float_denorm_mode_32 3
		.amdhsa_float_denorm_mode_16_64 3
		.amdhsa_dx10_clamp 1
		.amdhsa_ieee_mode 1
		.amdhsa_fp16_overflow 0
		.amdhsa_tg_split 0
		.amdhsa_exception_fp_ieee_invalid_op 0
		.amdhsa_exception_fp_denorm_src 0
		.amdhsa_exception_fp_ieee_div_zero 0
		.amdhsa_exception_fp_ieee_overflow 0
		.amdhsa_exception_fp_ieee_underflow 0
		.amdhsa_exception_fp_ieee_inexact 0
		.amdhsa_exception_int_div_zero 0
	.end_amdhsa_kernel
	.section	.text._ZN9rocsparseL33gtsv_solve_spike_propagate_kernelILj256ELj256E21rocsparse_complex_numIdEEEviiiPT1_PKS3_S6_S6_,"axG",@progbits,_ZN9rocsparseL33gtsv_solve_spike_propagate_kernelILj256ELj256E21rocsparse_complex_numIdEEEviiiPT1_PKS3_S6_S6_,comdat
.Lfunc_end353:
	.size	_ZN9rocsparseL33gtsv_solve_spike_propagate_kernelILj256ELj256E21rocsparse_complex_numIdEEEviiiPT1_PKS3_S6_S6_, .Lfunc_end353-_ZN9rocsparseL33gtsv_solve_spike_propagate_kernelILj256ELj256E21rocsparse_complex_numIdEEEviiiPT1_PKS3_S6_S6_
                                        ; -- End function
	.set _ZN9rocsparseL33gtsv_solve_spike_propagate_kernelILj256ELj256E21rocsparse_complex_numIdEEEviiiPT1_PKS3_S6_S6_.num_vgpr, 35
	.set _ZN9rocsparseL33gtsv_solve_spike_propagate_kernelILj256ELj256E21rocsparse_complex_numIdEEEviiiPT1_PKS3_S6_S6_.num_agpr, 0
	.set _ZN9rocsparseL33gtsv_solve_spike_propagate_kernelILj256ELj256E21rocsparse_complex_numIdEEEviiiPT1_PKS3_S6_S6_.numbered_sgpr, 22
	.set _ZN9rocsparseL33gtsv_solve_spike_propagate_kernelILj256ELj256E21rocsparse_complex_numIdEEEviiiPT1_PKS3_S6_S6_.num_named_barrier, 0
	.set _ZN9rocsparseL33gtsv_solve_spike_propagate_kernelILj256ELj256E21rocsparse_complex_numIdEEEviiiPT1_PKS3_S6_S6_.private_seg_size, 0
	.set _ZN9rocsparseL33gtsv_solve_spike_propagate_kernelILj256ELj256E21rocsparse_complex_numIdEEEviiiPT1_PKS3_S6_S6_.uses_vcc, 1
	.set _ZN9rocsparseL33gtsv_solve_spike_propagate_kernelILj256ELj256E21rocsparse_complex_numIdEEEviiiPT1_PKS3_S6_S6_.uses_flat_scratch, 0
	.set _ZN9rocsparseL33gtsv_solve_spike_propagate_kernelILj256ELj256E21rocsparse_complex_numIdEEEviiiPT1_PKS3_S6_S6_.has_dyn_sized_stack, 0
	.set _ZN9rocsparseL33gtsv_solve_spike_propagate_kernelILj256ELj256E21rocsparse_complex_numIdEEEviiiPT1_PKS3_S6_S6_.has_recursion, 0
	.set _ZN9rocsparseL33gtsv_solve_spike_propagate_kernelILj256ELj256E21rocsparse_complex_numIdEEEviiiPT1_PKS3_S6_S6_.has_indirect_call, 0
	.section	.AMDGPU.csdata,"",@progbits
; Kernel info:
; codeLenInByte = 3152
; TotalNumSgprs: 28
; NumVgprs: 35
; NumAgprs: 0
; TotalNumVgprs: 35
; ScratchSize: 0
; MemoryBound: 0
; FloatMode: 240
; IeeeMode: 1
; LDSByteSize: 24608 bytes/workgroup (compile time only)
; SGPRBlocks: 12
; VGPRBlocks: 9
; NumSGPRsForWavesPerEU: 97
; NumVGPRsForWavesPerEU: 73
; AccumOffset: 36
; Occupancy: 6
; WaveLimiterHint : 0
; COMPUTE_PGM_RSRC2:SCRATCH_EN: 0
; COMPUTE_PGM_RSRC2:USER_SGPR: 2
; COMPUTE_PGM_RSRC2:TRAP_HANDLER: 0
; COMPUTE_PGM_RSRC2:TGID_X_EN: 1
; COMPUTE_PGM_RSRC2:TGID_Y_EN: 1
; COMPUTE_PGM_RSRC2:TGID_Z_EN: 0
; COMPUTE_PGM_RSRC2:TIDIG_COMP_CNT: 0
; COMPUTE_PGM_RSRC3_GFX90A:ACCUM_OFFSET: 8
; COMPUTE_PGM_RSRC3_GFX90A:TG_SPLIT: 0
	.section	.text._ZN9rocsparseL39gtsv_spike_backward_substitution_kernelILj256ELj256E21rocsparse_complex_numIdEEEviiiPT1_PKS3_S6_,"axG",@progbits,_ZN9rocsparseL39gtsv_spike_backward_substitution_kernelILj256ELj256E21rocsparse_complex_numIdEEEviiiPT1_PKS3_S6_,comdat
	.globl	_ZN9rocsparseL39gtsv_spike_backward_substitution_kernelILj256ELj256E21rocsparse_complex_numIdEEEviiiPT1_PKS3_S6_ ; -- Begin function _ZN9rocsparseL39gtsv_spike_backward_substitution_kernelILj256ELj256E21rocsparse_complex_numIdEEEviiiPT1_PKS3_S6_
	.p2align	8
	.type	_ZN9rocsparseL39gtsv_spike_backward_substitution_kernelILj256ELj256E21rocsparse_complex_numIdEEEviiiPT1_PKS3_S6_,@function
_ZN9rocsparseL39gtsv_spike_backward_substitution_kernelILj256ELj256E21rocsparse_complex_numIdEEEviiiPT1_PKS3_S6_: ; @_ZN9rocsparseL39gtsv_spike_backward_substitution_kernelILj256ELj256E21rocsparse_complex_numIdEEEviiiPT1_PKS3_S6_
; %bb.0:
	s_load_dword s6, s[0:1], 0x0
	s_lshl_b32 s10, s2, 8
	v_or_b32_e32 v10, s10, v0
	s_waitcnt lgkmcnt(0)
	s_lshr_b32 s11, s6, 8
	v_cmp_gt_i32_e32 vcc, s11, v10
	s_and_saveexec_b64 s[4:5], vcc
	s_cbranch_execz .LBB354_7
; %bb.1:
	s_load_dwordx2 s[8:9], s[0:1], 0x10
	v_cmp_lt_i32_e32 vcc, 0, v10
	v_mov_b64_e32 v[2:3], 0
	s_mul_i32 s2, s6, s3
	v_mov_b64_e32 v[4:5], 0
	s_and_saveexec_b64 s[4:5], vcc
	s_cbranch_execz .LBB354_3
; %bb.2:
	s_mul_i32 s7, s11, 0xff
	s_mul_i32 s3, s6, s3
	s_add_i32 s7, s7, s3
	v_add3_u32 v2, v10, s7, -1
	v_mov_b32_e32 v3, 0
	s_waitcnt lgkmcnt(0)
	v_lshl_add_u64 v[2:3], v[2:3], 4, s[8:9]
	global_load_dwordx4 v[2:5], v[2:3], off
.LBB354_3:
	s_or_b64 exec, exec, s[4:5]
	v_add_u32_e32 v1, 0x100, v10
	v_cmp_le_u32_e32 vcc, s6, v1
	s_and_saveexec_b64 s[4:5], vcc
	s_xor_b64 s[4:5], exec, s[4:5]
	s_or_saveexec_b64 s[4:5], s[4:5]
	v_mov_b64_e32 v[6:7], 0
	v_mov_b32_e32 v12, s2
	v_mov_b64_e32 v[8:9], 0
	s_xor_b64 exec, exec, s[4:5]
	s_cbranch_execz .LBB354_5
; %bb.4:
	s_ashr_i32 s3, s2, 31
	v_ashrrev_i32_e32 v11, 31, v10
	v_lshl_add_u64 v[6:7], v[10:11], 0, s[2:3]
	s_waitcnt lgkmcnt(0)
	v_lshl_add_u64 v[6:7], v[6:7], 4, s[8:9]
	global_load_dwordx4 v[6:9], v[6:7], off offset:16
	v_mov_b32_e32 v12, s2
.LBB354_5:
	s_or_b64 exec, exec, s[4:5]
	s_load_dwordx4 s[4:7], s[0:1], 0x18
	s_lshl_b32 s0, s11, 1
	s_add_i32 s10, s10, s11
	v_add_u32_e32 v10, s0, v10
	v_add_u32_e32 v0, s10, v0
	s_movk_i32 s1, 0xfe
.LBB354_6:                              ; =>This Inner Loop Header: Depth=1
	v_ashrrev_i32_e32 v1, 31, v0
	v_add_u32_e32 v14, v12, v0
	v_lshlrev_b64 v[16:17], 4, v[0:1]
	v_ashrrev_i32_e32 v15, 31, v14
	s_waitcnt lgkmcnt(0)
	v_lshl_add_u64 v[26:27], s[4:5], 0, v[16:17]
	v_lshl_add_u64 v[34:35], v[14:15], 4, s[8:9]
	;; [unrolled: 1-line block ×3, first 2 shown]
	global_load_dwordx4 v[14:17], v[26:27], off
	global_load_dwordx4 v[18:21], v[28:29], off
	;; [unrolled: 1-line block ×3, first 2 shown]
	v_ashrrev_i32_e32 v11, 31, v10
	v_add_u32_e32 v26, v12, v10
	v_lshlrev_b64 v[28:29], 4, v[10:11]
	v_ashrrev_i32_e32 v27, 31, v26
	v_lshl_add_u64 v[38:39], s[4:5], 0, v[28:29]
	v_lshl_add_u64 v[40:41], s[6:7], 0, v[28:29]
	;; [unrolled: 1-line block ×3, first 2 shown]
	global_load_dwordx4 v[26:29], v[38:39], off
	global_load_dwordx4 v[30:33], v[40:41], off
	s_add_i32 s1, s1, -2
	v_add_u32_e32 v10, s0, v10
	v_add_u32_e32 v0, s0, v0
	s_cmp_lg_u32 s1, 0
	s_waitcnt vmcnt(4)
	v_mul_f64 v[38:39], v[4:5], -v[16:17]
	v_mul_f64 v[40:41], v[4:5], v[14:15]
	s_waitcnt vmcnt(3)
	v_mul_f64 v[42:43], v[8:9], -v[20:21]
	v_mul_f64 v[44:45], v[8:9], v[18:19]
	v_fmac_f64_e32 v[38:39], v[14:15], v[2:3]
	v_fmac_f64_e32 v[40:41], v[16:17], v[2:3]
	;; [unrolled: 1-line block ×4, first 2 shown]
	s_waitcnt vmcnt(2)
	v_add_f64 v[14:15], v[22:23], -v[38:39]
	v_add_f64 v[16:17], v[24:25], -v[40:41]
	;; [unrolled: 1-line block ×4, first 2 shown]
	global_store_dwordx4 v[34:35], v[14:17], off
	global_load_dwordx4 v[14:17], v[36:37], off
	s_waitcnt vmcnt(3)
	v_mul_f64 v[18:19], v[4:5], -v[28:29]
	v_mul_f64 v[20:21], v[4:5], v[26:27]
	s_waitcnt vmcnt(2)
	v_mul_f64 v[22:23], v[8:9], -v[32:33]
	v_mul_f64 v[24:25], v[8:9], v[30:31]
	v_fmac_f64_e32 v[18:19], v[26:27], v[2:3]
	v_fmac_f64_e32 v[20:21], v[28:29], v[2:3]
	;; [unrolled: 1-line block ×4, first 2 shown]
	s_waitcnt vmcnt(0)
	v_add_f64 v[14:15], v[14:15], -v[18:19]
	v_add_f64 v[16:17], v[16:17], -v[20:21]
	;; [unrolled: 1-line block ×4, first 2 shown]
	global_store_dwordx4 v[36:37], v[14:17], off
	s_cbranch_scc1 .LBB354_6
.LBB354_7:
	s_endpgm
	.section	.rodata,"a",@progbits
	.p2align	6, 0x0
	.amdhsa_kernel _ZN9rocsparseL39gtsv_spike_backward_substitution_kernelILj256ELj256E21rocsparse_complex_numIdEEEviiiPT1_PKS3_S6_
		.amdhsa_group_segment_fixed_size 0
		.amdhsa_private_segment_fixed_size 0
		.amdhsa_kernarg_size 40
		.amdhsa_user_sgpr_count 2
		.amdhsa_user_sgpr_dispatch_ptr 0
		.amdhsa_user_sgpr_queue_ptr 0
		.amdhsa_user_sgpr_kernarg_segment_ptr 1
		.amdhsa_user_sgpr_dispatch_id 0
		.amdhsa_user_sgpr_kernarg_preload_length 0
		.amdhsa_user_sgpr_kernarg_preload_offset 0
		.amdhsa_user_sgpr_private_segment_size 0
		.amdhsa_uses_dynamic_stack 0
		.amdhsa_enable_private_segment 0
		.amdhsa_system_sgpr_workgroup_id_x 1
		.amdhsa_system_sgpr_workgroup_id_y 1
		.amdhsa_system_sgpr_workgroup_id_z 0
		.amdhsa_system_sgpr_workgroup_info 0
		.amdhsa_system_vgpr_workitem_id 0
		.amdhsa_next_free_vgpr 46
		.amdhsa_next_free_sgpr 12
		.amdhsa_accum_offset 48
		.amdhsa_reserve_vcc 1
		.amdhsa_float_round_mode_32 0
		.amdhsa_float_round_mode_16_64 0
		.amdhsa_float_denorm_mode_32 3
		.amdhsa_float_denorm_mode_16_64 3
		.amdhsa_dx10_clamp 1
		.amdhsa_ieee_mode 1
		.amdhsa_fp16_overflow 0
		.amdhsa_tg_split 0
		.amdhsa_exception_fp_ieee_invalid_op 0
		.amdhsa_exception_fp_denorm_src 0
		.amdhsa_exception_fp_ieee_div_zero 0
		.amdhsa_exception_fp_ieee_overflow 0
		.amdhsa_exception_fp_ieee_underflow 0
		.amdhsa_exception_fp_ieee_inexact 0
		.amdhsa_exception_int_div_zero 0
	.end_amdhsa_kernel
	.section	.text._ZN9rocsparseL39gtsv_spike_backward_substitution_kernelILj256ELj256E21rocsparse_complex_numIdEEEviiiPT1_PKS3_S6_,"axG",@progbits,_ZN9rocsparseL39gtsv_spike_backward_substitution_kernelILj256ELj256E21rocsparse_complex_numIdEEEviiiPT1_PKS3_S6_,comdat
.Lfunc_end354:
	.size	_ZN9rocsparseL39gtsv_spike_backward_substitution_kernelILj256ELj256E21rocsparse_complex_numIdEEEviiiPT1_PKS3_S6_, .Lfunc_end354-_ZN9rocsparseL39gtsv_spike_backward_substitution_kernelILj256ELj256E21rocsparse_complex_numIdEEEviiiPT1_PKS3_S6_
                                        ; -- End function
	.set _ZN9rocsparseL39gtsv_spike_backward_substitution_kernelILj256ELj256E21rocsparse_complex_numIdEEEviiiPT1_PKS3_S6_.num_vgpr, 46
	.set _ZN9rocsparseL39gtsv_spike_backward_substitution_kernelILj256ELj256E21rocsparse_complex_numIdEEEviiiPT1_PKS3_S6_.num_agpr, 0
	.set _ZN9rocsparseL39gtsv_spike_backward_substitution_kernelILj256ELj256E21rocsparse_complex_numIdEEEviiiPT1_PKS3_S6_.numbered_sgpr, 12
	.set _ZN9rocsparseL39gtsv_spike_backward_substitution_kernelILj256ELj256E21rocsparse_complex_numIdEEEviiiPT1_PKS3_S6_.num_named_barrier, 0
	.set _ZN9rocsparseL39gtsv_spike_backward_substitution_kernelILj256ELj256E21rocsparse_complex_numIdEEEviiiPT1_PKS3_S6_.private_seg_size, 0
	.set _ZN9rocsparseL39gtsv_spike_backward_substitution_kernelILj256ELj256E21rocsparse_complex_numIdEEEviiiPT1_PKS3_S6_.uses_vcc, 1
	.set _ZN9rocsparseL39gtsv_spike_backward_substitution_kernelILj256ELj256E21rocsparse_complex_numIdEEEviiiPT1_PKS3_S6_.uses_flat_scratch, 0
	.set _ZN9rocsparseL39gtsv_spike_backward_substitution_kernelILj256ELj256E21rocsparse_complex_numIdEEEviiiPT1_PKS3_S6_.has_dyn_sized_stack, 0
	.set _ZN9rocsparseL39gtsv_spike_backward_substitution_kernelILj256ELj256E21rocsparse_complex_numIdEEEviiiPT1_PKS3_S6_.has_recursion, 0
	.set _ZN9rocsparseL39gtsv_spike_backward_substitution_kernelILj256ELj256E21rocsparse_complex_numIdEEEviiiPT1_PKS3_S6_.has_indirect_call, 0
	.section	.AMDGPU.csdata,"",@progbits
; Kernel info:
; codeLenInByte = 600
; TotalNumSgprs: 18
; NumVgprs: 46
; NumAgprs: 0
; TotalNumVgprs: 46
; ScratchSize: 0
; MemoryBound: 0
; FloatMode: 240
; IeeeMode: 1
; LDSByteSize: 0 bytes/workgroup (compile time only)
; SGPRBlocks: 2
; VGPRBlocks: 5
; NumSGPRsForWavesPerEU: 18
; NumVGPRsForWavesPerEU: 46
; AccumOffset: 48
; Occupancy: 8
; WaveLimiterHint : 0
; COMPUTE_PGM_RSRC2:SCRATCH_EN: 0
; COMPUTE_PGM_RSRC2:USER_SGPR: 2
; COMPUTE_PGM_RSRC2:TRAP_HANDLER: 0
; COMPUTE_PGM_RSRC2:TGID_X_EN: 1
; COMPUTE_PGM_RSRC2:TGID_Y_EN: 1
; COMPUTE_PGM_RSRC2:TGID_Z_EN: 0
; COMPUTE_PGM_RSRC2:TIDIG_COMP_CNT: 0
; COMPUTE_PGM_RSRC3_GFX90A:ACCUM_OFFSET: 11
; COMPUTE_PGM_RSRC3_GFX90A:TG_SPLIT: 0
	.section	.text._ZN9rocsparseL32gtsv_transpose_back_array_kernelILj256ELj256E21rocsparse_complex_numIdEEEviiiPKT1_PS3_,"axG",@progbits,_ZN9rocsparseL32gtsv_transpose_back_array_kernelILj256ELj256E21rocsparse_complex_numIdEEEviiiPKT1_PS3_,comdat
	.globl	_ZN9rocsparseL32gtsv_transpose_back_array_kernelILj256ELj256E21rocsparse_complex_numIdEEEviiiPKT1_PS3_ ; -- Begin function _ZN9rocsparseL32gtsv_transpose_back_array_kernelILj256ELj256E21rocsparse_complex_numIdEEEviiiPKT1_PS3_
	.p2align	8
	.type	_ZN9rocsparseL32gtsv_transpose_back_array_kernelILj256ELj256E21rocsparse_complex_numIdEEEviiiPKT1_PS3_,@function
_ZN9rocsparseL32gtsv_transpose_back_array_kernelILj256ELj256E21rocsparse_complex_numIdEEEviiiPKT1_PS3_: ; @_ZN9rocsparseL32gtsv_transpose_back_array_kernelILj256ELj256E21rocsparse_complex_numIdEEEviiiPKT1_PS3_
; %bb.0:
	s_load_dwordx4 s[4:7], s[0:1], 0x0
	v_lshl_or_b32 v0, s2, 8, v0
	v_lshlrev_b32_e32 v2, 8, v0
	s_waitcnt lgkmcnt(0)
	v_cvt_f32_u32_e32 v1, s5
	s_sub_i32 s2, 0, s5
	v_rcp_iflag_f32_e32 v1, v1
	s_nop 0
	v_mul_f32_e32 v1, 0x4f7ffffe, v1
	v_cvt_u32_f32_e32 v1, v1
	v_mul_lo_u32 v3, s2, v1
	v_mul_hi_u32 v3, v1, v3
	v_add_u32_e32 v1, v1, v3
	v_mul_hi_u32 v1, v2, v1
	v_mul_lo_u32 v3, v1, s5
	v_sub_u32_e32 v3, v2, v3
	v_add_u32_e32 v4, 1, v1
	v_cmp_le_u32_e32 vcc, s5, v3
	s_nop 1
	v_cndmask_b32_e32 v1, v1, v4, vcc
	v_subrev_u32_e32 v4, s5, v3
	v_cndmask_b32_e32 v3, v3, v4, vcc
	v_add_u32_e32 v4, 1, v1
	v_cmp_le_u32_e32 vcc, s5, v3
	s_nop 1
	v_cndmask_b32_e32 v1, v1, v4, vcc
	v_mul_lo_u32 v3, v1, s5
	v_sub_u32_e32 v2, v2, v3
	v_add_u32_e32 v1, v1, v2
	v_cmp_gt_i32_e32 vcc, s4, v1
	s_and_saveexec_b64 s[8:9], vcc
	s_cbranch_execz .LBB355_2
; %bb.1:
	s_load_dwordx4 s[8:11], s[0:1], 0x10
	s_mul_i32 s0, s5, s3
	v_add_u32_e32 v2, s0, v0
	v_ashrrev_i32_e32 v3, 31, v2
	s_mul_i32 s0, s6, s3
	s_waitcnt lgkmcnt(0)
	v_lshl_add_u64 v[2:3], v[2:3], 4, s[8:9]
	global_load_dwordx4 v[2:5], v[2:3], off
	v_add_u32_e32 v0, s0, v1
	v_ashrrev_i32_e32 v1, 31, v0
	v_lshl_add_u64 v[0:1], v[0:1], 4, s[10:11]
	s_waitcnt vmcnt(0)
	global_store_dwordx4 v[0:1], v[2:5], off
.LBB355_2:
	s_endpgm
	.section	.rodata,"a",@progbits
	.p2align	6, 0x0
	.amdhsa_kernel _ZN9rocsparseL32gtsv_transpose_back_array_kernelILj256ELj256E21rocsparse_complex_numIdEEEviiiPKT1_PS3_
		.amdhsa_group_segment_fixed_size 0
		.amdhsa_private_segment_fixed_size 0
		.amdhsa_kernarg_size 32
		.amdhsa_user_sgpr_count 2
		.amdhsa_user_sgpr_dispatch_ptr 0
		.amdhsa_user_sgpr_queue_ptr 0
		.amdhsa_user_sgpr_kernarg_segment_ptr 1
		.amdhsa_user_sgpr_dispatch_id 0
		.amdhsa_user_sgpr_kernarg_preload_length 0
		.amdhsa_user_sgpr_kernarg_preload_offset 0
		.amdhsa_user_sgpr_private_segment_size 0
		.amdhsa_uses_dynamic_stack 0
		.amdhsa_enable_private_segment 0
		.amdhsa_system_sgpr_workgroup_id_x 1
		.amdhsa_system_sgpr_workgroup_id_y 1
		.amdhsa_system_sgpr_workgroup_id_z 0
		.amdhsa_system_sgpr_workgroup_info 0
		.amdhsa_system_vgpr_workitem_id 0
		.amdhsa_next_free_vgpr 6
		.amdhsa_next_free_sgpr 12
		.amdhsa_accum_offset 8
		.amdhsa_reserve_vcc 1
		.amdhsa_float_round_mode_32 0
		.amdhsa_float_round_mode_16_64 0
		.amdhsa_float_denorm_mode_32 3
		.amdhsa_float_denorm_mode_16_64 3
		.amdhsa_dx10_clamp 1
		.amdhsa_ieee_mode 1
		.amdhsa_fp16_overflow 0
		.amdhsa_tg_split 0
		.amdhsa_exception_fp_ieee_invalid_op 0
		.amdhsa_exception_fp_denorm_src 0
		.amdhsa_exception_fp_ieee_div_zero 0
		.amdhsa_exception_fp_ieee_overflow 0
		.amdhsa_exception_fp_ieee_underflow 0
		.amdhsa_exception_fp_ieee_inexact 0
		.amdhsa_exception_int_div_zero 0
	.end_amdhsa_kernel
	.section	.text._ZN9rocsparseL32gtsv_transpose_back_array_kernelILj256ELj256E21rocsparse_complex_numIdEEEviiiPKT1_PS3_,"axG",@progbits,_ZN9rocsparseL32gtsv_transpose_back_array_kernelILj256ELj256E21rocsparse_complex_numIdEEEviiiPKT1_PS3_,comdat
.Lfunc_end355:
	.size	_ZN9rocsparseL32gtsv_transpose_back_array_kernelILj256ELj256E21rocsparse_complex_numIdEEEviiiPKT1_PS3_, .Lfunc_end355-_ZN9rocsparseL32gtsv_transpose_back_array_kernelILj256ELj256E21rocsparse_complex_numIdEEEviiiPKT1_PS3_
                                        ; -- End function
	.set _ZN9rocsparseL32gtsv_transpose_back_array_kernelILj256ELj256E21rocsparse_complex_numIdEEEviiiPKT1_PS3_.num_vgpr, 6
	.set _ZN9rocsparseL32gtsv_transpose_back_array_kernelILj256ELj256E21rocsparse_complex_numIdEEEviiiPKT1_PS3_.num_agpr, 0
	.set _ZN9rocsparseL32gtsv_transpose_back_array_kernelILj256ELj256E21rocsparse_complex_numIdEEEviiiPKT1_PS3_.numbered_sgpr, 12
	.set _ZN9rocsparseL32gtsv_transpose_back_array_kernelILj256ELj256E21rocsparse_complex_numIdEEEviiiPKT1_PS3_.num_named_barrier, 0
	.set _ZN9rocsparseL32gtsv_transpose_back_array_kernelILj256ELj256E21rocsparse_complex_numIdEEEviiiPKT1_PS3_.private_seg_size, 0
	.set _ZN9rocsparseL32gtsv_transpose_back_array_kernelILj256ELj256E21rocsparse_complex_numIdEEEviiiPKT1_PS3_.uses_vcc, 1
	.set _ZN9rocsparseL32gtsv_transpose_back_array_kernelILj256ELj256E21rocsparse_complex_numIdEEEviiiPKT1_PS3_.uses_flat_scratch, 0
	.set _ZN9rocsparseL32gtsv_transpose_back_array_kernelILj256ELj256E21rocsparse_complex_numIdEEEviiiPKT1_PS3_.has_dyn_sized_stack, 0
	.set _ZN9rocsparseL32gtsv_transpose_back_array_kernelILj256ELj256E21rocsparse_complex_numIdEEEviiiPKT1_PS3_.has_recursion, 0
	.set _ZN9rocsparseL32gtsv_transpose_back_array_kernelILj256ELj256E21rocsparse_complex_numIdEEEviiiPKT1_PS3_.has_indirect_call, 0
	.section	.AMDGPU.csdata,"",@progbits
; Kernel info:
; codeLenInByte = 236
; TotalNumSgprs: 18
; NumVgprs: 6
; NumAgprs: 0
; TotalNumVgprs: 6
; ScratchSize: 0
; MemoryBound: 0
; FloatMode: 240
; IeeeMode: 1
; LDSByteSize: 0 bytes/workgroup (compile time only)
; SGPRBlocks: 2
; VGPRBlocks: 0
; NumSGPRsForWavesPerEU: 18
; NumVGPRsForWavesPerEU: 6
; AccumOffset: 8
; Occupancy: 8
; WaveLimiterHint : 0
; COMPUTE_PGM_RSRC2:SCRATCH_EN: 0
; COMPUTE_PGM_RSRC2:USER_SGPR: 2
; COMPUTE_PGM_RSRC2:TRAP_HANDLER: 0
; COMPUTE_PGM_RSRC2:TGID_X_EN: 1
; COMPUTE_PGM_RSRC2:TGID_Y_EN: 1
; COMPUTE_PGM_RSRC2:TGID_Z_EN: 0
; COMPUTE_PGM_RSRC2:TIDIG_COMP_CNT: 0
; COMPUTE_PGM_RSRC3_GFX90A:ACCUM_OFFSET: 1
; COMPUTE_PGM_RSRC3_GFX90A:TG_SPLIT: 0
	.section	.AMDGPU.gpr_maximums,"",@progbits
	.set amdgpu.max_num_vgpr, 0
	.set amdgpu.max_num_agpr, 0
	.set amdgpu.max_num_sgpr, 0
	.section	.AMDGPU.csdata,"",@progbits
	.type	__hip_cuid_207135939f98e998,@object ; @__hip_cuid_207135939f98e998
	.section	.bss,"aw",@nobits
	.globl	__hip_cuid_207135939f98e998
__hip_cuid_207135939f98e998:
	.byte	0                               ; 0x0
	.size	__hip_cuid_207135939f98e998, 1

	.ident	"AMD clang version 22.0.0git (https://github.com/RadeonOpenCompute/llvm-project roc-7.2.4 26084 f58b06dce1f9c15707c5f808fd002e18c2accf7e)"
	.section	".note.GNU-stack","",@progbits
	.addrsig
	.addrsig_sym __hip_cuid_207135939f98e998
	.amdgpu_metadata
---
amdhsa.kernels:
  - .agpr_count:     0
    .args:
      - .offset:         0
        .size:           4
        .value_kind:     by_value
      - .offset:         4
        .size:           4
        .value_kind:     by_value
      - .offset:         8
        .size:           4
        .value_kind:     by_value
      - .actual_access:  read_only
        .address_space:  global
        .offset:         16
        .size:           8
        .value_kind:     global_buffer
      - .actual_access:  write_only
        .address_space:  global
        .offset:         24
        .size:           8
        .value_kind:     global_buffer
      - .offset:         32
        .size:           4
        .value_kind:     by_value
    .group_segment_fixed_size: 1024
    .kernarg_segment_align: 8
    .kernarg_segment_size: 36
    .language:       OpenCL C
    .language_version:
      - 2
      - 0
    .max_flat_workgroup_size: 256
    .name:           _ZN9rocsparseL42gtsv_transpose_and_pad_array_shared_kernelILj256ELj2EfEEviiiPKT1_PS1_S1_
    .private_segment_fixed_size: 0
    .sgpr_count:     18
    .sgpr_spill_count: 0
    .symbol:         _ZN9rocsparseL42gtsv_transpose_and_pad_array_shared_kernelILj256ELj2EfEEviiiPKT1_PS1_S1_.kd
    .uniform_work_group_size: 1
    .uses_dynamic_stack: false
    .vgpr_count:     5
    .vgpr_spill_count: 0
    .wavefront_size: 64
  - .agpr_count:     0
    .args:
      - .offset:         0
        .size:           4
        .value_kind:     by_value
      - .offset:         4
        .size:           4
        .value_kind:     by_value
      - .offset:         8
        .size:           4
        .value_kind:     by_value
      - .actual_access:  read_only
        .address_space:  global
        .offset:         16
        .size:           8
        .value_kind:     global_buffer
      - .actual_access:  read_only
        .address_space:  global
        .offset:         24
        .size:           8
        .value_kind:     global_buffer
      - .actual_access:  read_only
        .address_space:  global
        .offset:         32
        .size:           8
        .value_kind:     global_buffer
      - .address_space:  global
        .offset:         40
        .size:           8
        .value_kind:     global_buffer
      - .address_space:  global
        .offset:         48
        .size:           8
        .value_kind:     global_buffer
      - .address_space:  global
        .offset:         56
        .size:           8
        .value_kind:     global_buffer
      - .address_space:  global
        .offset:         64
        .size:           8
        .value_kind:     global_buffer
    .group_segment_fixed_size: 0
    .kernarg_segment_align: 8
    .kernarg_segment_size: 72
    .language:       OpenCL C
    .language_version:
      - 2
      - 0
    .max_flat_workgroup_size: 256
    .name:           _ZN9rocsparseL18gtsv_LBM_wv_kernelILj256ELj2EfEEviiiPKT1_S3_S3_PS1_S4_S4_Pi
    .private_segment_fixed_size: 0
    .sgpr_count:     33
    .sgpr_spill_count: 0
    .symbol:         _ZN9rocsparseL18gtsv_LBM_wv_kernelILj256ELj2EfEEviiiPKT1_S3_S3_PS1_S4_S4_Pi.kd
    .uniform_work_group_size: 1
    .uses_dynamic_stack: false
    .vgpr_count:     37
    .vgpr_spill_count: 0
    .wavefront_size: 64
  - .agpr_count:     0
    .args:
      - .offset:         0
        .size:           4
        .value_kind:     by_value
      - .offset:         4
        .size:           4
        .value_kind:     by_value
      - .offset:         8
        .size:           4
        .value_kind:     by_value
      - .actual_access:  read_only
        .address_space:  global
        .offset:         16
        .size:           8
        .value_kind:     global_buffer
      - .actual_access:  read_only
        .address_space:  global
        .offset:         24
        .size:           8
        .value_kind:     global_buffer
      - .actual_access:  read_only
        .address_space:  global
        .offset:         32
        .size:           8
        .value_kind:     global_buffer
      - .address_space:  global
        .offset:         40
        .size:           8
        .value_kind:     global_buffer
      - .actual_access:  read_only
        .address_space:  global
        .offset:         48
        .size:           8
        .value_kind:     global_buffer
      - .actual_access:  read_only
        .address_space:  global
        .offset:         56
        .size:           8
        .value_kind:     global_buffer
    .group_segment_fixed_size: 0
    .kernarg_segment_align: 8
    .kernarg_segment_size: 64
    .language:       OpenCL C
    .language_version:
      - 2
      - 0
    .max_flat_workgroup_size: 256
    .name:           _ZN9rocsparseL19gtsv_LBM_rhs_kernelILj256ELj2ELj8EfEEviiiPKT2_S3_S3_PS1_S3_PKi
    .private_segment_fixed_size: 0
    .sgpr_count:     38
    .sgpr_spill_count: 0
    .symbol:         _ZN9rocsparseL19gtsv_LBM_rhs_kernelILj256ELj2ELj8EfEEviiiPKT2_S3_S3_PS1_S3_PKi.kd
    .uniform_work_group_size: 1
    .uses_dynamic_stack: false
    .vgpr_count:     60
    .vgpr_spill_count: 0
    .wavefront_size: 64
  - .agpr_count:     0
    .args:
      - .offset:         0
        .size:           4
        .value_kind:     by_value
      - .offset:         4
        .size:           4
        .value_kind:     by_value
      - .offset:         8
        .size:           4
        .value_kind:     by_value
      - .actual_access:  read_only
        .address_space:  global
        .offset:         16
        .size:           8
        .value_kind:     global_buffer
      - .actual_access:  read_only
        .address_space:  global
        .offset:         24
        .size:           8
        .value_kind:     global_buffer
      - .actual_access:  read_only
        .address_space:  global
        .offset:         32
        .size:           8
        .value_kind:     global_buffer
      - .address_space:  global
        .offset:         40
        .size:           8
        .value_kind:     global_buffer
      - .actual_access:  read_only
        .address_space:  global
        .offset:         48
        .size:           8
        .value_kind:     global_buffer
      - .actual_access:  read_only
        .address_space:  global
        .offset:         56
        .size:           8
        .value_kind:     global_buffer
    .group_segment_fixed_size: 0
    .kernarg_segment_align: 8
    .kernarg_segment_size: 64
    .language:       OpenCL C
    .language_version:
      - 2
      - 0
    .max_flat_workgroup_size: 256
    .name:           _ZN9rocsparseL19gtsv_LBM_rhs_kernelILj256ELj2ELj4EfEEviiiPKT2_S3_S3_PS1_S3_PKi
    .private_segment_fixed_size: 0
    .sgpr_count:     34
    .sgpr_spill_count: 0
    .symbol:         _ZN9rocsparseL19gtsv_LBM_rhs_kernelILj256ELj2ELj4EfEEviiiPKT2_S3_S3_PS1_S3_PKi.kd
    .uniform_work_group_size: 1
    .uses_dynamic_stack: false
    .vgpr_count:     38
    .vgpr_spill_count: 0
    .wavefront_size: 64
  - .agpr_count:     0
    .args:
      - .offset:         0
        .size:           4
        .value_kind:     by_value
      - .offset:         4
        .size:           4
        .value_kind:     by_value
      - .offset:         8
        .size:           4
        .value_kind:     by_value
      - .actual_access:  read_only
        .address_space:  global
        .offset:         16
        .size:           8
        .value_kind:     global_buffer
      - .actual_access:  read_only
        .address_space:  global
        .offset:         24
        .size:           8
        .value_kind:     global_buffer
      - .actual_access:  read_only
        .address_space:  global
        .offset:         32
        .size:           8
        .value_kind:     global_buffer
      - .address_space:  global
        .offset:         40
        .size:           8
        .value_kind:     global_buffer
      - .actual_access:  read_only
        .address_space:  global
        .offset:         48
        .size:           8
        .value_kind:     global_buffer
      - .actual_access:  read_only
        .address_space:  global
        .offset:         56
        .size:           8
        .value_kind:     global_buffer
    .group_segment_fixed_size: 0
    .kernarg_segment_align: 8
    .kernarg_segment_size: 64
    .language:       OpenCL C
    .language_version:
      - 2
      - 0
    .max_flat_workgroup_size: 256
    .name:           _ZN9rocsparseL19gtsv_LBM_rhs_kernelILj256ELj2ELj2EfEEviiiPKT2_S3_S3_PS1_S3_PKi
    .private_segment_fixed_size: 0
    .sgpr_count:     32
    .sgpr_spill_count: 0
    .symbol:         _ZN9rocsparseL19gtsv_LBM_rhs_kernelILj256ELj2ELj2EfEEviiiPKT2_S3_S3_PS1_S3_PKi.kd
    .uniform_work_group_size: 1
    .uses_dynamic_stack: false
    .vgpr_count:     26
    .vgpr_spill_count: 0
    .wavefront_size: 64
  - .agpr_count:     0
    .args:
      - .offset:         0
        .size:           4
        .value_kind:     by_value
      - .offset:         4
        .size:           4
        .value_kind:     by_value
      - .offset:         8
        .size:           4
        .value_kind:     by_value
      - .actual_access:  read_only
        .address_space:  global
        .offset:         16
        .size:           8
        .value_kind:     global_buffer
      - .actual_access:  read_only
        .address_space:  global
        .offset:         24
        .size:           8
        .value_kind:     global_buffer
      - .actual_access:  read_only
        .address_space:  global
        .offset:         32
        .size:           8
        .value_kind:     global_buffer
      - .address_space:  global
        .offset:         40
        .size:           8
        .value_kind:     global_buffer
      - .actual_access:  read_only
        .address_space:  global
        .offset:         48
        .size:           8
        .value_kind:     global_buffer
      - .actual_access:  read_only
        .address_space:  global
        .offset:         56
        .size:           8
        .value_kind:     global_buffer
    .group_segment_fixed_size: 0
    .kernarg_segment_align: 8
    .kernarg_segment_size: 64
    .language:       OpenCL C
    .language_version:
      - 2
      - 0
    .max_flat_workgroup_size: 256
    .name:           _ZN9rocsparseL19gtsv_LBM_rhs_kernelILj256ELj2ELj1EfEEviiiPKT2_S3_S3_PS1_S3_PKi
    .private_segment_fixed_size: 0
    .sgpr_count:     30
    .sgpr_spill_count: 0
    .symbol:         _ZN9rocsparseL19gtsv_LBM_rhs_kernelILj256ELj2ELj1EfEEviiiPKT2_S3_S3_PS1_S3_PKi.kd
    .uniform_work_group_size: 1
    .uses_dynamic_stack: false
    .vgpr_count:     21
    .vgpr_spill_count: 0
    .wavefront_size: 64
  - .agpr_count:     0
    .args:
      - .offset:         0
        .size:           4
        .value_kind:     by_value
      - .offset:         4
        .size:           4
        .value_kind:     by_value
      - .offset:         8
        .size:           4
        .value_kind:     by_value
      - .address_space:  global
        .offset:         16
        .size:           8
        .value_kind:     global_buffer
      - .actual_access:  read_only
        .address_space:  global
        .offset:         24
        .size:           8
        .value_kind:     global_buffer
      - .actual_access:  read_only
        .address_space:  global
        .offset:         32
        .size:           8
        .value_kind:     global_buffer
      - .actual_access:  write_only
        .address_space:  global
        .offset:         40
        .size:           8
        .value_kind:     global_buffer
      - .actual_access:  write_only
        .address_space:  global
        .offset:         48
        .size:           8
        .value_kind:     global_buffer
      - .actual_access:  write_only
        .address_space:  global
        .offset:         56
        .size:           8
        .value_kind:     global_buffer
      - .actual_access:  write_only
        .address_space:  global
        .offset:         64
        .size:           8
        .value_kind:     global_buffer
      - .actual_access:  write_only
        .address_space:  global
        .offset:         72
        .size:           8
        .value_kind:     global_buffer
      - .offset:         80
        .size:           4
        .value_kind:     hidden_block_count_x
      - .offset:         84
        .size:           4
        .value_kind:     hidden_block_count_y
      - .offset:         88
        .size:           4
        .value_kind:     hidden_block_count_z
      - .offset:         92
        .size:           2
        .value_kind:     hidden_group_size_x
      - .offset:         94
        .size:           2
        .value_kind:     hidden_group_size_y
      - .offset:         96
        .size:           2
        .value_kind:     hidden_group_size_z
      - .offset:         98
        .size:           2
        .value_kind:     hidden_remainder_x
      - .offset:         100
        .size:           2
        .value_kind:     hidden_remainder_y
      - .offset:         102
        .size:           2
        .value_kind:     hidden_remainder_z
      - .offset:         120
        .size:           8
        .value_kind:     hidden_global_offset_x
      - .offset:         128
        .size:           8
        .value_kind:     hidden_global_offset_y
      - .offset:         136
        .size:           8
        .value_kind:     hidden_global_offset_z
      - .offset:         144
        .size:           2
        .value_kind:     hidden_grid_dims
    .group_segment_fixed_size: 6144
    .kernarg_segment_align: 8
    .kernarg_segment_size: 336
    .language:       OpenCL C
    .language_version:
      - 2
      - 0
    .max_flat_workgroup_size: 256
    .name:           _ZN9rocsparseL29gtsv_spike_block_level_kernelILj256ELj2EfEEviiiPT1_PKS1_S4_S2_S2_S2_S2_S2_
    .private_segment_fixed_size: 0
    .sgpr_count:     30
    .sgpr_spill_count: 0
    .symbol:         _ZN9rocsparseL29gtsv_spike_block_level_kernelILj256ELj2EfEEviiiPT1_PKS1_S4_S2_S2_S2_S2_S2_.kd
    .uniform_work_group_size: 1
    .uses_dynamic_stack: false
    .vgpr_count:     28
    .vgpr_spill_count: 0
    .wavefront_size: 64
  - .agpr_count:     0
    .args:
      - .offset:         0
        .size:           4
        .value_kind:     by_value
      - .offset:         4
        .size:           4
        .value_kind:     by_value
      - .offset:         8
        .size:           4
        .value_kind:     by_value
      - .address_space:  global
        .offset:         16
        .size:           8
        .value_kind:     global_buffer
      - .actual_access:  read_only
        .address_space:  global
        .offset:         24
        .size:           8
        .value_kind:     global_buffer
      - .actual_access:  read_only
        .address_space:  global
        .offset:         32
        .size:           8
        .value_kind:     global_buffer
    .group_segment_fixed_size: 48
    .kernarg_segment_align: 8
    .kernarg_segment_size: 40
    .language:       OpenCL C
    .language_version:
      - 2
      - 0
    .max_flat_workgroup_size: 2
    .name:           _ZN9rocsparseL34gtsv_solve_spike_grid_level_kernelILj2EfEEviiiPT0_PKS1_S4_
    .private_segment_fixed_size: 0
    .sgpr_count:     16
    .sgpr_spill_count: 0
    .symbol:         _ZN9rocsparseL34gtsv_solve_spike_grid_level_kernelILj2EfEEviiiPT0_PKS1_S4_.kd
    .uniform_work_group_size: 1
    .uses_dynamic_stack: false
    .vgpr_count:     28
    .vgpr_spill_count: 0
    .wavefront_size: 64
  - .agpr_count:     0
    .args:
      - .offset:         0
        .size:           4
        .value_kind:     by_value
      - .offset:         4
        .size:           4
        .value_kind:     by_value
      - .offset:         8
        .size:           4
        .value_kind:     by_value
      - .address_space:  global
        .offset:         16
        .size:           8
        .value_kind:     global_buffer
      - .actual_access:  read_only
        .address_space:  global
        .offset:         24
        .size:           8
        .value_kind:     global_buffer
      - .actual_access:  read_only
        .address_space:  global
        .offset:         32
        .size:           8
        .value_kind:     global_buffer
    .group_segment_fixed_size: 96
    .kernarg_segment_align: 8
    .kernarg_segment_size: 40
    .language:       OpenCL C
    .language_version:
      - 2
      - 0
    .max_flat_workgroup_size: 4
    .name:           _ZN9rocsparseL34gtsv_solve_spike_grid_level_kernelILj4EfEEviiiPT0_PKS1_S4_
    .private_segment_fixed_size: 0
    .sgpr_count:     16
    .sgpr_spill_count: 0
    .symbol:         _ZN9rocsparseL34gtsv_solve_spike_grid_level_kernelILj4EfEEviiiPT0_PKS1_S4_.kd
    .uniform_work_group_size: 1
    .uses_dynamic_stack: false
    .vgpr_count:     27
    .vgpr_spill_count: 0
    .wavefront_size: 64
  - .agpr_count:     0
    .args:
      - .offset:         0
        .size:           4
        .value_kind:     by_value
      - .offset:         4
        .size:           4
        .value_kind:     by_value
      - .offset:         8
        .size:           4
        .value_kind:     by_value
      - .address_space:  global
        .offset:         16
        .size:           8
        .value_kind:     global_buffer
      - .actual_access:  read_only
        .address_space:  global
        .offset:         24
        .size:           8
        .value_kind:     global_buffer
      - .actual_access:  read_only
        .address_space:  global
        .offset:         32
        .size:           8
        .value_kind:     global_buffer
    .group_segment_fixed_size: 192
    .kernarg_segment_align: 8
    .kernarg_segment_size: 40
    .language:       OpenCL C
    .language_version:
      - 2
      - 0
    .max_flat_workgroup_size: 8
    .name:           _ZN9rocsparseL34gtsv_solve_spike_grid_level_kernelILj8EfEEviiiPT0_PKS1_S4_
    .private_segment_fixed_size: 0
    .sgpr_count:     16
    .sgpr_spill_count: 0
    .symbol:         _ZN9rocsparseL34gtsv_solve_spike_grid_level_kernelILj8EfEEviiiPT0_PKS1_S4_.kd
    .uniform_work_group_size: 1
    .uses_dynamic_stack: false
    .vgpr_count:     28
    .vgpr_spill_count: 0
    .wavefront_size: 64
  - .agpr_count:     0
    .args:
      - .offset:         0
        .size:           4
        .value_kind:     by_value
      - .offset:         4
        .size:           4
        .value_kind:     by_value
      - .offset:         8
        .size:           4
        .value_kind:     by_value
      - .address_space:  global
        .offset:         16
        .size:           8
        .value_kind:     global_buffer
      - .actual_access:  read_only
        .address_space:  global
        .offset:         24
        .size:           8
        .value_kind:     global_buffer
      - .actual_access:  read_only
        .address_space:  global
        .offset:         32
        .size:           8
        .value_kind:     global_buffer
    .group_segment_fixed_size: 384
    .kernarg_segment_align: 8
    .kernarg_segment_size: 40
    .language:       OpenCL C
    .language_version:
      - 2
      - 0
    .max_flat_workgroup_size: 16
    .name:           _ZN9rocsparseL34gtsv_solve_spike_grid_level_kernelILj16EfEEviiiPT0_PKS1_S4_
    .private_segment_fixed_size: 0
    .sgpr_count:     16
    .sgpr_spill_count: 0
    .symbol:         _ZN9rocsparseL34gtsv_solve_spike_grid_level_kernelILj16EfEEviiiPT0_PKS1_S4_.kd
    .uniform_work_group_size: 1
    .uses_dynamic_stack: false
    .vgpr_count:     28
    .vgpr_spill_count: 0
    .wavefront_size: 64
  - .agpr_count:     0
    .args:
      - .offset:         0
        .size:           4
        .value_kind:     by_value
      - .offset:         4
        .size:           4
        .value_kind:     by_value
      - .offset:         8
        .size:           4
        .value_kind:     by_value
      - .address_space:  global
        .offset:         16
        .size:           8
        .value_kind:     global_buffer
      - .actual_access:  read_only
        .address_space:  global
        .offset:         24
        .size:           8
        .value_kind:     global_buffer
      - .actual_access:  read_only
        .address_space:  global
        .offset:         32
        .size:           8
        .value_kind:     global_buffer
    .group_segment_fixed_size: 768
    .kernarg_segment_align: 8
    .kernarg_segment_size: 40
    .language:       OpenCL C
    .language_version:
      - 2
      - 0
    .max_flat_workgroup_size: 32
    .name:           _ZN9rocsparseL34gtsv_solve_spike_grid_level_kernelILj32EfEEviiiPT0_PKS1_S4_
    .private_segment_fixed_size: 0
    .sgpr_count:     18
    .sgpr_spill_count: 0
    .symbol:         _ZN9rocsparseL34gtsv_solve_spike_grid_level_kernelILj32EfEEviiiPT0_PKS1_S4_.kd
    .uniform_work_group_size: 1
    .uses_dynamic_stack: false
    .vgpr_count:     28
    .vgpr_spill_count: 0
    .wavefront_size: 64
  - .agpr_count:     0
    .args:
      - .offset:         0
        .size:           4
        .value_kind:     by_value
      - .offset:         4
        .size:           4
        .value_kind:     by_value
      - .offset:         8
        .size:           4
        .value_kind:     by_value
      - .address_space:  global
        .offset:         16
        .size:           8
        .value_kind:     global_buffer
      - .actual_access:  read_only
        .address_space:  global
        .offset:         24
        .size:           8
        .value_kind:     global_buffer
      - .actual_access:  read_only
        .address_space:  global
        .offset:         32
        .size:           8
        .value_kind:     global_buffer
    .group_segment_fixed_size: 1536
    .kernarg_segment_align: 8
    .kernarg_segment_size: 40
    .language:       OpenCL C
    .language_version:
      - 2
      - 0
    .max_flat_workgroup_size: 64
    .name:           _ZN9rocsparseL34gtsv_solve_spike_grid_level_kernelILj64EfEEviiiPT0_PKS1_S4_
    .private_segment_fixed_size: 0
    .sgpr_count:     21
    .sgpr_spill_count: 0
    .symbol:         _ZN9rocsparseL34gtsv_solve_spike_grid_level_kernelILj64EfEEviiiPT0_PKS1_S4_.kd
    .uniform_work_group_size: 1
    .uses_dynamic_stack: false
    .vgpr_count:     29
    .vgpr_spill_count: 0
    .wavefront_size: 64
  - .agpr_count:     0
    .args:
      - .offset:         0
        .size:           4
        .value_kind:     by_value
      - .offset:         4
        .size:           4
        .value_kind:     by_value
      - .offset:         8
        .size:           4
        .value_kind:     by_value
      - .address_space:  global
        .offset:         16
        .size:           8
        .value_kind:     global_buffer
      - .actual_access:  read_only
        .address_space:  global
        .offset:         24
        .size:           8
        .value_kind:     global_buffer
      - .actual_access:  read_only
        .address_space:  global
        .offset:         32
        .size:           8
        .value_kind:     global_buffer
    .group_segment_fixed_size: 3072
    .kernarg_segment_align: 8
    .kernarg_segment_size: 40
    .language:       OpenCL C
    .language_version:
      - 2
      - 0
    .max_flat_workgroup_size: 128
    .name:           _ZN9rocsparseL34gtsv_solve_spike_grid_level_kernelILj128EfEEviiiPT0_PKS1_S4_
    .private_segment_fixed_size: 0
    .sgpr_count:     22
    .sgpr_spill_count: 0
    .symbol:         _ZN9rocsparseL34gtsv_solve_spike_grid_level_kernelILj128EfEEviiiPT0_PKS1_S4_.kd
    .uniform_work_group_size: 1
    .uses_dynamic_stack: false
    .vgpr_count:     31
    .vgpr_spill_count: 0
    .wavefront_size: 64
  - .agpr_count:     0
    .args:
      - .offset:         0
        .size:           4
        .value_kind:     by_value
      - .offset:         4
        .size:           4
        .value_kind:     by_value
      - .offset:         8
        .size:           4
        .value_kind:     by_value
      - .address_space:  global
        .offset:         16
        .size:           8
        .value_kind:     global_buffer
      - .actual_access:  read_only
        .address_space:  global
        .offset:         24
        .size:           8
        .value_kind:     global_buffer
      - .actual_access:  read_only
        .address_space:  global
        .offset:         32
        .size:           8
        .value_kind:     global_buffer
    .group_segment_fixed_size: 6144
    .kernarg_segment_align: 8
    .kernarg_segment_size: 40
    .language:       OpenCL C
    .language_version:
      - 2
      - 0
    .max_flat_workgroup_size: 256
    .name:           _ZN9rocsparseL34gtsv_solve_spike_grid_level_kernelILj256EfEEviiiPT0_PKS1_S4_
    .private_segment_fixed_size: 0
    .sgpr_count:     24
    .sgpr_spill_count: 0
    .symbol:         _ZN9rocsparseL34gtsv_solve_spike_grid_level_kernelILj256EfEEviiiPT0_PKS1_S4_.kd
    .uniform_work_group_size: 1
    .uses_dynamic_stack: false
    .vgpr_count:     33
    .vgpr_spill_count: 0
    .wavefront_size: 64
  - .agpr_count:     0
    .args:
      - .offset:         0
        .size:           4
        .value_kind:     by_value
      - .offset:         4
        .size:           4
        .value_kind:     by_value
      - .offset:         8
        .size:           4
        .value_kind:     by_value
      - .address_space:  global
        .offset:         16
        .size:           8
        .value_kind:     global_buffer
      - .actual_access:  read_only
        .address_space:  global
        .offset:         24
        .size:           8
        .value_kind:     global_buffer
      - .actual_access:  read_only
        .address_space:  global
        .offset:         32
        .size:           8
        .value_kind:     global_buffer
    .group_segment_fixed_size: 12288
    .kernarg_segment_align: 8
    .kernarg_segment_size: 40
    .language:       OpenCL C
    .language_version:
      - 2
      - 0
    .max_flat_workgroup_size: 512
    .name:           _ZN9rocsparseL34gtsv_solve_spike_grid_level_kernelILj512EfEEviiiPT0_PKS1_S4_
    .private_segment_fixed_size: 0
    .sgpr_count:     26
    .sgpr_spill_count: 0
    .symbol:         _ZN9rocsparseL34gtsv_solve_spike_grid_level_kernelILj512EfEEviiiPT0_PKS1_S4_.kd
    .uniform_work_group_size: 1
    .uses_dynamic_stack: false
    .vgpr_count:     31
    .vgpr_spill_count: 0
    .wavefront_size: 64
  - .agpr_count:     0
    .args:
      - .offset:         0
        .size:           4
        .value_kind:     by_value
      - .offset:         4
        .size:           4
        .value_kind:     by_value
      - .offset:         8
        .size:           4
        .value_kind:     by_value
      - .address_space:  global
        .offset:         16
        .size:           8
        .value_kind:     global_buffer
      - .actual_access:  read_only
        .address_space:  global
        .offset:         24
        .size:           8
        .value_kind:     global_buffer
      - .actual_access:  read_only
        .address_space:  global
        .offset:         32
        .size:           8
        .value_kind:     global_buffer
      - .actual_access:  read_only
        .address_space:  global
        .offset:         40
        .size:           8
        .value_kind:     global_buffer
      - .offset:         48
        .size:           4
        .value_kind:     hidden_block_count_x
      - .offset:         52
        .size:           4
        .value_kind:     hidden_block_count_y
      - .offset:         56
        .size:           4
        .value_kind:     hidden_block_count_z
      - .offset:         60
        .size:           2
        .value_kind:     hidden_group_size_x
      - .offset:         62
        .size:           2
        .value_kind:     hidden_group_size_y
      - .offset:         64
        .size:           2
        .value_kind:     hidden_group_size_z
      - .offset:         66
        .size:           2
        .value_kind:     hidden_remainder_x
      - .offset:         68
        .size:           2
        .value_kind:     hidden_remainder_y
      - .offset:         70
        .size:           2
        .value_kind:     hidden_remainder_z
      - .offset:         88
        .size:           8
        .value_kind:     hidden_global_offset_x
      - .offset:         96
        .size:           8
        .value_kind:     hidden_global_offset_y
      - .offset:         104
        .size:           8
        .value_kind:     hidden_global_offset_z
      - .offset:         112
        .size:           2
        .value_kind:     hidden_grid_dims
    .group_segment_fixed_size: 6160
    .kernarg_segment_align: 8
    .kernarg_segment_size: 304
    .language:       OpenCL C
    .language_version:
      - 2
      - 0
    .max_flat_workgroup_size: 256
    .name:           _ZN9rocsparseL33gtsv_solve_spike_propagate_kernelILj256ELj2EfEEviiiPT1_PKS1_S4_S4_
    .private_segment_fixed_size: 0
    .sgpr_count:     22
    .sgpr_spill_count: 0
    .symbol:         _ZN9rocsparseL33gtsv_solve_spike_propagate_kernelILj256ELj2EfEEviiiPT1_PKS1_S4_S4_.kd
    .uniform_work_group_size: 1
    .uses_dynamic_stack: false
    .vgpr_count:     12
    .vgpr_spill_count: 0
    .wavefront_size: 64
  - .agpr_count:     0
    .args:
      - .offset:         0
        .size:           4
        .value_kind:     by_value
      - .offset:         4
        .size:           4
        .value_kind:     by_value
      - .offset:         8
        .size:           4
        .value_kind:     by_value
      - .actual_access:  read_only
        .address_space:  global
        .offset:         16
        .size:           8
        .value_kind:     global_buffer
      - .actual_access:  read_only
        .address_space:  global
        .offset:         24
        .size:           8
        .value_kind:     global_buffer
      - .actual_access:  read_only
        .address_space:  global
        .offset:         32
        .size:           8
        .value_kind:     global_buffer
    .group_segment_fixed_size: 0
    .kernarg_segment_align: 8
    .kernarg_segment_size: 40
    .language:       OpenCL C
    .language_version:
      - 2
      - 0
    .max_flat_workgroup_size: 256
    .name:           _ZN9rocsparseL39gtsv_spike_backward_substitution_kernelILj256ELj2EfEEviiiPT1_PKS1_S4_
    .private_segment_fixed_size: 0
    .sgpr_count:     6
    .sgpr_spill_count: 0
    .symbol:         _ZN9rocsparseL39gtsv_spike_backward_substitution_kernelILj256ELj2EfEEviiiPT1_PKS1_S4_.kd
    .uniform_work_group_size: 1
    .uses_dynamic_stack: false
    .vgpr_count:     0
    .vgpr_spill_count: 0
    .wavefront_size: 64
  - .agpr_count:     0
    .args:
      - .offset:         0
        .size:           4
        .value_kind:     by_value
      - .offset:         4
        .size:           4
        .value_kind:     by_value
      - .offset:         8
        .size:           4
        .value_kind:     by_value
      - .actual_access:  read_only
        .address_space:  global
        .offset:         16
        .size:           8
        .value_kind:     global_buffer
      - .actual_access:  write_only
        .address_space:  global
        .offset:         24
        .size:           8
        .value_kind:     global_buffer
    .group_segment_fixed_size: 0
    .kernarg_segment_align: 8
    .kernarg_segment_size: 32
    .language:       OpenCL C
    .language_version:
      - 2
      - 0
    .max_flat_workgroup_size: 256
    .name:           _ZN9rocsparseL32gtsv_transpose_back_array_kernelILj256ELj2EfEEviiiPKT1_PS1_
    .private_segment_fixed_size: 0
    .sgpr_count:     18
    .sgpr_spill_count: 0
    .symbol:         _ZN9rocsparseL32gtsv_transpose_back_array_kernelILj256ELj2EfEEviiiPKT1_PS1_.kd
    .uniform_work_group_size: 1
    .uses_dynamic_stack: false
    .vgpr_count:     5
    .vgpr_spill_count: 0
    .wavefront_size: 64
  - .agpr_count:     0
    .args:
      - .offset:         0
        .size:           4
        .value_kind:     by_value
      - .offset:         4
        .size:           4
        .value_kind:     by_value
      - .offset:         8
        .size:           4
        .value_kind:     by_value
      - .actual_access:  read_only
        .address_space:  global
        .offset:         16
        .size:           8
        .value_kind:     global_buffer
      - .actual_access:  write_only
        .address_space:  global
        .offset:         24
        .size:           8
        .value_kind:     global_buffer
      - .offset:         32
        .size:           4
        .value_kind:     by_value
    .group_segment_fixed_size: 1024
    .kernarg_segment_align: 8
    .kernarg_segment_size: 36
    .language:       OpenCL C
    .language_version:
      - 2
      - 0
    .max_flat_workgroup_size: 256
    .name:           _ZN9rocsparseL42gtsv_transpose_and_pad_array_shared_kernelILj256ELj4EfEEviiiPKT1_PS1_S1_
    .private_segment_fixed_size: 0
    .sgpr_count:     18
    .sgpr_spill_count: 0
    .symbol:         _ZN9rocsparseL42gtsv_transpose_and_pad_array_shared_kernelILj256ELj4EfEEviiiPKT1_PS1_S1_.kd
    .uniform_work_group_size: 1
    .uses_dynamic_stack: false
    .vgpr_count:     5
    .vgpr_spill_count: 0
    .wavefront_size: 64
  - .agpr_count:     0
    .args:
      - .offset:         0
        .size:           4
        .value_kind:     by_value
      - .offset:         4
        .size:           4
        .value_kind:     by_value
      - .offset:         8
        .size:           4
        .value_kind:     by_value
      - .actual_access:  read_only
        .address_space:  global
        .offset:         16
        .size:           8
        .value_kind:     global_buffer
      - .actual_access:  read_only
        .address_space:  global
        .offset:         24
        .size:           8
        .value_kind:     global_buffer
      - .actual_access:  read_only
        .address_space:  global
        .offset:         32
        .size:           8
        .value_kind:     global_buffer
      - .address_space:  global
        .offset:         40
        .size:           8
        .value_kind:     global_buffer
      - .address_space:  global
        .offset:         48
        .size:           8
        .value_kind:     global_buffer
      - .address_space:  global
        .offset:         56
        .size:           8
        .value_kind:     global_buffer
      - .address_space:  global
        .offset:         64
        .size:           8
        .value_kind:     global_buffer
    .group_segment_fixed_size: 0
    .kernarg_segment_align: 8
    .kernarg_segment_size: 72
    .language:       OpenCL C
    .language_version:
      - 2
      - 0
    .max_flat_workgroup_size: 256
    .name:           _ZN9rocsparseL18gtsv_LBM_wv_kernelILj256ELj4EfEEviiiPKT1_S3_S3_PS1_S4_S4_Pi
    .private_segment_fixed_size: 0
    .sgpr_count:     36
    .sgpr_spill_count: 0
    .symbol:         _ZN9rocsparseL18gtsv_LBM_wv_kernelILj256ELj4EfEEviiiPKT1_S3_S3_PS1_S4_S4_Pi.kd
    .uniform_work_group_size: 1
    .uses_dynamic_stack: false
    .vgpr_count:     39
    .vgpr_spill_count: 0
    .wavefront_size: 64
  - .agpr_count:     0
    .args:
      - .offset:         0
        .size:           4
        .value_kind:     by_value
      - .offset:         4
        .size:           4
        .value_kind:     by_value
      - .offset:         8
        .size:           4
        .value_kind:     by_value
      - .actual_access:  read_only
        .address_space:  global
        .offset:         16
        .size:           8
        .value_kind:     global_buffer
      - .actual_access:  read_only
        .address_space:  global
        .offset:         24
        .size:           8
        .value_kind:     global_buffer
      - .actual_access:  read_only
        .address_space:  global
        .offset:         32
        .size:           8
        .value_kind:     global_buffer
      - .address_space:  global
        .offset:         40
        .size:           8
        .value_kind:     global_buffer
      - .actual_access:  read_only
        .address_space:  global
        .offset:         48
        .size:           8
        .value_kind:     global_buffer
      - .actual_access:  read_only
        .address_space:  global
        .offset:         56
        .size:           8
        .value_kind:     global_buffer
    .group_segment_fixed_size: 0
    .kernarg_segment_align: 8
    .kernarg_segment_size: 64
    .language:       OpenCL C
    .language_version:
      - 2
      - 0
    .max_flat_workgroup_size: 256
    .name:           _ZN9rocsparseL19gtsv_LBM_rhs_kernelILj256ELj4ELj8EfEEviiiPKT2_S3_S3_PS1_S3_PKi
    .private_segment_fixed_size: 0
    .sgpr_count:     42
    .sgpr_spill_count: 0
    .symbol:         _ZN9rocsparseL19gtsv_LBM_rhs_kernelILj256ELj4ELj8EfEEviiiPKT2_S3_S3_PS1_S3_PKi.kd
    .uniform_work_group_size: 1
    .uses_dynamic_stack: false
    .vgpr_count:     64
    .vgpr_spill_count: 0
    .wavefront_size: 64
  - .agpr_count:     0
    .args:
      - .offset:         0
        .size:           4
        .value_kind:     by_value
      - .offset:         4
        .size:           4
        .value_kind:     by_value
      - .offset:         8
        .size:           4
        .value_kind:     by_value
      - .actual_access:  read_only
        .address_space:  global
        .offset:         16
        .size:           8
        .value_kind:     global_buffer
      - .actual_access:  read_only
        .address_space:  global
        .offset:         24
        .size:           8
        .value_kind:     global_buffer
      - .actual_access:  read_only
        .address_space:  global
        .offset:         32
        .size:           8
        .value_kind:     global_buffer
      - .address_space:  global
        .offset:         40
        .size:           8
        .value_kind:     global_buffer
      - .actual_access:  read_only
        .address_space:  global
        .offset:         48
        .size:           8
        .value_kind:     global_buffer
      - .actual_access:  read_only
        .address_space:  global
        .offset:         56
        .size:           8
        .value_kind:     global_buffer
    .group_segment_fixed_size: 0
    .kernarg_segment_align: 8
    .kernarg_segment_size: 64
    .language:       OpenCL C
    .language_version:
      - 2
      - 0
    .max_flat_workgroup_size: 256
    .name:           _ZN9rocsparseL19gtsv_LBM_rhs_kernelILj256ELj4ELj4EfEEviiiPKT2_S3_S3_PS1_S3_PKi
    .private_segment_fixed_size: 0
    .sgpr_count:     37
    .sgpr_spill_count: 0
    .symbol:         _ZN9rocsparseL19gtsv_LBM_rhs_kernelILj256ELj4ELj4EfEEviiiPKT2_S3_S3_PS1_S3_PKi.kd
    .uniform_work_group_size: 1
    .uses_dynamic_stack: false
    .vgpr_count:     43
    .vgpr_spill_count: 0
    .wavefront_size: 64
  - .agpr_count:     0
    .args:
      - .offset:         0
        .size:           4
        .value_kind:     by_value
      - .offset:         4
        .size:           4
        .value_kind:     by_value
      - .offset:         8
        .size:           4
        .value_kind:     by_value
      - .actual_access:  read_only
        .address_space:  global
        .offset:         16
        .size:           8
        .value_kind:     global_buffer
      - .actual_access:  read_only
        .address_space:  global
        .offset:         24
        .size:           8
        .value_kind:     global_buffer
      - .actual_access:  read_only
        .address_space:  global
        .offset:         32
        .size:           8
        .value_kind:     global_buffer
      - .address_space:  global
        .offset:         40
        .size:           8
        .value_kind:     global_buffer
      - .actual_access:  read_only
        .address_space:  global
        .offset:         48
        .size:           8
        .value_kind:     global_buffer
      - .actual_access:  read_only
        .address_space:  global
        .offset:         56
        .size:           8
        .value_kind:     global_buffer
    .group_segment_fixed_size: 0
    .kernarg_segment_align: 8
    .kernarg_segment_size: 64
    .language:       OpenCL C
    .language_version:
      - 2
      - 0
    .max_flat_workgroup_size: 256
    .name:           _ZN9rocsparseL19gtsv_LBM_rhs_kernelILj256ELj4ELj2EfEEviiiPKT2_S3_S3_PS1_S3_PKi
    .private_segment_fixed_size: 0
    .sgpr_count:     35
    .sgpr_spill_count: 0
    .symbol:         _ZN9rocsparseL19gtsv_LBM_rhs_kernelILj256ELj4ELj2EfEEviiiPKT2_S3_S3_PS1_S3_PKi.kd
    .uniform_work_group_size: 1
    .uses_dynamic_stack: false
    .vgpr_count:     29
    .vgpr_spill_count: 0
    .wavefront_size: 64
  - .agpr_count:     0
    .args:
      - .offset:         0
        .size:           4
        .value_kind:     by_value
      - .offset:         4
        .size:           4
        .value_kind:     by_value
      - .offset:         8
        .size:           4
        .value_kind:     by_value
      - .actual_access:  read_only
        .address_space:  global
        .offset:         16
        .size:           8
        .value_kind:     global_buffer
      - .actual_access:  read_only
        .address_space:  global
        .offset:         24
        .size:           8
        .value_kind:     global_buffer
      - .actual_access:  read_only
        .address_space:  global
        .offset:         32
        .size:           8
        .value_kind:     global_buffer
      - .address_space:  global
        .offset:         40
        .size:           8
        .value_kind:     global_buffer
      - .actual_access:  read_only
        .address_space:  global
        .offset:         48
        .size:           8
        .value_kind:     global_buffer
      - .actual_access:  read_only
        .address_space:  global
        .offset:         56
        .size:           8
        .value_kind:     global_buffer
    .group_segment_fixed_size: 0
    .kernarg_segment_align: 8
    .kernarg_segment_size: 64
    .language:       OpenCL C
    .language_version:
      - 2
      - 0
    .max_flat_workgroup_size: 256
    .name:           _ZN9rocsparseL19gtsv_LBM_rhs_kernelILj256ELj4ELj1EfEEviiiPKT2_S3_S3_PS1_S3_PKi
    .private_segment_fixed_size: 0
    .sgpr_count:     33
    .sgpr_spill_count: 0
    .symbol:         _ZN9rocsparseL19gtsv_LBM_rhs_kernelILj256ELj4ELj1EfEEviiiPKT2_S3_S3_PS1_S3_PKi.kd
    .uniform_work_group_size: 1
    .uses_dynamic_stack: false
    .vgpr_count:     24
    .vgpr_spill_count: 0
    .wavefront_size: 64
  - .agpr_count:     0
    .args:
      - .offset:         0
        .size:           4
        .value_kind:     by_value
      - .offset:         4
        .size:           4
        .value_kind:     by_value
      - .offset:         8
        .size:           4
        .value_kind:     by_value
      - .address_space:  global
        .offset:         16
        .size:           8
        .value_kind:     global_buffer
      - .actual_access:  read_only
        .address_space:  global
        .offset:         24
        .size:           8
        .value_kind:     global_buffer
      - .actual_access:  read_only
        .address_space:  global
        .offset:         32
        .size:           8
        .value_kind:     global_buffer
      - .actual_access:  write_only
        .address_space:  global
        .offset:         40
        .size:           8
        .value_kind:     global_buffer
      - .actual_access:  write_only
        .address_space:  global
        .offset:         48
        .size:           8
        .value_kind:     global_buffer
      - .actual_access:  write_only
        .address_space:  global
        .offset:         56
        .size:           8
        .value_kind:     global_buffer
      - .actual_access:  write_only
        .address_space:  global
        .offset:         64
        .size:           8
        .value_kind:     global_buffer
      - .actual_access:  write_only
        .address_space:  global
        .offset:         72
        .size:           8
        .value_kind:     global_buffer
      - .offset:         80
        .size:           4
        .value_kind:     hidden_block_count_x
      - .offset:         84
        .size:           4
        .value_kind:     hidden_block_count_y
      - .offset:         88
        .size:           4
        .value_kind:     hidden_block_count_z
      - .offset:         92
        .size:           2
        .value_kind:     hidden_group_size_x
      - .offset:         94
        .size:           2
        .value_kind:     hidden_group_size_y
      - .offset:         96
        .size:           2
        .value_kind:     hidden_group_size_z
      - .offset:         98
        .size:           2
        .value_kind:     hidden_remainder_x
      - .offset:         100
        .size:           2
        .value_kind:     hidden_remainder_y
      - .offset:         102
        .size:           2
        .value_kind:     hidden_remainder_z
      - .offset:         120
        .size:           8
        .value_kind:     hidden_global_offset_x
      - .offset:         128
        .size:           8
        .value_kind:     hidden_global_offset_y
      - .offset:         136
        .size:           8
        .value_kind:     hidden_global_offset_z
      - .offset:         144
        .size:           2
        .value_kind:     hidden_grid_dims
    .group_segment_fixed_size: 6144
    .kernarg_segment_align: 8
    .kernarg_segment_size: 336
    .language:       OpenCL C
    .language_version:
      - 2
      - 0
    .max_flat_workgroup_size: 256
    .name:           _ZN9rocsparseL29gtsv_spike_block_level_kernelILj256ELj4EfEEviiiPT1_PKS1_S4_S2_S2_S2_S2_S2_
    .private_segment_fixed_size: 0
    .sgpr_count:     30
    .sgpr_spill_count: 0
    .symbol:         _ZN9rocsparseL29gtsv_spike_block_level_kernelILj256ELj4EfEEviiiPT1_PKS1_S4_S2_S2_S2_S2_S2_.kd
    .uniform_work_group_size: 1
    .uses_dynamic_stack: false
    .vgpr_count:     27
    .vgpr_spill_count: 0
    .wavefront_size: 64
  - .agpr_count:     0
    .args:
      - .offset:         0
        .size:           4
        .value_kind:     by_value
      - .offset:         4
        .size:           4
        .value_kind:     by_value
      - .offset:         8
        .size:           4
        .value_kind:     by_value
      - .address_space:  global
        .offset:         16
        .size:           8
        .value_kind:     global_buffer
      - .actual_access:  read_only
        .address_space:  global
        .offset:         24
        .size:           8
        .value_kind:     global_buffer
      - .actual_access:  read_only
        .address_space:  global
        .offset:         32
        .size:           8
        .value_kind:     global_buffer
      - .actual_access:  read_only
        .address_space:  global
        .offset:         40
        .size:           8
        .value_kind:     global_buffer
      - .offset:         48
        .size:           4
        .value_kind:     hidden_block_count_x
      - .offset:         52
        .size:           4
        .value_kind:     hidden_block_count_y
      - .offset:         56
        .size:           4
        .value_kind:     hidden_block_count_z
      - .offset:         60
        .size:           2
        .value_kind:     hidden_group_size_x
      - .offset:         62
        .size:           2
        .value_kind:     hidden_group_size_y
      - .offset:         64
        .size:           2
        .value_kind:     hidden_group_size_z
      - .offset:         66
        .size:           2
        .value_kind:     hidden_remainder_x
      - .offset:         68
        .size:           2
        .value_kind:     hidden_remainder_y
      - .offset:         70
        .size:           2
        .value_kind:     hidden_remainder_z
      - .offset:         88
        .size:           8
        .value_kind:     hidden_global_offset_x
      - .offset:         96
        .size:           8
        .value_kind:     hidden_global_offset_y
      - .offset:         104
        .size:           8
        .value_kind:     hidden_global_offset_z
      - .offset:         112
        .size:           2
        .value_kind:     hidden_grid_dims
    .group_segment_fixed_size: 6160
    .kernarg_segment_align: 8
    .kernarg_segment_size: 304
    .language:       OpenCL C
    .language_version:
      - 2
      - 0
    .max_flat_workgroup_size: 256
    .name:           _ZN9rocsparseL33gtsv_solve_spike_propagate_kernelILj256ELj4EfEEviiiPT1_PKS1_S4_S4_
    .private_segment_fixed_size: 0
    .sgpr_count:     22
    .sgpr_spill_count: 0
    .symbol:         _ZN9rocsparseL33gtsv_solve_spike_propagate_kernelILj256ELj4EfEEviiiPT1_PKS1_S4_S4_.kd
    .uniform_work_group_size: 1
    .uses_dynamic_stack: false
    .vgpr_count:     13
    .vgpr_spill_count: 0
    .wavefront_size: 64
  - .agpr_count:     0
    .args:
      - .offset:         0
        .size:           4
        .value_kind:     by_value
      - .offset:         4
        .size:           4
        .value_kind:     by_value
      - .offset:         8
        .size:           4
        .value_kind:     by_value
      - .address_space:  global
        .offset:         16
        .size:           8
        .value_kind:     global_buffer
      - .actual_access:  read_only
        .address_space:  global
        .offset:         24
        .size:           8
        .value_kind:     global_buffer
      - .actual_access:  read_only
        .address_space:  global
        .offset:         32
        .size:           8
        .value_kind:     global_buffer
    .group_segment_fixed_size: 0
    .kernarg_segment_align: 8
    .kernarg_segment_size: 40
    .language:       OpenCL C
    .language_version:
      - 2
      - 0
    .max_flat_workgroup_size: 256
    .name:           _ZN9rocsparseL39gtsv_spike_backward_substitution_kernelILj256ELj4EfEEviiiPT1_PKS1_S4_
    .private_segment_fixed_size: 0
    .sgpr_count:     19
    .sgpr_spill_count: 0
    .symbol:         _ZN9rocsparseL39gtsv_spike_backward_substitution_kernelILj256ELj4EfEEviiiPT1_PKS1_S4_.kd
    .uniform_work_group_size: 1
    .uses_dynamic_stack: false
    .vgpr_count:     14
    .vgpr_spill_count: 0
    .wavefront_size: 64
  - .agpr_count:     0
    .args:
      - .offset:         0
        .size:           4
        .value_kind:     by_value
      - .offset:         4
        .size:           4
        .value_kind:     by_value
      - .offset:         8
        .size:           4
        .value_kind:     by_value
      - .actual_access:  read_only
        .address_space:  global
        .offset:         16
        .size:           8
        .value_kind:     global_buffer
      - .actual_access:  write_only
        .address_space:  global
        .offset:         24
        .size:           8
        .value_kind:     global_buffer
    .group_segment_fixed_size: 0
    .kernarg_segment_align: 8
    .kernarg_segment_size: 32
    .language:       OpenCL C
    .language_version:
      - 2
      - 0
    .max_flat_workgroup_size: 256
    .name:           _ZN9rocsparseL32gtsv_transpose_back_array_kernelILj256ELj4EfEEviiiPKT1_PS1_
    .private_segment_fixed_size: 0
    .sgpr_count:     18
    .sgpr_spill_count: 0
    .symbol:         _ZN9rocsparseL32gtsv_transpose_back_array_kernelILj256ELj4EfEEviiiPKT1_PS1_.kd
    .uniform_work_group_size: 1
    .uses_dynamic_stack: false
    .vgpr_count:     5
    .vgpr_spill_count: 0
    .wavefront_size: 64
  - .agpr_count:     0
    .args:
      - .offset:         0
        .size:           4
        .value_kind:     by_value
      - .offset:         4
        .size:           4
        .value_kind:     by_value
      - .offset:         8
        .size:           4
        .value_kind:     by_value
      - .actual_access:  read_only
        .address_space:  global
        .offset:         16
        .size:           8
        .value_kind:     global_buffer
      - .actual_access:  write_only
        .address_space:  global
        .offset:         24
        .size:           8
        .value_kind:     global_buffer
      - .offset:         32
        .size:           4
        .value_kind:     by_value
    .group_segment_fixed_size: 1024
    .kernarg_segment_align: 8
    .kernarg_segment_size: 36
    .language:       OpenCL C
    .language_version:
      - 2
      - 0
    .max_flat_workgroup_size: 256
    .name:           _ZN9rocsparseL42gtsv_transpose_and_pad_array_shared_kernelILj256ELj8EfEEviiiPKT1_PS1_S1_
    .private_segment_fixed_size: 0
    .sgpr_count:     18
    .sgpr_spill_count: 0
    .symbol:         _ZN9rocsparseL42gtsv_transpose_and_pad_array_shared_kernelILj256ELj8EfEEviiiPKT1_PS1_S1_.kd
    .uniform_work_group_size: 1
    .uses_dynamic_stack: false
    .vgpr_count:     5
    .vgpr_spill_count: 0
    .wavefront_size: 64
  - .agpr_count:     0
    .args:
      - .offset:         0
        .size:           4
        .value_kind:     by_value
      - .offset:         4
        .size:           4
        .value_kind:     by_value
      - .offset:         8
        .size:           4
        .value_kind:     by_value
      - .actual_access:  read_only
        .address_space:  global
        .offset:         16
        .size:           8
        .value_kind:     global_buffer
      - .actual_access:  read_only
        .address_space:  global
        .offset:         24
        .size:           8
        .value_kind:     global_buffer
      - .actual_access:  read_only
        .address_space:  global
        .offset:         32
        .size:           8
        .value_kind:     global_buffer
      - .address_space:  global
        .offset:         40
        .size:           8
        .value_kind:     global_buffer
      - .address_space:  global
        .offset:         48
        .size:           8
        .value_kind:     global_buffer
      - .address_space:  global
        .offset:         56
        .size:           8
        .value_kind:     global_buffer
      - .address_space:  global
        .offset:         64
        .size:           8
        .value_kind:     global_buffer
    .group_segment_fixed_size: 0
    .kernarg_segment_align: 8
    .kernarg_segment_size: 72
    .language:       OpenCL C
    .language_version:
      - 2
      - 0
    .max_flat_workgroup_size: 256
    .name:           _ZN9rocsparseL18gtsv_LBM_wv_kernelILj256ELj8EfEEviiiPKT1_S3_S3_PS1_S4_S4_Pi
    .private_segment_fixed_size: 0
    .sgpr_count:     37
    .sgpr_spill_count: 0
    .symbol:         _ZN9rocsparseL18gtsv_LBM_wv_kernelILj256ELj8EfEEviiiPKT1_S3_S3_PS1_S4_S4_Pi.kd
    .uniform_work_group_size: 1
    .uses_dynamic_stack: false
    .vgpr_count:     39
    .vgpr_spill_count: 0
    .wavefront_size: 64
  - .agpr_count:     0
    .args:
      - .offset:         0
        .size:           4
        .value_kind:     by_value
      - .offset:         4
        .size:           4
        .value_kind:     by_value
      - .offset:         8
        .size:           4
        .value_kind:     by_value
      - .actual_access:  read_only
        .address_space:  global
        .offset:         16
        .size:           8
        .value_kind:     global_buffer
      - .actual_access:  read_only
        .address_space:  global
        .offset:         24
        .size:           8
        .value_kind:     global_buffer
      - .actual_access:  read_only
        .address_space:  global
        .offset:         32
        .size:           8
        .value_kind:     global_buffer
      - .address_space:  global
        .offset:         40
        .size:           8
        .value_kind:     global_buffer
      - .actual_access:  read_only
        .address_space:  global
        .offset:         48
        .size:           8
        .value_kind:     global_buffer
      - .actual_access:  read_only
        .address_space:  global
        .offset:         56
        .size:           8
        .value_kind:     global_buffer
    .group_segment_fixed_size: 0
    .kernarg_segment_align: 8
    .kernarg_segment_size: 64
    .language:       OpenCL C
    .language_version:
      - 2
      - 0
    .max_flat_workgroup_size: 256
    .name:           _ZN9rocsparseL19gtsv_LBM_rhs_kernelILj256ELj8ELj8EfEEviiiPKT2_S3_S3_PS1_S3_PKi
    .private_segment_fixed_size: 0
    .sgpr_count:     43
    .sgpr_spill_count: 0
    .symbol:         _ZN9rocsparseL19gtsv_LBM_rhs_kernelILj256ELj8ELj8EfEEviiiPKT2_S3_S3_PS1_S3_PKi.kd
    .uniform_work_group_size: 1
    .uses_dynamic_stack: false
    .vgpr_count:     64
    .vgpr_spill_count: 0
    .wavefront_size: 64
  - .agpr_count:     0
    .args:
      - .offset:         0
        .size:           4
        .value_kind:     by_value
      - .offset:         4
        .size:           4
        .value_kind:     by_value
      - .offset:         8
        .size:           4
        .value_kind:     by_value
      - .actual_access:  read_only
        .address_space:  global
        .offset:         16
        .size:           8
        .value_kind:     global_buffer
      - .actual_access:  read_only
        .address_space:  global
        .offset:         24
        .size:           8
        .value_kind:     global_buffer
      - .actual_access:  read_only
        .address_space:  global
        .offset:         32
        .size:           8
        .value_kind:     global_buffer
      - .address_space:  global
        .offset:         40
        .size:           8
        .value_kind:     global_buffer
      - .actual_access:  read_only
        .address_space:  global
        .offset:         48
        .size:           8
        .value_kind:     global_buffer
      - .actual_access:  read_only
        .address_space:  global
        .offset:         56
        .size:           8
        .value_kind:     global_buffer
    .group_segment_fixed_size: 0
    .kernarg_segment_align: 8
    .kernarg_segment_size: 64
    .language:       OpenCL C
    .language_version:
      - 2
      - 0
    .max_flat_workgroup_size: 256
    .name:           _ZN9rocsparseL19gtsv_LBM_rhs_kernelILj256ELj8ELj4EfEEviiiPKT2_S3_S3_PS1_S3_PKi
    .private_segment_fixed_size: 0
    .sgpr_count:     38
    .sgpr_spill_count: 0
    .symbol:         _ZN9rocsparseL19gtsv_LBM_rhs_kernelILj256ELj8ELj4EfEEviiiPKT2_S3_S3_PS1_S3_PKi.kd
    .uniform_work_group_size: 1
    .uses_dynamic_stack: false
    .vgpr_count:     43
    .vgpr_spill_count: 0
    .wavefront_size: 64
  - .agpr_count:     0
    .args:
      - .offset:         0
        .size:           4
        .value_kind:     by_value
      - .offset:         4
        .size:           4
        .value_kind:     by_value
      - .offset:         8
        .size:           4
        .value_kind:     by_value
      - .actual_access:  read_only
        .address_space:  global
        .offset:         16
        .size:           8
        .value_kind:     global_buffer
      - .actual_access:  read_only
        .address_space:  global
        .offset:         24
        .size:           8
        .value_kind:     global_buffer
      - .actual_access:  read_only
        .address_space:  global
        .offset:         32
        .size:           8
        .value_kind:     global_buffer
      - .address_space:  global
        .offset:         40
        .size:           8
        .value_kind:     global_buffer
      - .actual_access:  read_only
        .address_space:  global
        .offset:         48
        .size:           8
        .value_kind:     global_buffer
      - .actual_access:  read_only
        .address_space:  global
        .offset:         56
        .size:           8
        .value_kind:     global_buffer
    .group_segment_fixed_size: 0
    .kernarg_segment_align: 8
    .kernarg_segment_size: 64
    .language:       OpenCL C
    .language_version:
      - 2
      - 0
    .max_flat_workgroup_size: 256
    .name:           _ZN9rocsparseL19gtsv_LBM_rhs_kernelILj256ELj8ELj2EfEEviiiPKT2_S3_S3_PS1_S3_PKi
    .private_segment_fixed_size: 0
    .sgpr_count:     36
    .sgpr_spill_count: 0
    .symbol:         _ZN9rocsparseL19gtsv_LBM_rhs_kernelILj256ELj8ELj2EfEEviiiPKT2_S3_S3_PS1_S3_PKi.kd
    .uniform_work_group_size: 1
    .uses_dynamic_stack: false
    .vgpr_count:     29
    .vgpr_spill_count: 0
    .wavefront_size: 64
  - .agpr_count:     0
    .args:
      - .offset:         0
        .size:           4
        .value_kind:     by_value
      - .offset:         4
        .size:           4
        .value_kind:     by_value
      - .offset:         8
        .size:           4
        .value_kind:     by_value
      - .actual_access:  read_only
        .address_space:  global
        .offset:         16
        .size:           8
        .value_kind:     global_buffer
      - .actual_access:  read_only
        .address_space:  global
        .offset:         24
        .size:           8
        .value_kind:     global_buffer
      - .actual_access:  read_only
        .address_space:  global
        .offset:         32
        .size:           8
        .value_kind:     global_buffer
      - .address_space:  global
        .offset:         40
        .size:           8
        .value_kind:     global_buffer
      - .actual_access:  read_only
        .address_space:  global
        .offset:         48
        .size:           8
        .value_kind:     global_buffer
      - .actual_access:  read_only
        .address_space:  global
        .offset:         56
        .size:           8
        .value_kind:     global_buffer
    .group_segment_fixed_size: 0
    .kernarg_segment_align: 8
    .kernarg_segment_size: 64
    .language:       OpenCL C
    .language_version:
      - 2
      - 0
    .max_flat_workgroup_size: 256
    .name:           _ZN9rocsparseL19gtsv_LBM_rhs_kernelILj256ELj8ELj1EfEEviiiPKT2_S3_S3_PS1_S3_PKi
    .private_segment_fixed_size: 0
    .sgpr_count:     34
    .sgpr_spill_count: 0
    .symbol:         _ZN9rocsparseL19gtsv_LBM_rhs_kernelILj256ELj8ELj1EfEEviiiPKT2_S3_S3_PS1_S3_PKi.kd
    .uniform_work_group_size: 1
    .uses_dynamic_stack: false
    .vgpr_count:     24
    .vgpr_spill_count: 0
    .wavefront_size: 64
  - .agpr_count:     0
    .args:
      - .offset:         0
        .size:           4
        .value_kind:     by_value
      - .offset:         4
        .size:           4
        .value_kind:     by_value
      - .offset:         8
        .size:           4
        .value_kind:     by_value
      - .address_space:  global
        .offset:         16
        .size:           8
        .value_kind:     global_buffer
      - .actual_access:  read_only
        .address_space:  global
        .offset:         24
        .size:           8
        .value_kind:     global_buffer
      - .actual_access:  read_only
        .address_space:  global
        .offset:         32
        .size:           8
        .value_kind:     global_buffer
      - .actual_access:  write_only
        .address_space:  global
        .offset:         40
        .size:           8
        .value_kind:     global_buffer
      - .actual_access:  write_only
        .address_space:  global
        .offset:         48
        .size:           8
        .value_kind:     global_buffer
      - .actual_access:  write_only
        .address_space:  global
        .offset:         56
        .size:           8
        .value_kind:     global_buffer
      - .actual_access:  write_only
        .address_space:  global
        .offset:         64
        .size:           8
        .value_kind:     global_buffer
      - .actual_access:  write_only
        .address_space:  global
        .offset:         72
        .size:           8
        .value_kind:     global_buffer
      - .offset:         80
        .size:           4
        .value_kind:     hidden_block_count_x
      - .offset:         84
        .size:           4
        .value_kind:     hidden_block_count_y
      - .offset:         88
        .size:           4
        .value_kind:     hidden_block_count_z
      - .offset:         92
        .size:           2
        .value_kind:     hidden_group_size_x
      - .offset:         94
        .size:           2
        .value_kind:     hidden_group_size_y
      - .offset:         96
        .size:           2
        .value_kind:     hidden_group_size_z
      - .offset:         98
        .size:           2
        .value_kind:     hidden_remainder_x
      - .offset:         100
        .size:           2
        .value_kind:     hidden_remainder_y
      - .offset:         102
        .size:           2
        .value_kind:     hidden_remainder_z
      - .offset:         120
        .size:           8
        .value_kind:     hidden_global_offset_x
      - .offset:         128
        .size:           8
        .value_kind:     hidden_global_offset_y
      - .offset:         136
        .size:           8
        .value_kind:     hidden_global_offset_z
      - .offset:         144
        .size:           2
        .value_kind:     hidden_grid_dims
    .group_segment_fixed_size: 6144
    .kernarg_segment_align: 8
    .kernarg_segment_size: 336
    .language:       OpenCL C
    .language_version:
      - 2
      - 0
    .max_flat_workgroup_size: 256
    .name:           _ZN9rocsparseL29gtsv_spike_block_level_kernelILj256ELj8EfEEviiiPT1_PKS1_S4_S2_S2_S2_S2_S2_
    .private_segment_fixed_size: 0
    .sgpr_count:     30
    .sgpr_spill_count: 0
    .symbol:         _ZN9rocsparseL29gtsv_spike_block_level_kernelILj256ELj8EfEEviiiPT1_PKS1_S4_S2_S2_S2_S2_S2_.kd
    .uniform_work_group_size: 1
    .uses_dynamic_stack: false
    .vgpr_count:     27
    .vgpr_spill_count: 0
    .wavefront_size: 64
  - .agpr_count:     0
    .args:
      - .offset:         0
        .size:           4
        .value_kind:     by_value
      - .offset:         4
        .size:           4
        .value_kind:     by_value
      - .offset:         8
        .size:           4
        .value_kind:     by_value
      - .address_space:  global
        .offset:         16
        .size:           8
        .value_kind:     global_buffer
      - .actual_access:  read_only
        .address_space:  global
        .offset:         24
        .size:           8
        .value_kind:     global_buffer
      - .actual_access:  read_only
        .address_space:  global
        .offset:         32
        .size:           8
        .value_kind:     global_buffer
      - .actual_access:  read_only
        .address_space:  global
        .offset:         40
        .size:           8
        .value_kind:     global_buffer
      - .offset:         48
        .size:           4
        .value_kind:     hidden_block_count_x
      - .offset:         52
        .size:           4
        .value_kind:     hidden_block_count_y
      - .offset:         56
        .size:           4
        .value_kind:     hidden_block_count_z
      - .offset:         60
        .size:           2
        .value_kind:     hidden_group_size_x
      - .offset:         62
        .size:           2
        .value_kind:     hidden_group_size_y
      - .offset:         64
        .size:           2
        .value_kind:     hidden_group_size_z
      - .offset:         66
        .size:           2
        .value_kind:     hidden_remainder_x
      - .offset:         68
        .size:           2
        .value_kind:     hidden_remainder_y
      - .offset:         70
        .size:           2
        .value_kind:     hidden_remainder_z
      - .offset:         88
        .size:           8
        .value_kind:     hidden_global_offset_x
      - .offset:         96
        .size:           8
        .value_kind:     hidden_global_offset_y
      - .offset:         104
        .size:           8
        .value_kind:     hidden_global_offset_z
      - .offset:         112
        .size:           2
        .value_kind:     hidden_grid_dims
    .group_segment_fixed_size: 6160
    .kernarg_segment_align: 8
    .kernarg_segment_size: 304
    .language:       OpenCL C
    .language_version:
      - 2
      - 0
    .max_flat_workgroup_size: 256
    .name:           _ZN9rocsparseL33gtsv_solve_spike_propagate_kernelILj256ELj8EfEEviiiPT1_PKS1_S4_S4_
    .private_segment_fixed_size: 0
    .sgpr_count:     22
    .sgpr_spill_count: 0
    .symbol:         _ZN9rocsparseL33gtsv_solve_spike_propagate_kernelILj256ELj8EfEEviiiPT1_PKS1_S4_S4_.kd
    .uniform_work_group_size: 1
    .uses_dynamic_stack: false
    .vgpr_count:     13
    .vgpr_spill_count: 0
    .wavefront_size: 64
  - .agpr_count:     0
    .args:
      - .offset:         0
        .size:           4
        .value_kind:     by_value
      - .offset:         4
        .size:           4
        .value_kind:     by_value
      - .offset:         8
        .size:           4
        .value_kind:     by_value
      - .address_space:  global
        .offset:         16
        .size:           8
        .value_kind:     global_buffer
      - .actual_access:  read_only
        .address_space:  global
        .offset:         24
        .size:           8
        .value_kind:     global_buffer
      - .actual_access:  read_only
        .address_space:  global
        .offset:         32
        .size:           8
        .value_kind:     global_buffer
    .group_segment_fixed_size: 0
    .kernarg_segment_align: 8
    .kernarg_segment_size: 40
    .language:       OpenCL C
    .language_version:
      - 2
      - 0
    .max_flat_workgroup_size: 256
    .name:           _ZN9rocsparseL39gtsv_spike_backward_substitution_kernelILj256ELj8EfEEviiiPT1_PKS1_S4_
    .private_segment_fixed_size: 0
    .sgpr_count:     19
    .sgpr_spill_count: 0
    .symbol:         _ZN9rocsparseL39gtsv_spike_backward_substitution_kernelILj256ELj8EfEEviiiPT1_PKS1_S4_.kd
    .uniform_work_group_size: 1
    .uses_dynamic_stack: false
    .vgpr_count:     17
    .vgpr_spill_count: 0
    .wavefront_size: 64
  - .agpr_count:     0
    .args:
      - .offset:         0
        .size:           4
        .value_kind:     by_value
      - .offset:         4
        .size:           4
        .value_kind:     by_value
      - .offset:         8
        .size:           4
        .value_kind:     by_value
      - .actual_access:  read_only
        .address_space:  global
        .offset:         16
        .size:           8
        .value_kind:     global_buffer
      - .actual_access:  write_only
        .address_space:  global
        .offset:         24
        .size:           8
        .value_kind:     global_buffer
    .group_segment_fixed_size: 0
    .kernarg_segment_align: 8
    .kernarg_segment_size: 32
    .language:       OpenCL C
    .language_version:
      - 2
      - 0
    .max_flat_workgroup_size: 256
    .name:           _ZN9rocsparseL32gtsv_transpose_back_array_kernelILj256ELj8EfEEviiiPKT1_PS1_
    .private_segment_fixed_size: 0
    .sgpr_count:     18
    .sgpr_spill_count: 0
    .symbol:         _ZN9rocsparseL32gtsv_transpose_back_array_kernelILj256ELj8EfEEviiiPKT1_PS1_.kd
    .uniform_work_group_size: 1
    .uses_dynamic_stack: false
    .vgpr_count:     5
    .vgpr_spill_count: 0
    .wavefront_size: 64
  - .agpr_count:     0
    .args:
      - .offset:         0
        .size:           4
        .value_kind:     by_value
      - .offset:         4
        .size:           4
        .value_kind:     by_value
      - .offset:         8
        .size:           4
        .value_kind:     by_value
      - .actual_access:  read_only
        .address_space:  global
        .offset:         16
        .size:           8
        .value_kind:     global_buffer
      - .actual_access:  write_only
        .address_space:  global
        .offset:         24
        .size:           8
        .value_kind:     global_buffer
      - .offset:         32
        .size:           4
        .value_kind:     by_value
    .group_segment_fixed_size: 1024
    .kernarg_segment_align: 8
    .kernarg_segment_size: 36
    .language:       OpenCL C
    .language_version:
      - 2
      - 0
    .max_flat_workgroup_size: 256
    .name:           _ZN9rocsparseL42gtsv_transpose_and_pad_array_shared_kernelILj256ELj16EfEEviiiPKT1_PS1_S1_
    .private_segment_fixed_size: 0
    .sgpr_count:     18
    .sgpr_spill_count: 0
    .symbol:         _ZN9rocsparseL42gtsv_transpose_and_pad_array_shared_kernelILj256ELj16EfEEviiiPKT1_PS1_S1_.kd
    .uniform_work_group_size: 1
    .uses_dynamic_stack: false
    .vgpr_count:     5
    .vgpr_spill_count: 0
    .wavefront_size: 64
  - .agpr_count:     0
    .args:
      - .offset:         0
        .size:           4
        .value_kind:     by_value
      - .offset:         4
        .size:           4
        .value_kind:     by_value
      - .offset:         8
        .size:           4
        .value_kind:     by_value
      - .actual_access:  read_only
        .address_space:  global
        .offset:         16
        .size:           8
        .value_kind:     global_buffer
      - .actual_access:  read_only
        .address_space:  global
        .offset:         24
        .size:           8
        .value_kind:     global_buffer
      - .actual_access:  read_only
        .address_space:  global
        .offset:         32
        .size:           8
        .value_kind:     global_buffer
      - .address_space:  global
        .offset:         40
        .size:           8
        .value_kind:     global_buffer
      - .address_space:  global
        .offset:         48
        .size:           8
        .value_kind:     global_buffer
      - .address_space:  global
        .offset:         56
        .size:           8
        .value_kind:     global_buffer
      - .address_space:  global
        .offset:         64
        .size:           8
        .value_kind:     global_buffer
    .group_segment_fixed_size: 0
    .kernarg_segment_align: 8
    .kernarg_segment_size: 72
    .language:       OpenCL C
    .language_version:
      - 2
      - 0
    .max_flat_workgroup_size: 256
    .name:           _ZN9rocsparseL18gtsv_LBM_wv_kernelILj256ELj16EfEEviiiPKT1_S3_S3_PS1_S4_S4_Pi
    .private_segment_fixed_size: 0
    .sgpr_count:     37
    .sgpr_spill_count: 0
    .symbol:         _ZN9rocsparseL18gtsv_LBM_wv_kernelILj256ELj16EfEEviiiPKT1_S3_S3_PS1_S4_S4_Pi.kd
    .uniform_work_group_size: 1
    .uses_dynamic_stack: false
    .vgpr_count:     39
    .vgpr_spill_count: 0
    .wavefront_size: 64
  - .agpr_count:     0
    .args:
      - .offset:         0
        .size:           4
        .value_kind:     by_value
      - .offset:         4
        .size:           4
        .value_kind:     by_value
      - .offset:         8
        .size:           4
        .value_kind:     by_value
      - .actual_access:  read_only
        .address_space:  global
        .offset:         16
        .size:           8
        .value_kind:     global_buffer
      - .actual_access:  read_only
        .address_space:  global
        .offset:         24
        .size:           8
        .value_kind:     global_buffer
      - .actual_access:  read_only
        .address_space:  global
        .offset:         32
        .size:           8
        .value_kind:     global_buffer
      - .address_space:  global
        .offset:         40
        .size:           8
        .value_kind:     global_buffer
      - .actual_access:  read_only
        .address_space:  global
        .offset:         48
        .size:           8
        .value_kind:     global_buffer
      - .actual_access:  read_only
        .address_space:  global
        .offset:         56
        .size:           8
        .value_kind:     global_buffer
    .group_segment_fixed_size: 0
    .kernarg_segment_align: 8
    .kernarg_segment_size: 64
    .language:       OpenCL C
    .language_version:
      - 2
      - 0
    .max_flat_workgroup_size: 256
    .name:           _ZN9rocsparseL19gtsv_LBM_rhs_kernelILj256ELj16ELj8EfEEviiiPKT2_S3_S3_PS1_S3_PKi
    .private_segment_fixed_size: 0
    .sgpr_count:     43
    .sgpr_spill_count: 0
    .symbol:         _ZN9rocsparseL19gtsv_LBM_rhs_kernelILj256ELj16ELj8EfEEviiiPKT2_S3_S3_PS1_S3_PKi.kd
    .uniform_work_group_size: 1
    .uses_dynamic_stack: false
    .vgpr_count:     64
    .vgpr_spill_count: 0
    .wavefront_size: 64
  - .agpr_count:     0
    .args:
      - .offset:         0
        .size:           4
        .value_kind:     by_value
      - .offset:         4
        .size:           4
        .value_kind:     by_value
      - .offset:         8
        .size:           4
        .value_kind:     by_value
      - .actual_access:  read_only
        .address_space:  global
        .offset:         16
        .size:           8
        .value_kind:     global_buffer
      - .actual_access:  read_only
        .address_space:  global
        .offset:         24
        .size:           8
        .value_kind:     global_buffer
      - .actual_access:  read_only
        .address_space:  global
        .offset:         32
        .size:           8
        .value_kind:     global_buffer
      - .address_space:  global
        .offset:         40
        .size:           8
        .value_kind:     global_buffer
      - .actual_access:  read_only
        .address_space:  global
        .offset:         48
        .size:           8
        .value_kind:     global_buffer
      - .actual_access:  read_only
        .address_space:  global
        .offset:         56
        .size:           8
        .value_kind:     global_buffer
    .group_segment_fixed_size: 0
    .kernarg_segment_align: 8
    .kernarg_segment_size: 64
    .language:       OpenCL C
    .language_version:
      - 2
      - 0
    .max_flat_workgroup_size: 256
    .name:           _ZN9rocsparseL19gtsv_LBM_rhs_kernelILj256ELj16ELj4EfEEviiiPKT2_S3_S3_PS1_S3_PKi
    .private_segment_fixed_size: 0
    .sgpr_count:     38
    .sgpr_spill_count: 0
    .symbol:         _ZN9rocsparseL19gtsv_LBM_rhs_kernelILj256ELj16ELj4EfEEviiiPKT2_S3_S3_PS1_S3_PKi.kd
    .uniform_work_group_size: 1
    .uses_dynamic_stack: false
    .vgpr_count:     43
    .vgpr_spill_count: 0
    .wavefront_size: 64
  - .agpr_count:     0
    .args:
      - .offset:         0
        .size:           4
        .value_kind:     by_value
      - .offset:         4
        .size:           4
        .value_kind:     by_value
      - .offset:         8
        .size:           4
        .value_kind:     by_value
      - .actual_access:  read_only
        .address_space:  global
        .offset:         16
        .size:           8
        .value_kind:     global_buffer
      - .actual_access:  read_only
        .address_space:  global
        .offset:         24
        .size:           8
        .value_kind:     global_buffer
      - .actual_access:  read_only
        .address_space:  global
        .offset:         32
        .size:           8
        .value_kind:     global_buffer
      - .address_space:  global
        .offset:         40
        .size:           8
        .value_kind:     global_buffer
      - .actual_access:  read_only
        .address_space:  global
        .offset:         48
        .size:           8
        .value_kind:     global_buffer
      - .actual_access:  read_only
        .address_space:  global
        .offset:         56
        .size:           8
        .value_kind:     global_buffer
    .group_segment_fixed_size: 0
    .kernarg_segment_align: 8
    .kernarg_segment_size: 64
    .language:       OpenCL C
    .language_version:
      - 2
      - 0
    .max_flat_workgroup_size: 256
    .name:           _ZN9rocsparseL19gtsv_LBM_rhs_kernelILj256ELj16ELj2EfEEviiiPKT2_S3_S3_PS1_S3_PKi
    .private_segment_fixed_size: 0
    .sgpr_count:     36
    .sgpr_spill_count: 0
    .symbol:         _ZN9rocsparseL19gtsv_LBM_rhs_kernelILj256ELj16ELj2EfEEviiiPKT2_S3_S3_PS1_S3_PKi.kd
    .uniform_work_group_size: 1
    .uses_dynamic_stack: false
    .vgpr_count:     29
    .vgpr_spill_count: 0
    .wavefront_size: 64
  - .agpr_count:     0
    .args:
      - .offset:         0
        .size:           4
        .value_kind:     by_value
      - .offset:         4
        .size:           4
        .value_kind:     by_value
      - .offset:         8
        .size:           4
        .value_kind:     by_value
      - .actual_access:  read_only
        .address_space:  global
        .offset:         16
        .size:           8
        .value_kind:     global_buffer
      - .actual_access:  read_only
        .address_space:  global
        .offset:         24
        .size:           8
        .value_kind:     global_buffer
      - .actual_access:  read_only
        .address_space:  global
        .offset:         32
        .size:           8
        .value_kind:     global_buffer
      - .address_space:  global
        .offset:         40
        .size:           8
        .value_kind:     global_buffer
      - .actual_access:  read_only
        .address_space:  global
        .offset:         48
        .size:           8
        .value_kind:     global_buffer
      - .actual_access:  read_only
        .address_space:  global
        .offset:         56
        .size:           8
        .value_kind:     global_buffer
    .group_segment_fixed_size: 0
    .kernarg_segment_align: 8
    .kernarg_segment_size: 64
    .language:       OpenCL C
    .language_version:
      - 2
      - 0
    .max_flat_workgroup_size: 256
    .name:           _ZN9rocsparseL19gtsv_LBM_rhs_kernelILj256ELj16ELj1EfEEviiiPKT2_S3_S3_PS1_S3_PKi
    .private_segment_fixed_size: 0
    .sgpr_count:     34
    .sgpr_spill_count: 0
    .symbol:         _ZN9rocsparseL19gtsv_LBM_rhs_kernelILj256ELj16ELj1EfEEviiiPKT2_S3_S3_PS1_S3_PKi.kd
    .uniform_work_group_size: 1
    .uses_dynamic_stack: false
    .vgpr_count:     24
    .vgpr_spill_count: 0
    .wavefront_size: 64
  - .agpr_count:     0
    .args:
      - .offset:         0
        .size:           4
        .value_kind:     by_value
      - .offset:         4
        .size:           4
        .value_kind:     by_value
      - .offset:         8
        .size:           4
        .value_kind:     by_value
      - .address_space:  global
        .offset:         16
        .size:           8
        .value_kind:     global_buffer
      - .actual_access:  read_only
        .address_space:  global
        .offset:         24
        .size:           8
        .value_kind:     global_buffer
      - .actual_access:  read_only
        .address_space:  global
        .offset:         32
        .size:           8
        .value_kind:     global_buffer
      - .actual_access:  write_only
        .address_space:  global
        .offset:         40
        .size:           8
        .value_kind:     global_buffer
      - .actual_access:  write_only
        .address_space:  global
        .offset:         48
        .size:           8
        .value_kind:     global_buffer
      - .actual_access:  write_only
        .address_space:  global
        .offset:         56
        .size:           8
        .value_kind:     global_buffer
      - .actual_access:  write_only
        .address_space:  global
        .offset:         64
        .size:           8
        .value_kind:     global_buffer
      - .actual_access:  write_only
        .address_space:  global
        .offset:         72
        .size:           8
        .value_kind:     global_buffer
      - .offset:         80
        .size:           4
        .value_kind:     hidden_block_count_x
      - .offset:         84
        .size:           4
        .value_kind:     hidden_block_count_y
      - .offset:         88
        .size:           4
        .value_kind:     hidden_block_count_z
      - .offset:         92
        .size:           2
        .value_kind:     hidden_group_size_x
      - .offset:         94
        .size:           2
        .value_kind:     hidden_group_size_y
      - .offset:         96
        .size:           2
        .value_kind:     hidden_group_size_z
      - .offset:         98
        .size:           2
        .value_kind:     hidden_remainder_x
      - .offset:         100
        .size:           2
        .value_kind:     hidden_remainder_y
      - .offset:         102
        .size:           2
        .value_kind:     hidden_remainder_z
      - .offset:         120
        .size:           8
        .value_kind:     hidden_global_offset_x
      - .offset:         128
        .size:           8
        .value_kind:     hidden_global_offset_y
      - .offset:         136
        .size:           8
        .value_kind:     hidden_global_offset_z
      - .offset:         144
        .size:           2
        .value_kind:     hidden_grid_dims
    .group_segment_fixed_size: 6144
    .kernarg_segment_align: 8
    .kernarg_segment_size: 336
    .language:       OpenCL C
    .language_version:
      - 2
      - 0
    .max_flat_workgroup_size: 256
    .name:           _ZN9rocsparseL29gtsv_spike_block_level_kernelILj256ELj16EfEEviiiPT1_PKS1_S4_S2_S2_S2_S2_S2_
    .private_segment_fixed_size: 0
    .sgpr_count:     30
    .sgpr_spill_count: 0
    .symbol:         _ZN9rocsparseL29gtsv_spike_block_level_kernelILj256ELj16EfEEviiiPT1_PKS1_S4_S2_S2_S2_S2_S2_.kd
    .uniform_work_group_size: 1
    .uses_dynamic_stack: false
    .vgpr_count:     27
    .vgpr_spill_count: 0
    .wavefront_size: 64
  - .agpr_count:     0
    .args:
      - .offset:         0
        .size:           4
        .value_kind:     by_value
      - .offset:         4
        .size:           4
        .value_kind:     by_value
      - .offset:         8
        .size:           4
        .value_kind:     by_value
      - .address_space:  global
        .offset:         16
        .size:           8
        .value_kind:     global_buffer
      - .actual_access:  read_only
        .address_space:  global
        .offset:         24
        .size:           8
        .value_kind:     global_buffer
      - .actual_access:  read_only
        .address_space:  global
        .offset:         32
        .size:           8
        .value_kind:     global_buffer
      - .actual_access:  read_only
        .address_space:  global
        .offset:         40
        .size:           8
        .value_kind:     global_buffer
      - .offset:         48
        .size:           4
        .value_kind:     hidden_block_count_x
      - .offset:         52
        .size:           4
        .value_kind:     hidden_block_count_y
      - .offset:         56
        .size:           4
        .value_kind:     hidden_block_count_z
      - .offset:         60
        .size:           2
        .value_kind:     hidden_group_size_x
      - .offset:         62
        .size:           2
        .value_kind:     hidden_group_size_y
      - .offset:         64
        .size:           2
        .value_kind:     hidden_group_size_z
      - .offset:         66
        .size:           2
        .value_kind:     hidden_remainder_x
      - .offset:         68
        .size:           2
        .value_kind:     hidden_remainder_y
      - .offset:         70
        .size:           2
        .value_kind:     hidden_remainder_z
      - .offset:         88
        .size:           8
        .value_kind:     hidden_global_offset_x
      - .offset:         96
        .size:           8
        .value_kind:     hidden_global_offset_y
      - .offset:         104
        .size:           8
        .value_kind:     hidden_global_offset_z
      - .offset:         112
        .size:           2
        .value_kind:     hidden_grid_dims
    .group_segment_fixed_size: 6160
    .kernarg_segment_align: 8
    .kernarg_segment_size: 304
    .language:       OpenCL C
    .language_version:
      - 2
      - 0
    .max_flat_workgroup_size: 256
    .name:           _ZN9rocsparseL33gtsv_solve_spike_propagate_kernelILj256ELj16EfEEviiiPT1_PKS1_S4_S4_
    .private_segment_fixed_size: 0
    .sgpr_count:     22
    .sgpr_spill_count: 0
    .symbol:         _ZN9rocsparseL33gtsv_solve_spike_propagate_kernelILj256ELj16EfEEviiiPT1_PKS1_S4_S4_.kd
    .uniform_work_group_size: 1
    .uses_dynamic_stack: false
    .vgpr_count:     13
    .vgpr_spill_count: 0
    .wavefront_size: 64
  - .agpr_count:     0
    .args:
      - .offset:         0
        .size:           4
        .value_kind:     by_value
      - .offset:         4
        .size:           4
        .value_kind:     by_value
      - .offset:         8
        .size:           4
        .value_kind:     by_value
      - .address_space:  global
        .offset:         16
        .size:           8
        .value_kind:     global_buffer
      - .actual_access:  read_only
        .address_space:  global
        .offset:         24
        .size:           8
        .value_kind:     global_buffer
      - .actual_access:  read_only
        .address_space:  global
        .offset:         32
        .size:           8
        .value_kind:     global_buffer
    .group_segment_fixed_size: 0
    .kernarg_segment_align: 8
    .kernarg_segment_size: 40
    .language:       OpenCL C
    .language_version:
      - 2
      - 0
    .max_flat_workgroup_size: 256
    .name:           _ZN9rocsparseL39gtsv_spike_backward_substitution_kernelILj256ELj16EfEEviiiPT1_PKS1_S4_
    .private_segment_fixed_size: 0
    .sgpr_count:     19
    .sgpr_spill_count: 0
    .symbol:         _ZN9rocsparseL39gtsv_spike_backward_substitution_kernelILj256ELj16EfEEviiiPT1_PKS1_S4_.kd
    .uniform_work_group_size: 1
    .uses_dynamic_stack: false
    .vgpr_count:     17
    .vgpr_spill_count: 0
    .wavefront_size: 64
  - .agpr_count:     0
    .args:
      - .offset:         0
        .size:           4
        .value_kind:     by_value
      - .offset:         4
        .size:           4
        .value_kind:     by_value
      - .offset:         8
        .size:           4
        .value_kind:     by_value
      - .actual_access:  read_only
        .address_space:  global
        .offset:         16
        .size:           8
        .value_kind:     global_buffer
      - .actual_access:  write_only
        .address_space:  global
        .offset:         24
        .size:           8
        .value_kind:     global_buffer
    .group_segment_fixed_size: 0
    .kernarg_segment_align: 8
    .kernarg_segment_size: 32
    .language:       OpenCL C
    .language_version:
      - 2
      - 0
    .max_flat_workgroup_size: 256
    .name:           _ZN9rocsparseL32gtsv_transpose_back_array_kernelILj256ELj16EfEEviiiPKT1_PS1_
    .private_segment_fixed_size: 0
    .sgpr_count:     18
    .sgpr_spill_count: 0
    .symbol:         _ZN9rocsparseL32gtsv_transpose_back_array_kernelILj256ELj16EfEEviiiPKT1_PS1_.kd
    .uniform_work_group_size: 1
    .uses_dynamic_stack: false
    .vgpr_count:     5
    .vgpr_spill_count: 0
    .wavefront_size: 64
  - .agpr_count:     0
    .args:
      - .offset:         0
        .size:           4
        .value_kind:     by_value
      - .offset:         4
        .size:           4
        .value_kind:     by_value
      - .offset:         8
        .size:           4
        .value_kind:     by_value
      - .actual_access:  read_only
        .address_space:  global
        .offset:         16
        .size:           8
        .value_kind:     global_buffer
      - .actual_access:  write_only
        .address_space:  global
        .offset:         24
        .size:           8
        .value_kind:     global_buffer
      - .offset:         32
        .size:           4
        .value_kind:     by_value
    .group_segment_fixed_size: 1024
    .kernarg_segment_align: 8
    .kernarg_segment_size: 36
    .language:       OpenCL C
    .language_version:
      - 2
      - 0
    .max_flat_workgroup_size: 256
    .name:           _ZN9rocsparseL42gtsv_transpose_and_pad_array_shared_kernelILj256ELj32EfEEviiiPKT1_PS1_S1_
    .private_segment_fixed_size: 0
    .sgpr_count:     18
    .sgpr_spill_count: 0
    .symbol:         _ZN9rocsparseL42gtsv_transpose_and_pad_array_shared_kernelILj256ELj32EfEEviiiPKT1_PS1_S1_.kd
    .uniform_work_group_size: 1
    .uses_dynamic_stack: false
    .vgpr_count:     5
    .vgpr_spill_count: 0
    .wavefront_size: 64
  - .agpr_count:     0
    .args:
      - .offset:         0
        .size:           4
        .value_kind:     by_value
      - .offset:         4
        .size:           4
        .value_kind:     by_value
      - .offset:         8
        .size:           4
        .value_kind:     by_value
      - .actual_access:  read_only
        .address_space:  global
        .offset:         16
        .size:           8
        .value_kind:     global_buffer
      - .actual_access:  read_only
        .address_space:  global
        .offset:         24
        .size:           8
        .value_kind:     global_buffer
      - .actual_access:  read_only
        .address_space:  global
        .offset:         32
        .size:           8
        .value_kind:     global_buffer
      - .address_space:  global
        .offset:         40
        .size:           8
        .value_kind:     global_buffer
      - .address_space:  global
        .offset:         48
        .size:           8
        .value_kind:     global_buffer
      - .address_space:  global
        .offset:         56
        .size:           8
        .value_kind:     global_buffer
      - .address_space:  global
        .offset:         64
        .size:           8
        .value_kind:     global_buffer
    .group_segment_fixed_size: 0
    .kernarg_segment_align: 8
    .kernarg_segment_size: 72
    .language:       OpenCL C
    .language_version:
      - 2
      - 0
    .max_flat_workgroup_size: 256
    .name:           _ZN9rocsparseL18gtsv_LBM_wv_kernelILj256ELj32EfEEviiiPKT1_S3_S3_PS1_S4_S4_Pi
    .private_segment_fixed_size: 0
    .sgpr_count:     37
    .sgpr_spill_count: 0
    .symbol:         _ZN9rocsparseL18gtsv_LBM_wv_kernelILj256ELj32EfEEviiiPKT1_S3_S3_PS1_S4_S4_Pi.kd
    .uniform_work_group_size: 1
    .uses_dynamic_stack: false
    .vgpr_count:     39
    .vgpr_spill_count: 0
    .wavefront_size: 64
  - .agpr_count:     0
    .args:
      - .offset:         0
        .size:           4
        .value_kind:     by_value
      - .offset:         4
        .size:           4
        .value_kind:     by_value
      - .offset:         8
        .size:           4
        .value_kind:     by_value
      - .actual_access:  read_only
        .address_space:  global
        .offset:         16
        .size:           8
        .value_kind:     global_buffer
      - .actual_access:  read_only
        .address_space:  global
        .offset:         24
        .size:           8
        .value_kind:     global_buffer
      - .actual_access:  read_only
        .address_space:  global
        .offset:         32
        .size:           8
        .value_kind:     global_buffer
      - .address_space:  global
        .offset:         40
        .size:           8
        .value_kind:     global_buffer
      - .actual_access:  read_only
        .address_space:  global
        .offset:         48
        .size:           8
        .value_kind:     global_buffer
      - .actual_access:  read_only
        .address_space:  global
        .offset:         56
        .size:           8
        .value_kind:     global_buffer
    .group_segment_fixed_size: 0
    .kernarg_segment_align: 8
    .kernarg_segment_size: 64
    .language:       OpenCL C
    .language_version:
      - 2
      - 0
    .max_flat_workgroup_size: 256
    .name:           _ZN9rocsparseL19gtsv_LBM_rhs_kernelILj256ELj32ELj8EfEEviiiPKT2_S3_S3_PS1_S3_PKi
    .private_segment_fixed_size: 0
    .sgpr_count:     43
    .sgpr_spill_count: 0
    .symbol:         _ZN9rocsparseL19gtsv_LBM_rhs_kernelILj256ELj32ELj8EfEEviiiPKT2_S3_S3_PS1_S3_PKi.kd
    .uniform_work_group_size: 1
    .uses_dynamic_stack: false
    .vgpr_count:     64
    .vgpr_spill_count: 0
    .wavefront_size: 64
  - .agpr_count:     0
    .args:
      - .offset:         0
        .size:           4
        .value_kind:     by_value
      - .offset:         4
        .size:           4
        .value_kind:     by_value
      - .offset:         8
        .size:           4
        .value_kind:     by_value
      - .actual_access:  read_only
        .address_space:  global
        .offset:         16
        .size:           8
        .value_kind:     global_buffer
      - .actual_access:  read_only
        .address_space:  global
        .offset:         24
        .size:           8
        .value_kind:     global_buffer
      - .actual_access:  read_only
        .address_space:  global
        .offset:         32
        .size:           8
        .value_kind:     global_buffer
      - .address_space:  global
        .offset:         40
        .size:           8
        .value_kind:     global_buffer
      - .actual_access:  read_only
        .address_space:  global
        .offset:         48
        .size:           8
        .value_kind:     global_buffer
      - .actual_access:  read_only
        .address_space:  global
        .offset:         56
        .size:           8
        .value_kind:     global_buffer
    .group_segment_fixed_size: 0
    .kernarg_segment_align: 8
    .kernarg_segment_size: 64
    .language:       OpenCL C
    .language_version:
      - 2
      - 0
    .max_flat_workgroup_size: 256
    .name:           _ZN9rocsparseL19gtsv_LBM_rhs_kernelILj256ELj32ELj4EfEEviiiPKT2_S3_S3_PS1_S3_PKi
    .private_segment_fixed_size: 0
    .sgpr_count:     38
    .sgpr_spill_count: 0
    .symbol:         _ZN9rocsparseL19gtsv_LBM_rhs_kernelILj256ELj32ELj4EfEEviiiPKT2_S3_S3_PS1_S3_PKi.kd
    .uniform_work_group_size: 1
    .uses_dynamic_stack: false
    .vgpr_count:     43
    .vgpr_spill_count: 0
    .wavefront_size: 64
  - .agpr_count:     0
    .args:
      - .offset:         0
        .size:           4
        .value_kind:     by_value
      - .offset:         4
        .size:           4
        .value_kind:     by_value
      - .offset:         8
        .size:           4
        .value_kind:     by_value
      - .actual_access:  read_only
        .address_space:  global
        .offset:         16
        .size:           8
        .value_kind:     global_buffer
      - .actual_access:  read_only
        .address_space:  global
        .offset:         24
        .size:           8
        .value_kind:     global_buffer
      - .actual_access:  read_only
        .address_space:  global
        .offset:         32
        .size:           8
        .value_kind:     global_buffer
      - .address_space:  global
        .offset:         40
        .size:           8
        .value_kind:     global_buffer
      - .actual_access:  read_only
        .address_space:  global
        .offset:         48
        .size:           8
        .value_kind:     global_buffer
      - .actual_access:  read_only
        .address_space:  global
        .offset:         56
        .size:           8
        .value_kind:     global_buffer
    .group_segment_fixed_size: 0
    .kernarg_segment_align: 8
    .kernarg_segment_size: 64
    .language:       OpenCL C
    .language_version:
      - 2
      - 0
    .max_flat_workgroup_size: 256
    .name:           _ZN9rocsparseL19gtsv_LBM_rhs_kernelILj256ELj32ELj2EfEEviiiPKT2_S3_S3_PS1_S3_PKi
    .private_segment_fixed_size: 0
    .sgpr_count:     36
    .sgpr_spill_count: 0
    .symbol:         _ZN9rocsparseL19gtsv_LBM_rhs_kernelILj256ELj32ELj2EfEEviiiPKT2_S3_S3_PS1_S3_PKi.kd
    .uniform_work_group_size: 1
    .uses_dynamic_stack: false
    .vgpr_count:     29
    .vgpr_spill_count: 0
    .wavefront_size: 64
  - .agpr_count:     0
    .args:
      - .offset:         0
        .size:           4
        .value_kind:     by_value
      - .offset:         4
        .size:           4
        .value_kind:     by_value
      - .offset:         8
        .size:           4
        .value_kind:     by_value
      - .actual_access:  read_only
        .address_space:  global
        .offset:         16
        .size:           8
        .value_kind:     global_buffer
      - .actual_access:  read_only
        .address_space:  global
        .offset:         24
        .size:           8
        .value_kind:     global_buffer
      - .actual_access:  read_only
        .address_space:  global
        .offset:         32
        .size:           8
        .value_kind:     global_buffer
      - .address_space:  global
        .offset:         40
        .size:           8
        .value_kind:     global_buffer
      - .actual_access:  read_only
        .address_space:  global
        .offset:         48
        .size:           8
        .value_kind:     global_buffer
      - .actual_access:  read_only
        .address_space:  global
        .offset:         56
        .size:           8
        .value_kind:     global_buffer
    .group_segment_fixed_size: 0
    .kernarg_segment_align: 8
    .kernarg_segment_size: 64
    .language:       OpenCL C
    .language_version:
      - 2
      - 0
    .max_flat_workgroup_size: 256
    .name:           _ZN9rocsparseL19gtsv_LBM_rhs_kernelILj256ELj32ELj1EfEEviiiPKT2_S3_S3_PS1_S3_PKi
    .private_segment_fixed_size: 0
    .sgpr_count:     34
    .sgpr_spill_count: 0
    .symbol:         _ZN9rocsparseL19gtsv_LBM_rhs_kernelILj256ELj32ELj1EfEEviiiPKT2_S3_S3_PS1_S3_PKi.kd
    .uniform_work_group_size: 1
    .uses_dynamic_stack: false
    .vgpr_count:     24
    .vgpr_spill_count: 0
    .wavefront_size: 64
  - .agpr_count:     0
    .args:
      - .offset:         0
        .size:           4
        .value_kind:     by_value
      - .offset:         4
        .size:           4
        .value_kind:     by_value
      - .offset:         8
        .size:           4
        .value_kind:     by_value
      - .address_space:  global
        .offset:         16
        .size:           8
        .value_kind:     global_buffer
      - .actual_access:  read_only
        .address_space:  global
        .offset:         24
        .size:           8
        .value_kind:     global_buffer
      - .actual_access:  read_only
        .address_space:  global
        .offset:         32
        .size:           8
        .value_kind:     global_buffer
      - .actual_access:  write_only
        .address_space:  global
        .offset:         40
        .size:           8
        .value_kind:     global_buffer
      - .actual_access:  write_only
        .address_space:  global
        .offset:         48
        .size:           8
        .value_kind:     global_buffer
      - .actual_access:  write_only
        .address_space:  global
        .offset:         56
        .size:           8
        .value_kind:     global_buffer
      - .actual_access:  write_only
        .address_space:  global
        .offset:         64
        .size:           8
        .value_kind:     global_buffer
      - .actual_access:  write_only
        .address_space:  global
        .offset:         72
        .size:           8
        .value_kind:     global_buffer
      - .offset:         80
        .size:           4
        .value_kind:     hidden_block_count_x
      - .offset:         84
        .size:           4
        .value_kind:     hidden_block_count_y
      - .offset:         88
        .size:           4
        .value_kind:     hidden_block_count_z
      - .offset:         92
        .size:           2
        .value_kind:     hidden_group_size_x
      - .offset:         94
        .size:           2
        .value_kind:     hidden_group_size_y
      - .offset:         96
        .size:           2
        .value_kind:     hidden_group_size_z
      - .offset:         98
        .size:           2
        .value_kind:     hidden_remainder_x
      - .offset:         100
        .size:           2
        .value_kind:     hidden_remainder_y
      - .offset:         102
        .size:           2
        .value_kind:     hidden_remainder_z
      - .offset:         120
        .size:           8
        .value_kind:     hidden_global_offset_x
      - .offset:         128
        .size:           8
        .value_kind:     hidden_global_offset_y
      - .offset:         136
        .size:           8
        .value_kind:     hidden_global_offset_z
      - .offset:         144
        .size:           2
        .value_kind:     hidden_grid_dims
    .group_segment_fixed_size: 6144
    .kernarg_segment_align: 8
    .kernarg_segment_size: 336
    .language:       OpenCL C
    .language_version:
      - 2
      - 0
    .max_flat_workgroup_size: 256
    .name:           _ZN9rocsparseL29gtsv_spike_block_level_kernelILj256ELj32EfEEviiiPT1_PKS1_S4_S2_S2_S2_S2_S2_
    .private_segment_fixed_size: 0
    .sgpr_count:     30
    .sgpr_spill_count: 0
    .symbol:         _ZN9rocsparseL29gtsv_spike_block_level_kernelILj256ELj32EfEEviiiPT1_PKS1_S4_S2_S2_S2_S2_S2_.kd
    .uniform_work_group_size: 1
    .uses_dynamic_stack: false
    .vgpr_count:     27
    .vgpr_spill_count: 0
    .wavefront_size: 64
  - .agpr_count:     0
    .args:
      - .offset:         0
        .size:           4
        .value_kind:     by_value
      - .offset:         4
        .size:           4
        .value_kind:     by_value
      - .offset:         8
        .size:           4
        .value_kind:     by_value
      - .address_space:  global
        .offset:         16
        .size:           8
        .value_kind:     global_buffer
      - .actual_access:  read_only
        .address_space:  global
        .offset:         24
        .size:           8
        .value_kind:     global_buffer
      - .actual_access:  read_only
        .address_space:  global
        .offset:         32
        .size:           8
        .value_kind:     global_buffer
      - .actual_access:  read_only
        .address_space:  global
        .offset:         40
        .size:           8
        .value_kind:     global_buffer
      - .offset:         48
        .size:           4
        .value_kind:     hidden_block_count_x
      - .offset:         52
        .size:           4
        .value_kind:     hidden_block_count_y
      - .offset:         56
        .size:           4
        .value_kind:     hidden_block_count_z
      - .offset:         60
        .size:           2
        .value_kind:     hidden_group_size_x
      - .offset:         62
        .size:           2
        .value_kind:     hidden_group_size_y
      - .offset:         64
        .size:           2
        .value_kind:     hidden_group_size_z
      - .offset:         66
        .size:           2
        .value_kind:     hidden_remainder_x
      - .offset:         68
        .size:           2
        .value_kind:     hidden_remainder_y
      - .offset:         70
        .size:           2
        .value_kind:     hidden_remainder_z
      - .offset:         88
        .size:           8
        .value_kind:     hidden_global_offset_x
      - .offset:         96
        .size:           8
        .value_kind:     hidden_global_offset_y
      - .offset:         104
        .size:           8
        .value_kind:     hidden_global_offset_z
      - .offset:         112
        .size:           2
        .value_kind:     hidden_grid_dims
    .group_segment_fixed_size: 6160
    .kernarg_segment_align: 8
    .kernarg_segment_size: 304
    .language:       OpenCL C
    .language_version:
      - 2
      - 0
    .max_flat_workgroup_size: 256
    .name:           _ZN9rocsparseL33gtsv_solve_spike_propagate_kernelILj256ELj32EfEEviiiPT1_PKS1_S4_S4_
    .private_segment_fixed_size: 0
    .sgpr_count:     22
    .sgpr_spill_count: 0
    .symbol:         _ZN9rocsparseL33gtsv_solve_spike_propagate_kernelILj256ELj32EfEEviiiPT1_PKS1_S4_S4_.kd
    .uniform_work_group_size: 1
    .uses_dynamic_stack: false
    .vgpr_count:     13
    .vgpr_spill_count: 0
    .wavefront_size: 64
  - .agpr_count:     0
    .args:
      - .offset:         0
        .size:           4
        .value_kind:     by_value
      - .offset:         4
        .size:           4
        .value_kind:     by_value
      - .offset:         8
        .size:           4
        .value_kind:     by_value
      - .address_space:  global
        .offset:         16
        .size:           8
        .value_kind:     global_buffer
      - .actual_access:  read_only
        .address_space:  global
        .offset:         24
        .size:           8
        .value_kind:     global_buffer
      - .actual_access:  read_only
        .address_space:  global
        .offset:         32
        .size:           8
        .value_kind:     global_buffer
    .group_segment_fixed_size: 0
    .kernarg_segment_align: 8
    .kernarg_segment_size: 40
    .language:       OpenCL C
    .language_version:
      - 2
      - 0
    .max_flat_workgroup_size: 256
    .name:           _ZN9rocsparseL39gtsv_spike_backward_substitution_kernelILj256ELj32EfEEviiiPT1_PKS1_S4_
    .private_segment_fixed_size: 0
    .sgpr_count:     18
    .sgpr_spill_count: 0
    .symbol:         _ZN9rocsparseL39gtsv_spike_backward_substitution_kernelILj256ELj32EfEEviiiPT1_PKS1_S4_.kd
    .uniform_work_group_size: 1
    .uses_dynamic_stack: false
    .vgpr_count:     27
    .vgpr_spill_count: 0
    .wavefront_size: 64
  - .agpr_count:     0
    .args:
      - .offset:         0
        .size:           4
        .value_kind:     by_value
      - .offset:         4
        .size:           4
        .value_kind:     by_value
      - .offset:         8
        .size:           4
        .value_kind:     by_value
      - .actual_access:  read_only
        .address_space:  global
        .offset:         16
        .size:           8
        .value_kind:     global_buffer
      - .actual_access:  write_only
        .address_space:  global
        .offset:         24
        .size:           8
        .value_kind:     global_buffer
    .group_segment_fixed_size: 0
    .kernarg_segment_align: 8
    .kernarg_segment_size: 32
    .language:       OpenCL C
    .language_version:
      - 2
      - 0
    .max_flat_workgroup_size: 256
    .name:           _ZN9rocsparseL32gtsv_transpose_back_array_kernelILj256ELj32EfEEviiiPKT1_PS1_
    .private_segment_fixed_size: 0
    .sgpr_count:     18
    .sgpr_spill_count: 0
    .symbol:         _ZN9rocsparseL32gtsv_transpose_back_array_kernelILj256ELj32EfEEviiiPKT1_PS1_.kd
    .uniform_work_group_size: 1
    .uses_dynamic_stack: false
    .vgpr_count:     5
    .vgpr_spill_count: 0
    .wavefront_size: 64
  - .agpr_count:     0
    .args:
      - .offset:         0
        .size:           4
        .value_kind:     by_value
      - .offset:         4
        .size:           4
        .value_kind:     by_value
      - .offset:         8
        .size:           4
        .value_kind:     by_value
      - .actual_access:  read_only
        .address_space:  global
        .offset:         16
        .size:           8
        .value_kind:     global_buffer
      - .actual_access:  write_only
        .address_space:  global
        .offset:         24
        .size:           8
        .value_kind:     global_buffer
      - .offset:         32
        .size:           4
        .value_kind:     by_value
    .group_segment_fixed_size: 1024
    .kernarg_segment_align: 8
    .kernarg_segment_size: 36
    .language:       OpenCL C
    .language_version:
      - 2
      - 0
    .max_flat_workgroup_size: 256
    .name:           _ZN9rocsparseL42gtsv_transpose_and_pad_array_shared_kernelILj256ELj64EfEEviiiPKT1_PS1_S1_
    .private_segment_fixed_size: 0
    .sgpr_count:     18
    .sgpr_spill_count: 0
    .symbol:         _ZN9rocsparseL42gtsv_transpose_and_pad_array_shared_kernelILj256ELj64EfEEviiiPKT1_PS1_S1_.kd
    .uniform_work_group_size: 1
    .uses_dynamic_stack: false
    .vgpr_count:     5
    .vgpr_spill_count: 0
    .wavefront_size: 64
  - .agpr_count:     0
    .args:
      - .offset:         0
        .size:           4
        .value_kind:     by_value
      - .offset:         4
        .size:           4
        .value_kind:     by_value
      - .offset:         8
        .size:           4
        .value_kind:     by_value
      - .actual_access:  read_only
        .address_space:  global
        .offset:         16
        .size:           8
        .value_kind:     global_buffer
      - .actual_access:  read_only
        .address_space:  global
        .offset:         24
        .size:           8
        .value_kind:     global_buffer
      - .actual_access:  read_only
        .address_space:  global
        .offset:         32
        .size:           8
        .value_kind:     global_buffer
      - .address_space:  global
        .offset:         40
        .size:           8
        .value_kind:     global_buffer
      - .address_space:  global
        .offset:         48
        .size:           8
        .value_kind:     global_buffer
      - .address_space:  global
        .offset:         56
        .size:           8
        .value_kind:     global_buffer
      - .address_space:  global
        .offset:         64
        .size:           8
        .value_kind:     global_buffer
    .group_segment_fixed_size: 0
    .kernarg_segment_align: 8
    .kernarg_segment_size: 72
    .language:       OpenCL C
    .language_version:
      - 2
      - 0
    .max_flat_workgroup_size: 256
    .name:           _ZN9rocsparseL18gtsv_LBM_wv_kernelILj256ELj64EfEEviiiPKT1_S3_S3_PS1_S4_S4_Pi
    .private_segment_fixed_size: 0
    .sgpr_count:     37
    .sgpr_spill_count: 0
    .symbol:         _ZN9rocsparseL18gtsv_LBM_wv_kernelILj256ELj64EfEEviiiPKT1_S3_S3_PS1_S4_S4_Pi.kd
    .uniform_work_group_size: 1
    .uses_dynamic_stack: false
    .vgpr_count:     39
    .vgpr_spill_count: 0
    .wavefront_size: 64
  - .agpr_count:     0
    .args:
      - .offset:         0
        .size:           4
        .value_kind:     by_value
      - .offset:         4
        .size:           4
        .value_kind:     by_value
      - .offset:         8
        .size:           4
        .value_kind:     by_value
      - .actual_access:  read_only
        .address_space:  global
        .offset:         16
        .size:           8
        .value_kind:     global_buffer
      - .actual_access:  read_only
        .address_space:  global
        .offset:         24
        .size:           8
        .value_kind:     global_buffer
      - .actual_access:  read_only
        .address_space:  global
        .offset:         32
        .size:           8
        .value_kind:     global_buffer
      - .address_space:  global
        .offset:         40
        .size:           8
        .value_kind:     global_buffer
      - .actual_access:  read_only
        .address_space:  global
        .offset:         48
        .size:           8
        .value_kind:     global_buffer
      - .actual_access:  read_only
        .address_space:  global
        .offset:         56
        .size:           8
        .value_kind:     global_buffer
    .group_segment_fixed_size: 0
    .kernarg_segment_align: 8
    .kernarg_segment_size: 64
    .language:       OpenCL C
    .language_version:
      - 2
      - 0
    .max_flat_workgroup_size: 256
    .name:           _ZN9rocsparseL19gtsv_LBM_rhs_kernelILj256ELj64ELj8EfEEviiiPKT2_S3_S3_PS1_S3_PKi
    .private_segment_fixed_size: 0
    .sgpr_count:     43
    .sgpr_spill_count: 0
    .symbol:         _ZN9rocsparseL19gtsv_LBM_rhs_kernelILj256ELj64ELj8EfEEviiiPKT2_S3_S3_PS1_S3_PKi.kd
    .uniform_work_group_size: 1
    .uses_dynamic_stack: false
    .vgpr_count:     64
    .vgpr_spill_count: 0
    .wavefront_size: 64
  - .agpr_count:     0
    .args:
      - .offset:         0
        .size:           4
        .value_kind:     by_value
      - .offset:         4
        .size:           4
        .value_kind:     by_value
      - .offset:         8
        .size:           4
        .value_kind:     by_value
      - .actual_access:  read_only
        .address_space:  global
        .offset:         16
        .size:           8
        .value_kind:     global_buffer
      - .actual_access:  read_only
        .address_space:  global
        .offset:         24
        .size:           8
        .value_kind:     global_buffer
      - .actual_access:  read_only
        .address_space:  global
        .offset:         32
        .size:           8
        .value_kind:     global_buffer
      - .address_space:  global
        .offset:         40
        .size:           8
        .value_kind:     global_buffer
      - .actual_access:  read_only
        .address_space:  global
        .offset:         48
        .size:           8
        .value_kind:     global_buffer
      - .actual_access:  read_only
        .address_space:  global
        .offset:         56
        .size:           8
        .value_kind:     global_buffer
    .group_segment_fixed_size: 0
    .kernarg_segment_align: 8
    .kernarg_segment_size: 64
    .language:       OpenCL C
    .language_version:
      - 2
      - 0
    .max_flat_workgroup_size: 256
    .name:           _ZN9rocsparseL19gtsv_LBM_rhs_kernelILj256ELj64ELj4EfEEviiiPKT2_S3_S3_PS1_S3_PKi
    .private_segment_fixed_size: 0
    .sgpr_count:     38
    .sgpr_spill_count: 0
    .symbol:         _ZN9rocsparseL19gtsv_LBM_rhs_kernelILj256ELj64ELj4EfEEviiiPKT2_S3_S3_PS1_S3_PKi.kd
    .uniform_work_group_size: 1
    .uses_dynamic_stack: false
    .vgpr_count:     43
    .vgpr_spill_count: 0
    .wavefront_size: 64
  - .agpr_count:     0
    .args:
      - .offset:         0
        .size:           4
        .value_kind:     by_value
      - .offset:         4
        .size:           4
        .value_kind:     by_value
      - .offset:         8
        .size:           4
        .value_kind:     by_value
      - .actual_access:  read_only
        .address_space:  global
        .offset:         16
        .size:           8
        .value_kind:     global_buffer
      - .actual_access:  read_only
        .address_space:  global
        .offset:         24
        .size:           8
        .value_kind:     global_buffer
      - .actual_access:  read_only
        .address_space:  global
        .offset:         32
        .size:           8
        .value_kind:     global_buffer
      - .address_space:  global
        .offset:         40
        .size:           8
        .value_kind:     global_buffer
      - .actual_access:  read_only
        .address_space:  global
        .offset:         48
        .size:           8
        .value_kind:     global_buffer
      - .actual_access:  read_only
        .address_space:  global
        .offset:         56
        .size:           8
        .value_kind:     global_buffer
    .group_segment_fixed_size: 0
    .kernarg_segment_align: 8
    .kernarg_segment_size: 64
    .language:       OpenCL C
    .language_version:
      - 2
      - 0
    .max_flat_workgroup_size: 256
    .name:           _ZN9rocsparseL19gtsv_LBM_rhs_kernelILj256ELj64ELj2EfEEviiiPKT2_S3_S3_PS1_S3_PKi
    .private_segment_fixed_size: 0
    .sgpr_count:     36
    .sgpr_spill_count: 0
    .symbol:         _ZN9rocsparseL19gtsv_LBM_rhs_kernelILj256ELj64ELj2EfEEviiiPKT2_S3_S3_PS1_S3_PKi.kd
    .uniform_work_group_size: 1
    .uses_dynamic_stack: false
    .vgpr_count:     29
    .vgpr_spill_count: 0
    .wavefront_size: 64
  - .agpr_count:     0
    .args:
      - .offset:         0
        .size:           4
        .value_kind:     by_value
      - .offset:         4
        .size:           4
        .value_kind:     by_value
      - .offset:         8
        .size:           4
        .value_kind:     by_value
      - .actual_access:  read_only
        .address_space:  global
        .offset:         16
        .size:           8
        .value_kind:     global_buffer
      - .actual_access:  read_only
        .address_space:  global
        .offset:         24
        .size:           8
        .value_kind:     global_buffer
      - .actual_access:  read_only
        .address_space:  global
        .offset:         32
        .size:           8
        .value_kind:     global_buffer
      - .address_space:  global
        .offset:         40
        .size:           8
        .value_kind:     global_buffer
      - .actual_access:  read_only
        .address_space:  global
        .offset:         48
        .size:           8
        .value_kind:     global_buffer
      - .actual_access:  read_only
        .address_space:  global
        .offset:         56
        .size:           8
        .value_kind:     global_buffer
    .group_segment_fixed_size: 0
    .kernarg_segment_align: 8
    .kernarg_segment_size: 64
    .language:       OpenCL C
    .language_version:
      - 2
      - 0
    .max_flat_workgroup_size: 256
    .name:           _ZN9rocsparseL19gtsv_LBM_rhs_kernelILj256ELj64ELj1EfEEviiiPKT2_S3_S3_PS1_S3_PKi
    .private_segment_fixed_size: 0
    .sgpr_count:     34
    .sgpr_spill_count: 0
    .symbol:         _ZN9rocsparseL19gtsv_LBM_rhs_kernelILj256ELj64ELj1EfEEviiiPKT2_S3_S3_PS1_S3_PKi.kd
    .uniform_work_group_size: 1
    .uses_dynamic_stack: false
    .vgpr_count:     24
    .vgpr_spill_count: 0
    .wavefront_size: 64
  - .agpr_count:     0
    .args:
      - .offset:         0
        .size:           4
        .value_kind:     by_value
      - .offset:         4
        .size:           4
        .value_kind:     by_value
      - .offset:         8
        .size:           4
        .value_kind:     by_value
      - .address_space:  global
        .offset:         16
        .size:           8
        .value_kind:     global_buffer
      - .actual_access:  read_only
        .address_space:  global
        .offset:         24
        .size:           8
        .value_kind:     global_buffer
      - .actual_access:  read_only
        .address_space:  global
        .offset:         32
        .size:           8
        .value_kind:     global_buffer
      - .actual_access:  write_only
        .address_space:  global
        .offset:         40
        .size:           8
        .value_kind:     global_buffer
      - .actual_access:  write_only
        .address_space:  global
        .offset:         48
        .size:           8
        .value_kind:     global_buffer
      - .actual_access:  write_only
        .address_space:  global
        .offset:         56
        .size:           8
        .value_kind:     global_buffer
      - .actual_access:  write_only
        .address_space:  global
        .offset:         64
        .size:           8
        .value_kind:     global_buffer
      - .actual_access:  write_only
        .address_space:  global
        .offset:         72
        .size:           8
        .value_kind:     global_buffer
      - .offset:         80
        .size:           4
        .value_kind:     hidden_block_count_x
      - .offset:         84
        .size:           4
        .value_kind:     hidden_block_count_y
      - .offset:         88
        .size:           4
        .value_kind:     hidden_block_count_z
      - .offset:         92
        .size:           2
        .value_kind:     hidden_group_size_x
      - .offset:         94
        .size:           2
        .value_kind:     hidden_group_size_y
      - .offset:         96
        .size:           2
        .value_kind:     hidden_group_size_z
      - .offset:         98
        .size:           2
        .value_kind:     hidden_remainder_x
      - .offset:         100
        .size:           2
        .value_kind:     hidden_remainder_y
      - .offset:         102
        .size:           2
        .value_kind:     hidden_remainder_z
      - .offset:         120
        .size:           8
        .value_kind:     hidden_global_offset_x
      - .offset:         128
        .size:           8
        .value_kind:     hidden_global_offset_y
      - .offset:         136
        .size:           8
        .value_kind:     hidden_global_offset_z
      - .offset:         144
        .size:           2
        .value_kind:     hidden_grid_dims
    .group_segment_fixed_size: 6144
    .kernarg_segment_align: 8
    .kernarg_segment_size: 336
    .language:       OpenCL C
    .language_version:
      - 2
      - 0
    .max_flat_workgroup_size: 256
    .name:           _ZN9rocsparseL29gtsv_spike_block_level_kernelILj256ELj64EfEEviiiPT1_PKS1_S4_S2_S2_S2_S2_S2_
    .private_segment_fixed_size: 0
    .sgpr_count:     30
    .sgpr_spill_count: 0
    .symbol:         _ZN9rocsparseL29gtsv_spike_block_level_kernelILj256ELj64EfEEviiiPT1_PKS1_S4_S2_S2_S2_S2_S2_.kd
    .uniform_work_group_size: 1
    .uses_dynamic_stack: false
    .vgpr_count:     27
    .vgpr_spill_count: 0
    .wavefront_size: 64
  - .agpr_count:     0
    .args:
      - .offset:         0
        .size:           4
        .value_kind:     by_value
      - .offset:         4
        .size:           4
        .value_kind:     by_value
      - .offset:         8
        .size:           4
        .value_kind:     by_value
      - .address_space:  global
        .offset:         16
        .size:           8
        .value_kind:     global_buffer
      - .actual_access:  read_only
        .address_space:  global
        .offset:         24
        .size:           8
        .value_kind:     global_buffer
      - .actual_access:  read_only
        .address_space:  global
        .offset:         32
        .size:           8
        .value_kind:     global_buffer
      - .actual_access:  read_only
        .address_space:  global
        .offset:         40
        .size:           8
        .value_kind:     global_buffer
      - .offset:         48
        .size:           4
        .value_kind:     hidden_block_count_x
      - .offset:         52
        .size:           4
        .value_kind:     hidden_block_count_y
      - .offset:         56
        .size:           4
        .value_kind:     hidden_block_count_z
      - .offset:         60
        .size:           2
        .value_kind:     hidden_group_size_x
      - .offset:         62
        .size:           2
        .value_kind:     hidden_group_size_y
      - .offset:         64
        .size:           2
        .value_kind:     hidden_group_size_z
      - .offset:         66
        .size:           2
        .value_kind:     hidden_remainder_x
      - .offset:         68
        .size:           2
        .value_kind:     hidden_remainder_y
      - .offset:         70
        .size:           2
        .value_kind:     hidden_remainder_z
      - .offset:         88
        .size:           8
        .value_kind:     hidden_global_offset_x
      - .offset:         96
        .size:           8
        .value_kind:     hidden_global_offset_y
      - .offset:         104
        .size:           8
        .value_kind:     hidden_global_offset_z
      - .offset:         112
        .size:           2
        .value_kind:     hidden_grid_dims
    .group_segment_fixed_size: 6160
    .kernarg_segment_align: 8
    .kernarg_segment_size: 304
    .language:       OpenCL C
    .language_version:
      - 2
      - 0
    .max_flat_workgroup_size: 256
    .name:           _ZN9rocsparseL33gtsv_solve_spike_propagate_kernelILj256ELj64EfEEviiiPT1_PKS1_S4_S4_
    .private_segment_fixed_size: 0
    .sgpr_count:     22
    .sgpr_spill_count: 0
    .symbol:         _ZN9rocsparseL33gtsv_solve_spike_propagate_kernelILj256ELj64EfEEviiiPT1_PKS1_S4_S4_.kd
    .uniform_work_group_size: 1
    .uses_dynamic_stack: false
    .vgpr_count:     13
    .vgpr_spill_count: 0
    .wavefront_size: 64
  - .agpr_count:     0
    .args:
      - .offset:         0
        .size:           4
        .value_kind:     by_value
      - .offset:         4
        .size:           4
        .value_kind:     by_value
      - .offset:         8
        .size:           4
        .value_kind:     by_value
      - .address_space:  global
        .offset:         16
        .size:           8
        .value_kind:     global_buffer
      - .actual_access:  read_only
        .address_space:  global
        .offset:         24
        .size:           8
        .value_kind:     global_buffer
      - .actual_access:  read_only
        .address_space:  global
        .offset:         32
        .size:           8
        .value_kind:     global_buffer
    .group_segment_fixed_size: 0
    .kernarg_segment_align: 8
    .kernarg_segment_size: 40
    .language:       OpenCL C
    .language_version:
      - 2
      - 0
    .max_flat_workgroup_size: 256
    .name:           _ZN9rocsparseL39gtsv_spike_backward_substitution_kernelILj256ELj64EfEEviiiPT1_PKS1_S4_
    .private_segment_fixed_size: 0
    .sgpr_count:     18
    .sgpr_spill_count: 0
    .symbol:         _ZN9rocsparseL39gtsv_spike_backward_substitution_kernelILj256ELj64EfEEviiiPT1_PKS1_S4_.kd
    .uniform_work_group_size: 1
    .uses_dynamic_stack: false
    .vgpr_count:     20
    .vgpr_spill_count: 0
    .wavefront_size: 64
  - .agpr_count:     0
    .args:
      - .offset:         0
        .size:           4
        .value_kind:     by_value
      - .offset:         4
        .size:           4
        .value_kind:     by_value
      - .offset:         8
        .size:           4
        .value_kind:     by_value
      - .actual_access:  read_only
        .address_space:  global
        .offset:         16
        .size:           8
        .value_kind:     global_buffer
      - .actual_access:  write_only
        .address_space:  global
        .offset:         24
        .size:           8
        .value_kind:     global_buffer
    .group_segment_fixed_size: 0
    .kernarg_segment_align: 8
    .kernarg_segment_size: 32
    .language:       OpenCL C
    .language_version:
      - 2
      - 0
    .max_flat_workgroup_size: 256
    .name:           _ZN9rocsparseL32gtsv_transpose_back_array_kernelILj256ELj64EfEEviiiPKT1_PS1_
    .private_segment_fixed_size: 0
    .sgpr_count:     18
    .sgpr_spill_count: 0
    .symbol:         _ZN9rocsparseL32gtsv_transpose_back_array_kernelILj256ELj64EfEEviiiPKT1_PS1_.kd
    .uniform_work_group_size: 1
    .uses_dynamic_stack: false
    .vgpr_count:     5
    .vgpr_spill_count: 0
    .wavefront_size: 64
  - .agpr_count:     0
    .args:
      - .offset:         0
        .size:           4
        .value_kind:     by_value
      - .offset:         4
        .size:           4
        .value_kind:     by_value
      - .offset:         8
        .size:           4
        .value_kind:     by_value
      - .actual_access:  read_only
        .address_space:  global
        .offset:         16
        .size:           8
        .value_kind:     global_buffer
      - .actual_access:  write_only
        .address_space:  global
        .offset:         24
        .size:           8
        .value_kind:     global_buffer
      - .offset:         32
        .size:           4
        .value_kind:     by_value
    .group_segment_fixed_size: 1024
    .kernarg_segment_align: 8
    .kernarg_segment_size: 36
    .language:       OpenCL C
    .language_version:
      - 2
      - 0
    .max_flat_workgroup_size: 256
    .name:           _ZN9rocsparseL42gtsv_transpose_and_pad_array_shared_kernelILj256ELj128EfEEviiiPKT1_PS1_S1_
    .private_segment_fixed_size: 0
    .sgpr_count:     18
    .sgpr_spill_count: 0
    .symbol:         _ZN9rocsparseL42gtsv_transpose_and_pad_array_shared_kernelILj256ELj128EfEEviiiPKT1_PS1_S1_.kd
    .uniform_work_group_size: 1
    .uses_dynamic_stack: false
    .vgpr_count:     5
    .vgpr_spill_count: 0
    .wavefront_size: 64
  - .agpr_count:     0
    .args:
      - .offset:         0
        .size:           4
        .value_kind:     by_value
      - .offset:         4
        .size:           4
        .value_kind:     by_value
      - .offset:         8
        .size:           4
        .value_kind:     by_value
      - .actual_access:  read_only
        .address_space:  global
        .offset:         16
        .size:           8
        .value_kind:     global_buffer
      - .actual_access:  read_only
        .address_space:  global
        .offset:         24
        .size:           8
        .value_kind:     global_buffer
      - .actual_access:  read_only
        .address_space:  global
        .offset:         32
        .size:           8
        .value_kind:     global_buffer
      - .address_space:  global
        .offset:         40
        .size:           8
        .value_kind:     global_buffer
      - .address_space:  global
        .offset:         48
        .size:           8
        .value_kind:     global_buffer
      - .address_space:  global
        .offset:         56
        .size:           8
        .value_kind:     global_buffer
      - .address_space:  global
        .offset:         64
        .size:           8
        .value_kind:     global_buffer
    .group_segment_fixed_size: 0
    .kernarg_segment_align: 8
    .kernarg_segment_size: 72
    .language:       OpenCL C
    .language_version:
      - 2
      - 0
    .max_flat_workgroup_size: 256
    .name:           _ZN9rocsparseL18gtsv_LBM_wv_kernelILj256ELj128EfEEviiiPKT1_S3_S3_PS1_S4_S4_Pi
    .private_segment_fixed_size: 0
    .sgpr_count:     37
    .sgpr_spill_count: 0
    .symbol:         _ZN9rocsparseL18gtsv_LBM_wv_kernelILj256ELj128EfEEviiiPKT1_S3_S3_PS1_S4_S4_Pi.kd
    .uniform_work_group_size: 1
    .uses_dynamic_stack: false
    .vgpr_count:     39
    .vgpr_spill_count: 0
    .wavefront_size: 64
  - .agpr_count:     0
    .args:
      - .offset:         0
        .size:           4
        .value_kind:     by_value
      - .offset:         4
        .size:           4
        .value_kind:     by_value
      - .offset:         8
        .size:           4
        .value_kind:     by_value
      - .actual_access:  read_only
        .address_space:  global
        .offset:         16
        .size:           8
        .value_kind:     global_buffer
      - .actual_access:  read_only
        .address_space:  global
        .offset:         24
        .size:           8
        .value_kind:     global_buffer
      - .actual_access:  read_only
        .address_space:  global
        .offset:         32
        .size:           8
        .value_kind:     global_buffer
      - .address_space:  global
        .offset:         40
        .size:           8
        .value_kind:     global_buffer
      - .actual_access:  read_only
        .address_space:  global
        .offset:         48
        .size:           8
        .value_kind:     global_buffer
      - .actual_access:  read_only
        .address_space:  global
        .offset:         56
        .size:           8
        .value_kind:     global_buffer
    .group_segment_fixed_size: 0
    .kernarg_segment_align: 8
    .kernarg_segment_size: 64
    .language:       OpenCL C
    .language_version:
      - 2
      - 0
    .max_flat_workgroup_size: 256
    .name:           _ZN9rocsparseL19gtsv_LBM_rhs_kernelILj256ELj128ELj8EfEEviiiPKT2_S3_S3_PS1_S3_PKi
    .private_segment_fixed_size: 0
    .sgpr_count:     43
    .sgpr_spill_count: 0
    .symbol:         _ZN9rocsparseL19gtsv_LBM_rhs_kernelILj256ELj128ELj8EfEEviiiPKT2_S3_S3_PS1_S3_PKi.kd
    .uniform_work_group_size: 1
    .uses_dynamic_stack: false
    .vgpr_count:     64
    .vgpr_spill_count: 0
    .wavefront_size: 64
  - .agpr_count:     0
    .args:
      - .offset:         0
        .size:           4
        .value_kind:     by_value
      - .offset:         4
        .size:           4
        .value_kind:     by_value
      - .offset:         8
        .size:           4
        .value_kind:     by_value
      - .actual_access:  read_only
        .address_space:  global
        .offset:         16
        .size:           8
        .value_kind:     global_buffer
      - .actual_access:  read_only
        .address_space:  global
        .offset:         24
        .size:           8
        .value_kind:     global_buffer
      - .actual_access:  read_only
        .address_space:  global
        .offset:         32
        .size:           8
        .value_kind:     global_buffer
      - .address_space:  global
        .offset:         40
        .size:           8
        .value_kind:     global_buffer
      - .actual_access:  read_only
        .address_space:  global
        .offset:         48
        .size:           8
        .value_kind:     global_buffer
      - .actual_access:  read_only
        .address_space:  global
        .offset:         56
        .size:           8
        .value_kind:     global_buffer
    .group_segment_fixed_size: 0
    .kernarg_segment_align: 8
    .kernarg_segment_size: 64
    .language:       OpenCL C
    .language_version:
      - 2
      - 0
    .max_flat_workgroup_size: 256
    .name:           _ZN9rocsparseL19gtsv_LBM_rhs_kernelILj256ELj128ELj4EfEEviiiPKT2_S3_S3_PS1_S3_PKi
    .private_segment_fixed_size: 0
    .sgpr_count:     38
    .sgpr_spill_count: 0
    .symbol:         _ZN9rocsparseL19gtsv_LBM_rhs_kernelILj256ELj128ELj4EfEEviiiPKT2_S3_S3_PS1_S3_PKi.kd
    .uniform_work_group_size: 1
    .uses_dynamic_stack: false
    .vgpr_count:     43
    .vgpr_spill_count: 0
    .wavefront_size: 64
  - .agpr_count:     0
    .args:
      - .offset:         0
        .size:           4
        .value_kind:     by_value
      - .offset:         4
        .size:           4
        .value_kind:     by_value
      - .offset:         8
        .size:           4
        .value_kind:     by_value
      - .actual_access:  read_only
        .address_space:  global
        .offset:         16
        .size:           8
        .value_kind:     global_buffer
      - .actual_access:  read_only
        .address_space:  global
        .offset:         24
        .size:           8
        .value_kind:     global_buffer
      - .actual_access:  read_only
        .address_space:  global
        .offset:         32
        .size:           8
        .value_kind:     global_buffer
      - .address_space:  global
        .offset:         40
        .size:           8
        .value_kind:     global_buffer
      - .actual_access:  read_only
        .address_space:  global
        .offset:         48
        .size:           8
        .value_kind:     global_buffer
      - .actual_access:  read_only
        .address_space:  global
        .offset:         56
        .size:           8
        .value_kind:     global_buffer
    .group_segment_fixed_size: 0
    .kernarg_segment_align: 8
    .kernarg_segment_size: 64
    .language:       OpenCL C
    .language_version:
      - 2
      - 0
    .max_flat_workgroup_size: 256
    .name:           _ZN9rocsparseL19gtsv_LBM_rhs_kernelILj256ELj128ELj2EfEEviiiPKT2_S3_S3_PS1_S3_PKi
    .private_segment_fixed_size: 0
    .sgpr_count:     36
    .sgpr_spill_count: 0
    .symbol:         _ZN9rocsparseL19gtsv_LBM_rhs_kernelILj256ELj128ELj2EfEEviiiPKT2_S3_S3_PS1_S3_PKi.kd
    .uniform_work_group_size: 1
    .uses_dynamic_stack: false
    .vgpr_count:     29
    .vgpr_spill_count: 0
    .wavefront_size: 64
  - .agpr_count:     0
    .args:
      - .offset:         0
        .size:           4
        .value_kind:     by_value
      - .offset:         4
        .size:           4
        .value_kind:     by_value
      - .offset:         8
        .size:           4
        .value_kind:     by_value
      - .actual_access:  read_only
        .address_space:  global
        .offset:         16
        .size:           8
        .value_kind:     global_buffer
      - .actual_access:  read_only
        .address_space:  global
        .offset:         24
        .size:           8
        .value_kind:     global_buffer
      - .actual_access:  read_only
        .address_space:  global
        .offset:         32
        .size:           8
        .value_kind:     global_buffer
      - .address_space:  global
        .offset:         40
        .size:           8
        .value_kind:     global_buffer
      - .actual_access:  read_only
        .address_space:  global
        .offset:         48
        .size:           8
        .value_kind:     global_buffer
      - .actual_access:  read_only
        .address_space:  global
        .offset:         56
        .size:           8
        .value_kind:     global_buffer
    .group_segment_fixed_size: 0
    .kernarg_segment_align: 8
    .kernarg_segment_size: 64
    .language:       OpenCL C
    .language_version:
      - 2
      - 0
    .max_flat_workgroup_size: 256
    .name:           _ZN9rocsparseL19gtsv_LBM_rhs_kernelILj256ELj128ELj1EfEEviiiPKT2_S3_S3_PS1_S3_PKi
    .private_segment_fixed_size: 0
    .sgpr_count:     34
    .sgpr_spill_count: 0
    .symbol:         _ZN9rocsparseL19gtsv_LBM_rhs_kernelILj256ELj128ELj1EfEEviiiPKT2_S3_S3_PS1_S3_PKi.kd
    .uniform_work_group_size: 1
    .uses_dynamic_stack: false
    .vgpr_count:     24
    .vgpr_spill_count: 0
    .wavefront_size: 64
  - .agpr_count:     0
    .args:
      - .offset:         0
        .size:           4
        .value_kind:     by_value
      - .offset:         4
        .size:           4
        .value_kind:     by_value
      - .offset:         8
        .size:           4
        .value_kind:     by_value
      - .address_space:  global
        .offset:         16
        .size:           8
        .value_kind:     global_buffer
      - .actual_access:  read_only
        .address_space:  global
        .offset:         24
        .size:           8
        .value_kind:     global_buffer
      - .actual_access:  read_only
        .address_space:  global
        .offset:         32
        .size:           8
        .value_kind:     global_buffer
      - .actual_access:  write_only
        .address_space:  global
        .offset:         40
        .size:           8
        .value_kind:     global_buffer
      - .actual_access:  write_only
        .address_space:  global
        .offset:         48
        .size:           8
        .value_kind:     global_buffer
      - .actual_access:  write_only
        .address_space:  global
        .offset:         56
        .size:           8
        .value_kind:     global_buffer
      - .actual_access:  write_only
        .address_space:  global
        .offset:         64
        .size:           8
        .value_kind:     global_buffer
      - .actual_access:  write_only
        .address_space:  global
        .offset:         72
        .size:           8
        .value_kind:     global_buffer
      - .offset:         80
        .size:           4
        .value_kind:     hidden_block_count_x
      - .offset:         84
        .size:           4
        .value_kind:     hidden_block_count_y
      - .offset:         88
        .size:           4
        .value_kind:     hidden_block_count_z
      - .offset:         92
        .size:           2
        .value_kind:     hidden_group_size_x
      - .offset:         94
        .size:           2
        .value_kind:     hidden_group_size_y
      - .offset:         96
        .size:           2
        .value_kind:     hidden_group_size_z
      - .offset:         98
        .size:           2
        .value_kind:     hidden_remainder_x
      - .offset:         100
        .size:           2
        .value_kind:     hidden_remainder_y
      - .offset:         102
        .size:           2
        .value_kind:     hidden_remainder_z
      - .offset:         120
        .size:           8
        .value_kind:     hidden_global_offset_x
      - .offset:         128
        .size:           8
        .value_kind:     hidden_global_offset_y
      - .offset:         136
        .size:           8
        .value_kind:     hidden_global_offset_z
      - .offset:         144
        .size:           2
        .value_kind:     hidden_grid_dims
    .group_segment_fixed_size: 6144
    .kernarg_segment_align: 8
    .kernarg_segment_size: 336
    .language:       OpenCL C
    .language_version:
      - 2
      - 0
    .max_flat_workgroup_size: 256
    .name:           _ZN9rocsparseL29gtsv_spike_block_level_kernelILj256ELj128EfEEviiiPT1_PKS1_S4_S2_S2_S2_S2_S2_
    .private_segment_fixed_size: 0
    .sgpr_count:     30
    .sgpr_spill_count: 0
    .symbol:         _ZN9rocsparseL29gtsv_spike_block_level_kernelILj256ELj128EfEEviiiPT1_PKS1_S4_S2_S2_S2_S2_S2_.kd
    .uniform_work_group_size: 1
    .uses_dynamic_stack: false
    .vgpr_count:     27
    .vgpr_spill_count: 0
    .wavefront_size: 64
  - .agpr_count:     0
    .args:
      - .offset:         0
        .size:           4
        .value_kind:     by_value
      - .offset:         4
        .size:           4
        .value_kind:     by_value
      - .offset:         8
        .size:           4
        .value_kind:     by_value
      - .address_space:  global
        .offset:         16
        .size:           8
        .value_kind:     global_buffer
      - .actual_access:  read_only
        .address_space:  global
        .offset:         24
        .size:           8
        .value_kind:     global_buffer
      - .actual_access:  read_only
        .address_space:  global
        .offset:         32
        .size:           8
        .value_kind:     global_buffer
      - .actual_access:  read_only
        .address_space:  global
        .offset:         40
        .size:           8
        .value_kind:     global_buffer
      - .offset:         48
        .size:           4
        .value_kind:     hidden_block_count_x
      - .offset:         52
        .size:           4
        .value_kind:     hidden_block_count_y
      - .offset:         56
        .size:           4
        .value_kind:     hidden_block_count_z
      - .offset:         60
        .size:           2
        .value_kind:     hidden_group_size_x
      - .offset:         62
        .size:           2
        .value_kind:     hidden_group_size_y
      - .offset:         64
        .size:           2
        .value_kind:     hidden_group_size_z
      - .offset:         66
        .size:           2
        .value_kind:     hidden_remainder_x
      - .offset:         68
        .size:           2
        .value_kind:     hidden_remainder_y
      - .offset:         70
        .size:           2
        .value_kind:     hidden_remainder_z
      - .offset:         88
        .size:           8
        .value_kind:     hidden_global_offset_x
      - .offset:         96
        .size:           8
        .value_kind:     hidden_global_offset_y
      - .offset:         104
        .size:           8
        .value_kind:     hidden_global_offset_z
      - .offset:         112
        .size:           2
        .value_kind:     hidden_grid_dims
    .group_segment_fixed_size: 6160
    .kernarg_segment_align: 8
    .kernarg_segment_size: 304
    .language:       OpenCL C
    .language_version:
      - 2
      - 0
    .max_flat_workgroup_size: 256
    .name:           _ZN9rocsparseL33gtsv_solve_spike_propagate_kernelILj256ELj128EfEEviiiPT1_PKS1_S4_S4_
    .private_segment_fixed_size: 0
    .sgpr_count:     22
    .sgpr_spill_count: 0
    .symbol:         _ZN9rocsparseL33gtsv_solve_spike_propagate_kernelILj256ELj128EfEEviiiPT1_PKS1_S4_S4_.kd
    .uniform_work_group_size: 1
    .uses_dynamic_stack: false
    .vgpr_count:     13
    .vgpr_spill_count: 0
    .wavefront_size: 64
  - .agpr_count:     0
    .args:
      - .offset:         0
        .size:           4
        .value_kind:     by_value
      - .offset:         4
        .size:           4
        .value_kind:     by_value
      - .offset:         8
        .size:           4
        .value_kind:     by_value
      - .address_space:  global
        .offset:         16
        .size:           8
        .value_kind:     global_buffer
      - .actual_access:  read_only
        .address_space:  global
        .offset:         24
        .size:           8
        .value_kind:     global_buffer
      - .actual_access:  read_only
        .address_space:  global
        .offset:         32
        .size:           8
        .value_kind:     global_buffer
    .group_segment_fixed_size: 0
    .kernarg_segment_align: 8
    .kernarg_segment_size: 40
    .language:       OpenCL C
    .language_version:
      - 2
      - 0
    .max_flat_workgroup_size: 256
    .name:           _ZN9rocsparseL39gtsv_spike_backward_substitution_kernelILj256ELj128EfEEviiiPT1_PKS1_S4_
    .private_segment_fixed_size: 0
    .sgpr_count:     18
    .sgpr_spill_count: 0
    .symbol:         _ZN9rocsparseL39gtsv_spike_backward_substitution_kernelILj256ELj128EfEEviiiPT1_PKS1_S4_.kd
    .uniform_work_group_size: 1
    .uses_dynamic_stack: false
    .vgpr_count:     29
    .vgpr_spill_count: 0
    .wavefront_size: 64
  - .agpr_count:     0
    .args:
      - .offset:         0
        .size:           4
        .value_kind:     by_value
      - .offset:         4
        .size:           4
        .value_kind:     by_value
      - .offset:         8
        .size:           4
        .value_kind:     by_value
      - .actual_access:  read_only
        .address_space:  global
        .offset:         16
        .size:           8
        .value_kind:     global_buffer
      - .actual_access:  write_only
        .address_space:  global
        .offset:         24
        .size:           8
        .value_kind:     global_buffer
    .group_segment_fixed_size: 0
    .kernarg_segment_align: 8
    .kernarg_segment_size: 32
    .language:       OpenCL C
    .language_version:
      - 2
      - 0
    .max_flat_workgroup_size: 256
    .name:           _ZN9rocsparseL32gtsv_transpose_back_array_kernelILj256ELj128EfEEviiiPKT1_PS1_
    .private_segment_fixed_size: 0
    .sgpr_count:     18
    .sgpr_spill_count: 0
    .symbol:         _ZN9rocsparseL32gtsv_transpose_back_array_kernelILj256ELj128EfEEviiiPKT1_PS1_.kd
    .uniform_work_group_size: 1
    .uses_dynamic_stack: false
    .vgpr_count:     5
    .vgpr_spill_count: 0
    .wavefront_size: 64
  - .agpr_count:     0
    .args:
      - .offset:         0
        .size:           4
        .value_kind:     by_value
      - .offset:         4
        .size:           4
        .value_kind:     by_value
      - .offset:         8
        .size:           4
        .value_kind:     by_value
      - .actual_access:  read_only
        .address_space:  global
        .offset:         16
        .size:           8
        .value_kind:     global_buffer
      - .actual_access:  write_only
        .address_space:  global
        .offset:         24
        .size:           8
        .value_kind:     global_buffer
      - .offset:         32
        .size:           4
        .value_kind:     by_value
    .group_segment_fixed_size: 1024
    .kernarg_segment_align: 8
    .kernarg_segment_size: 36
    .language:       OpenCL C
    .language_version:
      - 2
      - 0
    .max_flat_workgroup_size: 256
    .name:           _ZN9rocsparseL42gtsv_transpose_and_pad_array_shared_kernelILj256ELj256EfEEviiiPKT1_PS1_S1_
    .private_segment_fixed_size: 0
    .sgpr_count:     18
    .sgpr_spill_count: 0
    .symbol:         _ZN9rocsparseL42gtsv_transpose_and_pad_array_shared_kernelILj256ELj256EfEEviiiPKT1_PS1_S1_.kd
    .uniform_work_group_size: 1
    .uses_dynamic_stack: false
    .vgpr_count:     4
    .vgpr_spill_count: 0
    .wavefront_size: 64
  - .agpr_count:     0
    .args:
      - .offset:         0
        .size:           4
        .value_kind:     by_value
      - .offset:         4
        .size:           4
        .value_kind:     by_value
      - .offset:         8
        .size:           4
        .value_kind:     by_value
      - .actual_access:  read_only
        .address_space:  global
        .offset:         16
        .size:           8
        .value_kind:     global_buffer
      - .actual_access:  read_only
        .address_space:  global
        .offset:         24
        .size:           8
        .value_kind:     global_buffer
      - .actual_access:  read_only
        .address_space:  global
        .offset:         32
        .size:           8
        .value_kind:     global_buffer
      - .address_space:  global
        .offset:         40
        .size:           8
        .value_kind:     global_buffer
      - .address_space:  global
        .offset:         48
        .size:           8
        .value_kind:     global_buffer
      - .address_space:  global
        .offset:         56
        .size:           8
        .value_kind:     global_buffer
      - .address_space:  global
        .offset:         64
        .size:           8
        .value_kind:     global_buffer
    .group_segment_fixed_size: 0
    .kernarg_segment_align: 8
    .kernarg_segment_size: 72
    .language:       OpenCL C
    .language_version:
      - 2
      - 0
    .max_flat_workgroup_size: 256
    .name:           _ZN9rocsparseL18gtsv_LBM_wv_kernelILj256ELj256EfEEviiiPKT1_S3_S3_PS1_S4_S4_Pi
    .private_segment_fixed_size: 0
    .sgpr_count:     37
    .sgpr_spill_count: 0
    .symbol:         _ZN9rocsparseL18gtsv_LBM_wv_kernelILj256ELj256EfEEviiiPKT1_S3_S3_PS1_S4_S4_Pi.kd
    .uniform_work_group_size: 1
    .uses_dynamic_stack: false
    .vgpr_count:     39
    .vgpr_spill_count: 0
    .wavefront_size: 64
  - .agpr_count:     0
    .args:
      - .offset:         0
        .size:           4
        .value_kind:     by_value
      - .offset:         4
        .size:           4
        .value_kind:     by_value
      - .offset:         8
        .size:           4
        .value_kind:     by_value
      - .actual_access:  read_only
        .address_space:  global
        .offset:         16
        .size:           8
        .value_kind:     global_buffer
      - .actual_access:  read_only
        .address_space:  global
        .offset:         24
        .size:           8
        .value_kind:     global_buffer
      - .actual_access:  read_only
        .address_space:  global
        .offset:         32
        .size:           8
        .value_kind:     global_buffer
      - .address_space:  global
        .offset:         40
        .size:           8
        .value_kind:     global_buffer
      - .actual_access:  read_only
        .address_space:  global
        .offset:         48
        .size:           8
        .value_kind:     global_buffer
      - .actual_access:  read_only
        .address_space:  global
        .offset:         56
        .size:           8
        .value_kind:     global_buffer
    .group_segment_fixed_size: 0
    .kernarg_segment_align: 8
    .kernarg_segment_size: 64
    .language:       OpenCL C
    .language_version:
      - 2
      - 0
    .max_flat_workgroup_size: 256
    .name:           _ZN9rocsparseL19gtsv_LBM_rhs_kernelILj256ELj256ELj8EfEEviiiPKT2_S3_S3_PS1_S3_PKi
    .private_segment_fixed_size: 0
    .sgpr_count:     43
    .sgpr_spill_count: 0
    .symbol:         _ZN9rocsparseL19gtsv_LBM_rhs_kernelILj256ELj256ELj8EfEEviiiPKT2_S3_S3_PS1_S3_PKi.kd
    .uniform_work_group_size: 1
    .uses_dynamic_stack: false
    .vgpr_count:     64
    .vgpr_spill_count: 0
    .wavefront_size: 64
  - .agpr_count:     0
    .args:
      - .offset:         0
        .size:           4
        .value_kind:     by_value
      - .offset:         4
        .size:           4
        .value_kind:     by_value
      - .offset:         8
        .size:           4
        .value_kind:     by_value
      - .actual_access:  read_only
        .address_space:  global
        .offset:         16
        .size:           8
        .value_kind:     global_buffer
      - .actual_access:  read_only
        .address_space:  global
        .offset:         24
        .size:           8
        .value_kind:     global_buffer
      - .actual_access:  read_only
        .address_space:  global
        .offset:         32
        .size:           8
        .value_kind:     global_buffer
      - .address_space:  global
        .offset:         40
        .size:           8
        .value_kind:     global_buffer
      - .actual_access:  read_only
        .address_space:  global
        .offset:         48
        .size:           8
        .value_kind:     global_buffer
      - .actual_access:  read_only
        .address_space:  global
        .offset:         56
        .size:           8
        .value_kind:     global_buffer
    .group_segment_fixed_size: 0
    .kernarg_segment_align: 8
    .kernarg_segment_size: 64
    .language:       OpenCL C
    .language_version:
      - 2
      - 0
    .max_flat_workgroup_size: 256
    .name:           _ZN9rocsparseL19gtsv_LBM_rhs_kernelILj256ELj256ELj4EfEEviiiPKT2_S3_S3_PS1_S3_PKi
    .private_segment_fixed_size: 0
    .sgpr_count:     38
    .sgpr_spill_count: 0
    .symbol:         _ZN9rocsparseL19gtsv_LBM_rhs_kernelILj256ELj256ELj4EfEEviiiPKT2_S3_S3_PS1_S3_PKi.kd
    .uniform_work_group_size: 1
    .uses_dynamic_stack: false
    .vgpr_count:     43
    .vgpr_spill_count: 0
    .wavefront_size: 64
  - .agpr_count:     0
    .args:
      - .offset:         0
        .size:           4
        .value_kind:     by_value
      - .offset:         4
        .size:           4
        .value_kind:     by_value
      - .offset:         8
        .size:           4
        .value_kind:     by_value
      - .actual_access:  read_only
        .address_space:  global
        .offset:         16
        .size:           8
        .value_kind:     global_buffer
      - .actual_access:  read_only
        .address_space:  global
        .offset:         24
        .size:           8
        .value_kind:     global_buffer
      - .actual_access:  read_only
        .address_space:  global
        .offset:         32
        .size:           8
        .value_kind:     global_buffer
      - .address_space:  global
        .offset:         40
        .size:           8
        .value_kind:     global_buffer
      - .actual_access:  read_only
        .address_space:  global
        .offset:         48
        .size:           8
        .value_kind:     global_buffer
      - .actual_access:  read_only
        .address_space:  global
        .offset:         56
        .size:           8
        .value_kind:     global_buffer
    .group_segment_fixed_size: 0
    .kernarg_segment_align: 8
    .kernarg_segment_size: 64
    .language:       OpenCL C
    .language_version:
      - 2
      - 0
    .max_flat_workgroup_size: 256
    .name:           _ZN9rocsparseL19gtsv_LBM_rhs_kernelILj256ELj256ELj2EfEEviiiPKT2_S3_S3_PS1_S3_PKi
    .private_segment_fixed_size: 0
    .sgpr_count:     36
    .sgpr_spill_count: 0
    .symbol:         _ZN9rocsparseL19gtsv_LBM_rhs_kernelILj256ELj256ELj2EfEEviiiPKT2_S3_S3_PS1_S3_PKi.kd
    .uniform_work_group_size: 1
    .uses_dynamic_stack: false
    .vgpr_count:     29
    .vgpr_spill_count: 0
    .wavefront_size: 64
  - .agpr_count:     0
    .args:
      - .offset:         0
        .size:           4
        .value_kind:     by_value
      - .offset:         4
        .size:           4
        .value_kind:     by_value
      - .offset:         8
        .size:           4
        .value_kind:     by_value
      - .actual_access:  read_only
        .address_space:  global
        .offset:         16
        .size:           8
        .value_kind:     global_buffer
      - .actual_access:  read_only
        .address_space:  global
        .offset:         24
        .size:           8
        .value_kind:     global_buffer
      - .actual_access:  read_only
        .address_space:  global
        .offset:         32
        .size:           8
        .value_kind:     global_buffer
      - .address_space:  global
        .offset:         40
        .size:           8
        .value_kind:     global_buffer
      - .actual_access:  read_only
        .address_space:  global
        .offset:         48
        .size:           8
        .value_kind:     global_buffer
      - .actual_access:  read_only
        .address_space:  global
        .offset:         56
        .size:           8
        .value_kind:     global_buffer
    .group_segment_fixed_size: 0
    .kernarg_segment_align: 8
    .kernarg_segment_size: 64
    .language:       OpenCL C
    .language_version:
      - 2
      - 0
    .max_flat_workgroup_size: 256
    .name:           _ZN9rocsparseL19gtsv_LBM_rhs_kernelILj256ELj256ELj1EfEEviiiPKT2_S3_S3_PS1_S3_PKi
    .private_segment_fixed_size: 0
    .sgpr_count:     34
    .sgpr_spill_count: 0
    .symbol:         _ZN9rocsparseL19gtsv_LBM_rhs_kernelILj256ELj256ELj1EfEEviiiPKT2_S3_S3_PS1_S3_PKi.kd
    .uniform_work_group_size: 1
    .uses_dynamic_stack: false
    .vgpr_count:     24
    .vgpr_spill_count: 0
    .wavefront_size: 64
  - .agpr_count:     0
    .args:
      - .offset:         0
        .size:           4
        .value_kind:     by_value
      - .offset:         4
        .size:           4
        .value_kind:     by_value
      - .offset:         8
        .size:           4
        .value_kind:     by_value
      - .address_space:  global
        .offset:         16
        .size:           8
        .value_kind:     global_buffer
      - .actual_access:  read_only
        .address_space:  global
        .offset:         24
        .size:           8
        .value_kind:     global_buffer
      - .actual_access:  read_only
        .address_space:  global
        .offset:         32
        .size:           8
        .value_kind:     global_buffer
      - .actual_access:  write_only
        .address_space:  global
        .offset:         40
        .size:           8
        .value_kind:     global_buffer
      - .actual_access:  write_only
        .address_space:  global
        .offset:         48
        .size:           8
        .value_kind:     global_buffer
      - .actual_access:  write_only
        .address_space:  global
        .offset:         56
        .size:           8
        .value_kind:     global_buffer
      - .actual_access:  write_only
        .address_space:  global
        .offset:         64
        .size:           8
        .value_kind:     global_buffer
      - .actual_access:  write_only
        .address_space:  global
        .offset:         72
        .size:           8
        .value_kind:     global_buffer
      - .offset:         80
        .size:           4
        .value_kind:     hidden_block_count_x
      - .offset:         84
        .size:           4
        .value_kind:     hidden_block_count_y
      - .offset:         88
        .size:           4
        .value_kind:     hidden_block_count_z
      - .offset:         92
        .size:           2
        .value_kind:     hidden_group_size_x
      - .offset:         94
        .size:           2
        .value_kind:     hidden_group_size_y
      - .offset:         96
        .size:           2
        .value_kind:     hidden_group_size_z
      - .offset:         98
        .size:           2
        .value_kind:     hidden_remainder_x
      - .offset:         100
        .size:           2
        .value_kind:     hidden_remainder_y
      - .offset:         102
        .size:           2
        .value_kind:     hidden_remainder_z
      - .offset:         120
        .size:           8
        .value_kind:     hidden_global_offset_x
      - .offset:         128
        .size:           8
        .value_kind:     hidden_global_offset_y
      - .offset:         136
        .size:           8
        .value_kind:     hidden_global_offset_z
      - .offset:         144
        .size:           2
        .value_kind:     hidden_grid_dims
    .group_segment_fixed_size: 6144
    .kernarg_segment_align: 8
    .kernarg_segment_size: 336
    .language:       OpenCL C
    .language_version:
      - 2
      - 0
    .max_flat_workgroup_size: 256
    .name:           _ZN9rocsparseL29gtsv_spike_block_level_kernelILj256ELj256EfEEviiiPT1_PKS1_S4_S2_S2_S2_S2_S2_
    .private_segment_fixed_size: 0
    .sgpr_count:     30
    .sgpr_spill_count: 0
    .symbol:         _ZN9rocsparseL29gtsv_spike_block_level_kernelILj256ELj256EfEEviiiPT1_PKS1_S4_S2_S2_S2_S2_S2_.kd
    .uniform_work_group_size: 1
    .uses_dynamic_stack: false
    .vgpr_count:     27
    .vgpr_spill_count: 0
    .wavefront_size: 64
  - .agpr_count:     0
    .args:
      - .offset:         0
        .size:           4
        .value_kind:     by_value
      - .offset:         4
        .size:           4
        .value_kind:     by_value
      - .offset:         8
        .size:           4
        .value_kind:     by_value
      - .address_space:  global
        .offset:         16
        .size:           8
        .value_kind:     global_buffer
      - .actual_access:  read_only
        .address_space:  global
        .offset:         24
        .size:           8
        .value_kind:     global_buffer
      - .actual_access:  read_only
        .address_space:  global
        .offset:         32
        .size:           8
        .value_kind:     global_buffer
      - .actual_access:  read_only
        .address_space:  global
        .offset:         40
        .size:           8
        .value_kind:     global_buffer
      - .offset:         48
        .size:           4
        .value_kind:     hidden_block_count_x
      - .offset:         52
        .size:           4
        .value_kind:     hidden_block_count_y
      - .offset:         56
        .size:           4
        .value_kind:     hidden_block_count_z
      - .offset:         60
        .size:           2
        .value_kind:     hidden_group_size_x
      - .offset:         62
        .size:           2
        .value_kind:     hidden_group_size_y
      - .offset:         64
        .size:           2
        .value_kind:     hidden_group_size_z
      - .offset:         66
        .size:           2
        .value_kind:     hidden_remainder_x
      - .offset:         68
        .size:           2
        .value_kind:     hidden_remainder_y
      - .offset:         70
        .size:           2
        .value_kind:     hidden_remainder_z
      - .offset:         88
        .size:           8
        .value_kind:     hidden_global_offset_x
      - .offset:         96
        .size:           8
        .value_kind:     hidden_global_offset_y
      - .offset:         104
        .size:           8
        .value_kind:     hidden_global_offset_z
      - .offset:         112
        .size:           2
        .value_kind:     hidden_grid_dims
    .group_segment_fixed_size: 6160
    .kernarg_segment_align: 8
    .kernarg_segment_size: 304
    .language:       OpenCL C
    .language_version:
      - 2
      - 0
    .max_flat_workgroup_size: 256
    .name:           _ZN9rocsparseL33gtsv_solve_spike_propagate_kernelILj256ELj256EfEEviiiPT1_PKS1_S4_S4_
    .private_segment_fixed_size: 0
    .sgpr_count:     22
    .sgpr_spill_count: 0
    .symbol:         _ZN9rocsparseL33gtsv_solve_spike_propagate_kernelILj256ELj256EfEEviiiPT1_PKS1_S4_S4_.kd
    .uniform_work_group_size: 1
    .uses_dynamic_stack: false
    .vgpr_count:     13
    .vgpr_spill_count: 0
    .wavefront_size: 64
  - .agpr_count:     0
    .args:
      - .offset:         0
        .size:           4
        .value_kind:     by_value
      - .offset:         4
        .size:           4
        .value_kind:     by_value
      - .offset:         8
        .size:           4
        .value_kind:     by_value
      - .address_space:  global
        .offset:         16
        .size:           8
        .value_kind:     global_buffer
      - .actual_access:  read_only
        .address_space:  global
        .offset:         24
        .size:           8
        .value_kind:     global_buffer
      - .actual_access:  read_only
        .address_space:  global
        .offset:         32
        .size:           8
        .value_kind:     global_buffer
    .group_segment_fixed_size: 0
    .kernarg_segment_align: 8
    .kernarg_segment_size: 40
    .language:       OpenCL C
    .language_version:
      - 2
      - 0
    .max_flat_workgroup_size: 256
    .name:           _ZN9rocsparseL39gtsv_spike_backward_substitution_kernelILj256ELj256EfEEviiiPT1_PKS1_S4_
    .private_segment_fixed_size: 0
    .sgpr_count:     18
    .sgpr_spill_count: 0
    .symbol:         _ZN9rocsparseL39gtsv_spike_backward_substitution_kernelILj256ELj256EfEEviiiPT1_PKS1_S4_.kd
    .uniform_work_group_size: 1
    .uses_dynamic_stack: false
    .vgpr_count:     20
    .vgpr_spill_count: 0
    .wavefront_size: 64
  - .agpr_count:     0
    .args:
      - .offset:         0
        .size:           4
        .value_kind:     by_value
      - .offset:         4
        .size:           4
        .value_kind:     by_value
      - .offset:         8
        .size:           4
        .value_kind:     by_value
      - .actual_access:  read_only
        .address_space:  global
        .offset:         16
        .size:           8
        .value_kind:     global_buffer
      - .actual_access:  write_only
        .address_space:  global
        .offset:         24
        .size:           8
        .value_kind:     global_buffer
    .group_segment_fixed_size: 0
    .kernarg_segment_align: 8
    .kernarg_segment_size: 32
    .language:       OpenCL C
    .language_version:
      - 2
      - 0
    .max_flat_workgroup_size: 256
    .name:           _ZN9rocsparseL32gtsv_transpose_back_array_kernelILj256ELj256EfEEviiiPKT1_PS1_
    .private_segment_fixed_size: 0
    .sgpr_count:     18
    .sgpr_spill_count: 0
    .symbol:         _ZN9rocsparseL32gtsv_transpose_back_array_kernelILj256ELj256EfEEviiiPKT1_PS1_.kd
    .uniform_work_group_size: 1
    .uses_dynamic_stack: false
    .vgpr_count:     5
    .vgpr_spill_count: 0
    .wavefront_size: 64
  - .agpr_count:     0
    .args:
      - .offset:         0
        .size:           4
        .value_kind:     by_value
      - .offset:         4
        .size:           4
        .value_kind:     by_value
      - .offset:         8
        .size:           4
        .value_kind:     by_value
      - .actual_access:  read_only
        .address_space:  global
        .offset:         16
        .size:           8
        .value_kind:     global_buffer
      - .actual_access:  write_only
        .address_space:  global
        .offset:         24
        .size:           8
        .value_kind:     global_buffer
      - .offset:         32
        .size:           8
        .value_kind:     by_value
    .group_segment_fixed_size: 2048
    .kernarg_segment_align: 8
    .kernarg_segment_size: 40
    .language:       OpenCL C
    .language_version:
      - 2
      - 0
    .max_flat_workgroup_size: 256
    .name:           _ZN9rocsparseL42gtsv_transpose_and_pad_array_shared_kernelILj256ELj2EdEEviiiPKT1_PS1_S1_
    .private_segment_fixed_size: 0
    .sgpr_count:     18
    .sgpr_spill_count: 0
    .symbol:         _ZN9rocsparseL42gtsv_transpose_and_pad_array_shared_kernelILj256ELj2EdEEviiiPKT1_PS1_S1_.kd
    .uniform_work_group_size: 1
    .uses_dynamic_stack: false
    .vgpr_count:     6
    .vgpr_spill_count: 0
    .wavefront_size: 64
  - .agpr_count:     0
    .args:
      - .offset:         0
        .size:           4
        .value_kind:     by_value
      - .offset:         4
        .size:           4
        .value_kind:     by_value
      - .offset:         8
        .size:           4
        .value_kind:     by_value
      - .actual_access:  read_only
        .address_space:  global
        .offset:         16
        .size:           8
        .value_kind:     global_buffer
      - .actual_access:  read_only
        .address_space:  global
        .offset:         24
        .size:           8
        .value_kind:     global_buffer
      - .actual_access:  read_only
        .address_space:  global
        .offset:         32
        .size:           8
        .value_kind:     global_buffer
      - .address_space:  global
        .offset:         40
        .size:           8
        .value_kind:     global_buffer
      - .address_space:  global
        .offset:         48
        .size:           8
        .value_kind:     global_buffer
      - .address_space:  global
        .offset:         56
        .size:           8
        .value_kind:     global_buffer
      - .address_space:  global
        .offset:         64
        .size:           8
        .value_kind:     global_buffer
    .group_segment_fixed_size: 0
    .kernarg_segment_align: 8
    .kernarg_segment_size: 72
    .language:       OpenCL C
    .language_version:
      - 2
      - 0
    .max_flat_workgroup_size: 256
    .name:           _ZN9rocsparseL18gtsv_LBM_wv_kernelILj256ELj2EdEEviiiPKT1_S3_S3_PS1_S4_S4_Pi
    .private_segment_fixed_size: 0
    .sgpr_count:     33
    .sgpr_spill_count: 0
    .symbol:         _ZN9rocsparseL18gtsv_LBM_wv_kernelILj256ELj2EdEEviiiPKT1_S3_S3_PS1_S4_S4_Pi.kd
    .uniform_work_group_size: 1
    .uses_dynamic_stack: false
    .vgpr_count:     52
    .vgpr_spill_count: 0
    .wavefront_size: 64
  - .agpr_count:     0
    .args:
      - .offset:         0
        .size:           4
        .value_kind:     by_value
      - .offset:         4
        .size:           4
        .value_kind:     by_value
      - .offset:         8
        .size:           4
        .value_kind:     by_value
      - .actual_access:  read_only
        .address_space:  global
        .offset:         16
        .size:           8
        .value_kind:     global_buffer
      - .actual_access:  read_only
        .address_space:  global
        .offset:         24
        .size:           8
        .value_kind:     global_buffer
      - .actual_access:  read_only
        .address_space:  global
        .offset:         32
        .size:           8
        .value_kind:     global_buffer
      - .address_space:  global
        .offset:         40
        .size:           8
        .value_kind:     global_buffer
      - .actual_access:  read_only
        .address_space:  global
        .offset:         48
        .size:           8
        .value_kind:     global_buffer
      - .actual_access:  read_only
        .address_space:  global
        .offset:         56
        .size:           8
        .value_kind:     global_buffer
    .group_segment_fixed_size: 0
    .kernarg_segment_align: 8
    .kernarg_segment_size: 64
    .language:       OpenCL C
    .language_version:
      - 2
      - 0
    .max_flat_workgroup_size: 256
    .name:           _ZN9rocsparseL19gtsv_LBM_rhs_kernelILj256ELj2ELj8EdEEviiiPKT2_S3_S3_PS1_S3_PKi
    .private_segment_fixed_size: 0
    .sgpr_count:     38
    .sgpr_spill_count: 0
    .symbol:         _ZN9rocsparseL19gtsv_LBM_rhs_kernelILj256ELj2ELj8EdEEviiiPKT2_S3_S3_PS1_S3_PKi.kd
    .uniform_work_group_size: 1
    .uses_dynamic_stack: false
    .vgpr_count:     82
    .vgpr_spill_count: 0
    .wavefront_size: 64
  - .agpr_count:     0
    .args:
      - .offset:         0
        .size:           4
        .value_kind:     by_value
      - .offset:         4
        .size:           4
        .value_kind:     by_value
      - .offset:         8
        .size:           4
        .value_kind:     by_value
      - .actual_access:  read_only
        .address_space:  global
        .offset:         16
        .size:           8
        .value_kind:     global_buffer
      - .actual_access:  read_only
        .address_space:  global
        .offset:         24
        .size:           8
        .value_kind:     global_buffer
      - .actual_access:  read_only
        .address_space:  global
        .offset:         32
        .size:           8
        .value_kind:     global_buffer
      - .address_space:  global
        .offset:         40
        .size:           8
        .value_kind:     global_buffer
      - .actual_access:  read_only
        .address_space:  global
        .offset:         48
        .size:           8
        .value_kind:     global_buffer
      - .actual_access:  read_only
        .address_space:  global
        .offset:         56
        .size:           8
        .value_kind:     global_buffer
    .group_segment_fixed_size: 0
    .kernarg_segment_align: 8
    .kernarg_segment_size: 64
    .language:       OpenCL C
    .language_version:
      - 2
      - 0
    .max_flat_workgroup_size: 256
    .name:           _ZN9rocsparseL19gtsv_LBM_rhs_kernelILj256ELj2ELj4EdEEviiiPKT2_S3_S3_PS1_S3_PKi
    .private_segment_fixed_size: 0
    .sgpr_count:     34
    .sgpr_spill_count: 0
    .symbol:         _ZN9rocsparseL19gtsv_LBM_rhs_kernelILj256ELj2ELj4EdEEviiiPKT2_S3_S3_PS1_S3_PKi.kd
    .uniform_work_group_size: 1
    .uses_dynamic_stack: false
    .vgpr_count:     56
    .vgpr_spill_count: 0
    .wavefront_size: 64
  - .agpr_count:     0
    .args:
      - .offset:         0
        .size:           4
        .value_kind:     by_value
      - .offset:         4
        .size:           4
        .value_kind:     by_value
      - .offset:         8
        .size:           4
        .value_kind:     by_value
      - .actual_access:  read_only
        .address_space:  global
        .offset:         16
        .size:           8
        .value_kind:     global_buffer
      - .actual_access:  read_only
        .address_space:  global
        .offset:         24
        .size:           8
        .value_kind:     global_buffer
      - .actual_access:  read_only
        .address_space:  global
        .offset:         32
        .size:           8
        .value_kind:     global_buffer
      - .address_space:  global
        .offset:         40
        .size:           8
        .value_kind:     global_buffer
      - .actual_access:  read_only
        .address_space:  global
        .offset:         48
        .size:           8
        .value_kind:     global_buffer
      - .actual_access:  read_only
        .address_space:  global
        .offset:         56
        .size:           8
        .value_kind:     global_buffer
    .group_segment_fixed_size: 0
    .kernarg_segment_align: 8
    .kernarg_segment_size: 64
    .language:       OpenCL C
    .language_version:
      - 2
      - 0
    .max_flat_workgroup_size: 256
    .name:           _ZN9rocsparseL19gtsv_LBM_rhs_kernelILj256ELj2ELj2EdEEviiiPKT2_S3_S3_PS1_S3_PKi
    .private_segment_fixed_size: 0
    .sgpr_count:     32
    .sgpr_spill_count: 0
    .symbol:         _ZN9rocsparseL19gtsv_LBM_rhs_kernelILj256ELj2ELj2EdEEviiiPKT2_S3_S3_PS1_S3_PKi.kd
    .uniform_work_group_size: 1
    .uses_dynamic_stack: false
    .vgpr_count:     40
    .vgpr_spill_count: 0
    .wavefront_size: 64
  - .agpr_count:     0
    .args:
      - .offset:         0
        .size:           4
        .value_kind:     by_value
      - .offset:         4
        .size:           4
        .value_kind:     by_value
      - .offset:         8
        .size:           4
        .value_kind:     by_value
      - .actual_access:  read_only
        .address_space:  global
        .offset:         16
        .size:           8
        .value_kind:     global_buffer
      - .actual_access:  read_only
        .address_space:  global
        .offset:         24
        .size:           8
        .value_kind:     global_buffer
      - .actual_access:  read_only
        .address_space:  global
        .offset:         32
        .size:           8
        .value_kind:     global_buffer
      - .address_space:  global
        .offset:         40
        .size:           8
        .value_kind:     global_buffer
      - .actual_access:  read_only
        .address_space:  global
        .offset:         48
        .size:           8
        .value_kind:     global_buffer
      - .actual_access:  read_only
        .address_space:  global
        .offset:         56
        .size:           8
        .value_kind:     global_buffer
    .group_segment_fixed_size: 0
    .kernarg_segment_align: 8
    .kernarg_segment_size: 64
    .language:       OpenCL C
    .language_version:
      - 2
      - 0
    .max_flat_workgroup_size: 256
    .name:           _ZN9rocsparseL19gtsv_LBM_rhs_kernelILj256ELj2ELj1EdEEviiiPKT2_S3_S3_PS1_S3_PKi
    .private_segment_fixed_size: 0
    .sgpr_count:     30
    .sgpr_spill_count: 0
    .symbol:         _ZN9rocsparseL19gtsv_LBM_rhs_kernelILj256ELj2ELj1EdEEviiiPKT2_S3_S3_PS1_S3_PKi.kd
    .uniform_work_group_size: 1
    .uses_dynamic_stack: false
    .vgpr_count:     32
    .vgpr_spill_count: 0
    .wavefront_size: 64
  - .agpr_count:     0
    .args:
      - .offset:         0
        .size:           4
        .value_kind:     by_value
      - .offset:         4
        .size:           4
        .value_kind:     by_value
      - .offset:         8
        .size:           4
        .value_kind:     by_value
      - .address_space:  global
        .offset:         16
        .size:           8
        .value_kind:     global_buffer
      - .actual_access:  read_only
        .address_space:  global
        .offset:         24
        .size:           8
        .value_kind:     global_buffer
      - .actual_access:  read_only
        .address_space:  global
        .offset:         32
        .size:           8
        .value_kind:     global_buffer
      - .actual_access:  write_only
        .address_space:  global
        .offset:         40
        .size:           8
        .value_kind:     global_buffer
      - .actual_access:  write_only
        .address_space:  global
        .offset:         48
        .size:           8
        .value_kind:     global_buffer
      - .actual_access:  write_only
        .address_space:  global
        .offset:         56
        .size:           8
        .value_kind:     global_buffer
      - .actual_access:  write_only
        .address_space:  global
        .offset:         64
        .size:           8
        .value_kind:     global_buffer
      - .actual_access:  write_only
        .address_space:  global
        .offset:         72
        .size:           8
        .value_kind:     global_buffer
      - .offset:         80
        .size:           4
        .value_kind:     hidden_block_count_x
      - .offset:         84
        .size:           4
        .value_kind:     hidden_block_count_y
      - .offset:         88
        .size:           4
        .value_kind:     hidden_block_count_z
      - .offset:         92
        .size:           2
        .value_kind:     hidden_group_size_x
      - .offset:         94
        .size:           2
        .value_kind:     hidden_group_size_y
      - .offset:         96
        .size:           2
        .value_kind:     hidden_group_size_z
      - .offset:         98
        .size:           2
        .value_kind:     hidden_remainder_x
      - .offset:         100
        .size:           2
        .value_kind:     hidden_remainder_y
      - .offset:         102
        .size:           2
        .value_kind:     hidden_remainder_z
      - .offset:         120
        .size:           8
        .value_kind:     hidden_global_offset_x
      - .offset:         128
        .size:           8
        .value_kind:     hidden_global_offset_y
      - .offset:         136
        .size:           8
        .value_kind:     hidden_global_offset_z
      - .offset:         144
        .size:           2
        .value_kind:     hidden_grid_dims
    .group_segment_fixed_size: 12288
    .kernarg_segment_align: 8
    .kernarg_segment_size: 336
    .language:       OpenCL C
    .language_version:
      - 2
      - 0
    .max_flat_workgroup_size: 256
    .name:           _ZN9rocsparseL29gtsv_spike_block_level_kernelILj256ELj2EdEEviiiPT1_PKS1_S4_S2_S2_S2_S2_S2_
    .private_segment_fixed_size: 0
    .sgpr_count:     30
    .sgpr_spill_count: 0
    .symbol:         _ZN9rocsparseL29gtsv_spike_block_level_kernelILj256ELj2EdEEviiiPT1_PKS1_S4_S2_S2_S2_S2_S2_.kd
    .uniform_work_group_size: 1
    .uses_dynamic_stack: false
    .vgpr_count:     44
    .vgpr_spill_count: 0
    .wavefront_size: 64
  - .agpr_count:     0
    .args:
      - .offset:         0
        .size:           4
        .value_kind:     by_value
      - .offset:         4
        .size:           4
        .value_kind:     by_value
      - .offset:         8
        .size:           4
        .value_kind:     by_value
      - .address_space:  global
        .offset:         16
        .size:           8
        .value_kind:     global_buffer
      - .actual_access:  read_only
        .address_space:  global
        .offset:         24
        .size:           8
        .value_kind:     global_buffer
      - .actual_access:  read_only
        .address_space:  global
        .offset:         32
        .size:           8
        .value_kind:     global_buffer
    .group_segment_fixed_size: 96
    .kernarg_segment_align: 8
    .kernarg_segment_size: 40
    .language:       OpenCL C
    .language_version:
      - 2
      - 0
    .max_flat_workgroup_size: 2
    .name:           _ZN9rocsparseL34gtsv_solve_spike_grid_level_kernelILj2EdEEviiiPT0_PKS1_S4_
    .private_segment_fixed_size: 0
    .sgpr_count:     16
    .sgpr_spill_count: 0
    .symbol:         _ZN9rocsparseL34gtsv_solve_spike_grid_level_kernelILj2EdEEviiiPT0_PKS1_S4_.kd
    .uniform_work_group_size: 1
    .uses_dynamic_stack: false
    .vgpr_count:     42
    .vgpr_spill_count: 0
    .wavefront_size: 64
  - .agpr_count:     0
    .args:
      - .offset:         0
        .size:           4
        .value_kind:     by_value
      - .offset:         4
        .size:           4
        .value_kind:     by_value
      - .offset:         8
        .size:           4
        .value_kind:     by_value
      - .address_space:  global
        .offset:         16
        .size:           8
        .value_kind:     global_buffer
      - .actual_access:  read_only
        .address_space:  global
        .offset:         24
        .size:           8
        .value_kind:     global_buffer
      - .actual_access:  read_only
        .address_space:  global
        .offset:         32
        .size:           8
        .value_kind:     global_buffer
    .group_segment_fixed_size: 192
    .kernarg_segment_align: 8
    .kernarg_segment_size: 40
    .language:       OpenCL C
    .language_version:
      - 2
      - 0
    .max_flat_workgroup_size: 4
    .name:           _ZN9rocsparseL34gtsv_solve_spike_grid_level_kernelILj4EdEEviiiPT0_PKS1_S4_
    .private_segment_fixed_size: 0
    .sgpr_count:     16
    .sgpr_spill_count: 0
    .symbol:         _ZN9rocsparseL34gtsv_solve_spike_grid_level_kernelILj4EdEEviiiPT0_PKS1_S4_.kd
    .uniform_work_group_size: 1
    .uses_dynamic_stack: false
    .vgpr_count:     45
    .vgpr_spill_count: 0
    .wavefront_size: 64
  - .agpr_count:     0
    .args:
      - .offset:         0
        .size:           4
        .value_kind:     by_value
      - .offset:         4
        .size:           4
        .value_kind:     by_value
      - .offset:         8
        .size:           4
        .value_kind:     by_value
      - .address_space:  global
        .offset:         16
        .size:           8
        .value_kind:     global_buffer
      - .actual_access:  read_only
        .address_space:  global
        .offset:         24
        .size:           8
        .value_kind:     global_buffer
      - .actual_access:  read_only
        .address_space:  global
        .offset:         32
        .size:           8
        .value_kind:     global_buffer
    .group_segment_fixed_size: 384
    .kernarg_segment_align: 8
    .kernarg_segment_size: 40
    .language:       OpenCL C
    .language_version:
      - 2
      - 0
    .max_flat_workgroup_size: 8
    .name:           _ZN9rocsparseL34gtsv_solve_spike_grid_level_kernelILj8EdEEviiiPT0_PKS1_S4_
    .private_segment_fixed_size: 0
    .sgpr_count:     16
    .sgpr_spill_count: 0
    .symbol:         _ZN9rocsparseL34gtsv_solve_spike_grid_level_kernelILj8EdEEviiiPT0_PKS1_S4_.kd
    .uniform_work_group_size: 1
    .uses_dynamic_stack: false
    .vgpr_count:     44
    .vgpr_spill_count: 0
    .wavefront_size: 64
  - .agpr_count:     0
    .args:
      - .offset:         0
        .size:           4
        .value_kind:     by_value
      - .offset:         4
        .size:           4
        .value_kind:     by_value
      - .offset:         8
        .size:           4
        .value_kind:     by_value
      - .address_space:  global
        .offset:         16
        .size:           8
        .value_kind:     global_buffer
      - .actual_access:  read_only
        .address_space:  global
        .offset:         24
        .size:           8
        .value_kind:     global_buffer
      - .actual_access:  read_only
        .address_space:  global
        .offset:         32
        .size:           8
        .value_kind:     global_buffer
    .group_segment_fixed_size: 768
    .kernarg_segment_align: 8
    .kernarg_segment_size: 40
    .language:       OpenCL C
    .language_version:
      - 2
      - 0
    .max_flat_workgroup_size: 16
    .name:           _ZN9rocsparseL34gtsv_solve_spike_grid_level_kernelILj16EdEEviiiPT0_PKS1_S4_
    .private_segment_fixed_size: 0
    .sgpr_count:     16
    .sgpr_spill_count: 0
    .symbol:         _ZN9rocsparseL34gtsv_solve_spike_grid_level_kernelILj16EdEEviiiPT0_PKS1_S4_.kd
    .uniform_work_group_size: 1
    .uses_dynamic_stack: false
    .vgpr_count:     44
    .vgpr_spill_count: 0
    .wavefront_size: 64
  - .agpr_count:     0
    .args:
      - .offset:         0
        .size:           4
        .value_kind:     by_value
      - .offset:         4
        .size:           4
        .value_kind:     by_value
      - .offset:         8
        .size:           4
        .value_kind:     by_value
      - .address_space:  global
        .offset:         16
        .size:           8
        .value_kind:     global_buffer
      - .actual_access:  read_only
        .address_space:  global
        .offset:         24
        .size:           8
        .value_kind:     global_buffer
      - .actual_access:  read_only
        .address_space:  global
        .offset:         32
        .size:           8
        .value_kind:     global_buffer
    .group_segment_fixed_size: 1536
    .kernarg_segment_align: 8
    .kernarg_segment_size: 40
    .language:       OpenCL C
    .language_version:
      - 2
      - 0
    .max_flat_workgroup_size: 32
    .name:           _ZN9rocsparseL34gtsv_solve_spike_grid_level_kernelILj32EdEEviiiPT0_PKS1_S4_
    .private_segment_fixed_size: 0
    .sgpr_count:     18
    .sgpr_spill_count: 0
    .symbol:         _ZN9rocsparseL34gtsv_solve_spike_grid_level_kernelILj32EdEEviiiPT0_PKS1_S4_.kd
    .uniform_work_group_size: 1
    .uses_dynamic_stack: false
    .vgpr_count:     44
    .vgpr_spill_count: 0
    .wavefront_size: 64
  - .agpr_count:     0
    .args:
      - .offset:         0
        .size:           4
        .value_kind:     by_value
      - .offset:         4
        .size:           4
        .value_kind:     by_value
      - .offset:         8
        .size:           4
        .value_kind:     by_value
      - .address_space:  global
        .offset:         16
        .size:           8
        .value_kind:     global_buffer
      - .actual_access:  read_only
        .address_space:  global
        .offset:         24
        .size:           8
        .value_kind:     global_buffer
      - .actual_access:  read_only
        .address_space:  global
        .offset:         32
        .size:           8
        .value_kind:     global_buffer
    .group_segment_fixed_size: 3072
    .kernarg_segment_align: 8
    .kernarg_segment_size: 40
    .language:       OpenCL C
    .language_version:
      - 2
      - 0
    .max_flat_workgroup_size: 64
    .name:           _ZN9rocsparseL34gtsv_solve_spike_grid_level_kernelILj64EdEEviiiPT0_PKS1_S4_
    .private_segment_fixed_size: 0
    .sgpr_count:     21
    .sgpr_spill_count: 0
    .symbol:         _ZN9rocsparseL34gtsv_solve_spike_grid_level_kernelILj64EdEEviiiPT0_PKS1_S4_.kd
    .uniform_work_group_size: 1
    .uses_dynamic_stack: false
    .vgpr_count:     44
    .vgpr_spill_count: 0
    .wavefront_size: 64
  - .agpr_count:     0
    .args:
      - .offset:         0
        .size:           4
        .value_kind:     by_value
      - .offset:         4
        .size:           4
        .value_kind:     by_value
      - .offset:         8
        .size:           4
        .value_kind:     by_value
      - .address_space:  global
        .offset:         16
        .size:           8
        .value_kind:     global_buffer
      - .actual_access:  read_only
        .address_space:  global
        .offset:         24
        .size:           8
        .value_kind:     global_buffer
      - .actual_access:  read_only
        .address_space:  global
        .offset:         32
        .size:           8
        .value_kind:     global_buffer
    .group_segment_fixed_size: 6144
    .kernarg_segment_align: 8
    .kernarg_segment_size: 40
    .language:       OpenCL C
    .language_version:
      - 2
      - 0
    .max_flat_workgroup_size: 128
    .name:           _ZN9rocsparseL34gtsv_solve_spike_grid_level_kernelILj128EdEEviiiPT0_PKS1_S4_
    .private_segment_fixed_size: 0
    .sgpr_count:     22
    .sgpr_spill_count: 0
    .symbol:         _ZN9rocsparseL34gtsv_solve_spike_grid_level_kernelILj128EdEEviiiPT0_PKS1_S4_.kd
    .uniform_work_group_size: 1
    .uses_dynamic_stack: false
    .vgpr_count:     46
    .vgpr_spill_count: 0
    .wavefront_size: 64
  - .agpr_count:     0
    .args:
      - .offset:         0
        .size:           4
        .value_kind:     by_value
      - .offset:         4
        .size:           4
        .value_kind:     by_value
      - .offset:         8
        .size:           4
        .value_kind:     by_value
      - .address_space:  global
        .offset:         16
        .size:           8
        .value_kind:     global_buffer
      - .actual_access:  read_only
        .address_space:  global
        .offset:         24
        .size:           8
        .value_kind:     global_buffer
      - .actual_access:  read_only
        .address_space:  global
        .offset:         32
        .size:           8
        .value_kind:     global_buffer
    .group_segment_fixed_size: 12288
    .kernarg_segment_align: 8
    .kernarg_segment_size: 40
    .language:       OpenCL C
    .language_version:
      - 2
      - 0
    .max_flat_workgroup_size: 256
    .name:           _ZN9rocsparseL34gtsv_solve_spike_grid_level_kernelILj256EdEEviiiPT0_PKS1_S4_
    .private_segment_fixed_size: 0
    .sgpr_count:     24
    .sgpr_spill_count: 0
    .symbol:         _ZN9rocsparseL34gtsv_solve_spike_grid_level_kernelILj256EdEEviiiPT0_PKS1_S4_.kd
    .uniform_work_group_size: 1
    .uses_dynamic_stack: false
    .vgpr_count:     48
    .vgpr_spill_count: 0
    .wavefront_size: 64
  - .agpr_count:     0
    .args:
      - .offset:         0
        .size:           4
        .value_kind:     by_value
      - .offset:         4
        .size:           4
        .value_kind:     by_value
      - .offset:         8
        .size:           4
        .value_kind:     by_value
      - .address_space:  global
        .offset:         16
        .size:           8
        .value_kind:     global_buffer
      - .actual_access:  read_only
        .address_space:  global
        .offset:         24
        .size:           8
        .value_kind:     global_buffer
      - .actual_access:  read_only
        .address_space:  global
        .offset:         32
        .size:           8
        .value_kind:     global_buffer
    .group_segment_fixed_size: 24576
    .kernarg_segment_align: 8
    .kernarg_segment_size: 40
    .language:       OpenCL C
    .language_version:
      - 2
      - 0
    .max_flat_workgroup_size: 512
    .name:           _ZN9rocsparseL34gtsv_solve_spike_grid_level_kernelILj512EdEEviiiPT0_PKS1_S4_
    .private_segment_fixed_size: 0
    .sgpr_count:     26
    .sgpr_spill_count: 0
    .symbol:         _ZN9rocsparseL34gtsv_solve_spike_grid_level_kernelILj512EdEEviiiPT0_PKS1_S4_.kd
    .uniform_work_group_size: 1
    .uses_dynamic_stack: false
    .vgpr_count:     47
    .vgpr_spill_count: 0
    .wavefront_size: 64
  - .agpr_count:     0
    .args:
      - .offset:         0
        .size:           4
        .value_kind:     by_value
      - .offset:         4
        .size:           4
        .value_kind:     by_value
      - .offset:         8
        .size:           4
        .value_kind:     by_value
      - .address_space:  global
        .offset:         16
        .size:           8
        .value_kind:     global_buffer
      - .actual_access:  read_only
        .address_space:  global
        .offset:         24
        .size:           8
        .value_kind:     global_buffer
      - .actual_access:  read_only
        .address_space:  global
        .offset:         32
        .size:           8
        .value_kind:     global_buffer
      - .actual_access:  read_only
        .address_space:  global
        .offset:         40
        .size:           8
        .value_kind:     global_buffer
      - .offset:         48
        .size:           4
        .value_kind:     hidden_block_count_x
      - .offset:         52
        .size:           4
        .value_kind:     hidden_block_count_y
      - .offset:         56
        .size:           4
        .value_kind:     hidden_block_count_z
      - .offset:         60
        .size:           2
        .value_kind:     hidden_group_size_x
      - .offset:         62
        .size:           2
        .value_kind:     hidden_group_size_y
      - .offset:         64
        .size:           2
        .value_kind:     hidden_group_size_z
      - .offset:         66
        .size:           2
        .value_kind:     hidden_remainder_x
      - .offset:         68
        .size:           2
        .value_kind:     hidden_remainder_y
      - .offset:         70
        .size:           2
        .value_kind:     hidden_remainder_z
      - .offset:         88
        .size:           8
        .value_kind:     hidden_global_offset_x
      - .offset:         96
        .size:           8
        .value_kind:     hidden_global_offset_y
      - .offset:         104
        .size:           8
        .value_kind:     hidden_global_offset_z
      - .offset:         112
        .size:           2
        .value_kind:     hidden_grid_dims
    .group_segment_fixed_size: 12304
    .kernarg_segment_align: 8
    .kernarg_segment_size: 304
    .language:       OpenCL C
    .language_version:
      - 2
      - 0
    .max_flat_workgroup_size: 256
    .name:           _ZN9rocsparseL33gtsv_solve_spike_propagate_kernelILj256ELj2EdEEviiiPT1_PKS1_S4_S4_
    .private_segment_fixed_size: 0
    .sgpr_count:     24
    .sgpr_spill_count: 0
    .symbol:         _ZN9rocsparseL33gtsv_solve_spike_propagate_kernelILj256ELj2EdEEviiiPT1_PKS1_S4_S4_.kd
    .uniform_work_group_size: 1
    .uses_dynamic_stack: false
    .vgpr_count:     20
    .vgpr_spill_count: 0
    .wavefront_size: 64
  - .agpr_count:     0
    .args:
      - .offset:         0
        .size:           4
        .value_kind:     by_value
      - .offset:         4
        .size:           4
        .value_kind:     by_value
      - .offset:         8
        .size:           4
        .value_kind:     by_value
      - .actual_access:  read_only
        .address_space:  global
        .offset:         16
        .size:           8
        .value_kind:     global_buffer
      - .actual_access:  read_only
        .address_space:  global
        .offset:         24
        .size:           8
        .value_kind:     global_buffer
      - .actual_access:  read_only
        .address_space:  global
        .offset:         32
        .size:           8
        .value_kind:     global_buffer
    .group_segment_fixed_size: 0
    .kernarg_segment_align: 8
    .kernarg_segment_size: 40
    .language:       OpenCL C
    .language_version:
      - 2
      - 0
    .max_flat_workgroup_size: 256
    .name:           _ZN9rocsparseL39gtsv_spike_backward_substitution_kernelILj256ELj2EdEEviiiPT1_PKS1_S4_
    .private_segment_fixed_size: 0
    .sgpr_count:     6
    .sgpr_spill_count: 0
    .symbol:         _ZN9rocsparseL39gtsv_spike_backward_substitution_kernelILj256ELj2EdEEviiiPT1_PKS1_S4_.kd
    .uniform_work_group_size: 1
    .uses_dynamic_stack: false
    .vgpr_count:     0
    .vgpr_spill_count: 0
    .wavefront_size: 64
  - .agpr_count:     0
    .args:
      - .offset:         0
        .size:           4
        .value_kind:     by_value
      - .offset:         4
        .size:           4
        .value_kind:     by_value
      - .offset:         8
        .size:           4
        .value_kind:     by_value
      - .actual_access:  read_only
        .address_space:  global
        .offset:         16
        .size:           8
        .value_kind:     global_buffer
      - .actual_access:  write_only
        .address_space:  global
        .offset:         24
        .size:           8
        .value_kind:     global_buffer
    .group_segment_fixed_size: 0
    .kernarg_segment_align: 8
    .kernarg_segment_size: 32
    .language:       OpenCL C
    .language_version:
      - 2
      - 0
    .max_flat_workgroup_size: 256
    .name:           _ZN9rocsparseL32gtsv_transpose_back_array_kernelILj256ELj2EdEEviiiPKT1_PS1_
    .private_segment_fixed_size: 0
    .sgpr_count:     18
    .sgpr_spill_count: 0
    .symbol:         _ZN9rocsparseL32gtsv_transpose_back_array_kernelILj256ELj2EdEEviiiPKT1_PS1_.kd
    .uniform_work_group_size: 1
    .uses_dynamic_stack: false
    .vgpr_count:     5
    .vgpr_spill_count: 0
    .wavefront_size: 64
  - .agpr_count:     0
    .args:
      - .offset:         0
        .size:           4
        .value_kind:     by_value
      - .offset:         4
        .size:           4
        .value_kind:     by_value
      - .offset:         8
        .size:           4
        .value_kind:     by_value
      - .actual_access:  read_only
        .address_space:  global
        .offset:         16
        .size:           8
        .value_kind:     global_buffer
      - .actual_access:  write_only
        .address_space:  global
        .offset:         24
        .size:           8
        .value_kind:     global_buffer
      - .offset:         32
        .size:           8
        .value_kind:     by_value
    .group_segment_fixed_size: 2048
    .kernarg_segment_align: 8
    .kernarg_segment_size: 40
    .language:       OpenCL C
    .language_version:
      - 2
      - 0
    .max_flat_workgroup_size: 256
    .name:           _ZN9rocsparseL42gtsv_transpose_and_pad_array_shared_kernelILj256ELj4EdEEviiiPKT1_PS1_S1_
    .private_segment_fixed_size: 0
    .sgpr_count:     18
    .sgpr_spill_count: 0
    .symbol:         _ZN9rocsparseL42gtsv_transpose_and_pad_array_shared_kernelILj256ELj4EdEEviiiPKT1_PS1_S1_.kd
    .uniform_work_group_size: 1
    .uses_dynamic_stack: false
    .vgpr_count:     6
    .vgpr_spill_count: 0
    .wavefront_size: 64
  - .agpr_count:     0
    .args:
      - .offset:         0
        .size:           4
        .value_kind:     by_value
      - .offset:         4
        .size:           4
        .value_kind:     by_value
      - .offset:         8
        .size:           4
        .value_kind:     by_value
      - .actual_access:  read_only
        .address_space:  global
        .offset:         16
        .size:           8
        .value_kind:     global_buffer
      - .actual_access:  read_only
        .address_space:  global
        .offset:         24
        .size:           8
        .value_kind:     global_buffer
      - .actual_access:  read_only
        .address_space:  global
        .offset:         32
        .size:           8
        .value_kind:     global_buffer
      - .address_space:  global
        .offset:         40
        .size:           8
        .value_kind:     global_buffer
      - .address_space:  global
        .offset:         48
        .size:           8
        .value_kind:     global_buffer
      - .address_space:  global
        .offset:         56
        .size:           8
        .value_kind:     global_buffer
      - .address_space:  global
        .offset:         64
        .size:           8
        .value_kind:     global_buffer
    .group_segment_fixed_size: 0
    .kernarg_segment_align: 8
    .kernarg_segment_size: 72
    .language:       OpenCL C
    .language_version:
      - 2
      - 0
    .max_flat_workgroup_size: 256
    .name:           _ZN9rocsparseL18gtsv_LBM_wv_kernelILj256ELj4EdEEviiiPKT1_S3_S3_PS1_S4_S4_Pi
    .private_segment_fixed_size: 0
    .sgpr_count:     36
    .sgpr_spill_count: 0
    .symbol:         _ZN9rocsparseL18gtsv_LBM_wv_kernelILj256ELj4EdEEviiiPKT1_S3_S3_PS1_S4_S4_Pi.kd
    .uniform_work_group_size: 1
    .uses_dynamic_stack: false
    .vgpr_count:     56
    .vgpr_spill_count: 0
    .wavefront_size: 64
  - .agpr_count:     0
    .args:
      - .offset:         0
        .size:           4
        .value_kind:     by_value
      - .offset:         4
        .size:           4
        .value_kind:     by_value
      - .offset:         8
        .size:           4
        .value_kind:     by_value
      - .actual_access:  read_only
        .address_space:  global
        .offset:         16
        .size:           8
        .value_kind:     global_buffer
      - .actual_access:  read_only
        .address_space:  global
        .offset:         24
        .size:           8
        .value_kind:     global_buffer
      - .actual_access:  read_only
        .address_space:  global
        .offset:         32
        .size:           8
        .value_kind:     global_buffer
      - .address_space:  global
        .offset:         40
        .size:           8
        .value_kind:     global_buffer
      - .actual_access:  read_only
        .address_space:  global
        .offset:         48
        .size:           8
        .value_kind:     global_buffer
      - .actual_access:  read_only
        .address_space:  global
        .offset:         56
        .size:           8
        .value_kind:     global_buffer
    .group_segment_fixed_size: 0
    .kernarg_segment_align: 8
    .kernarg_segment_size: 64
    .language:       OpenCL C
    .language_version:
      - 2
      - 0
    .max_flat_workgroup_size: 256
    .name:           _ZN9rocsparseL19gtsv_LBM_rhs_kernelILj256ELj4ELj8EdEEviiiPKT2_S3_S3_PS1_S3_PKi
    .private_segment_fixed_size: 0
    .sgpr_count:     42
    .sgpr_spill_count: 0
    .symbol:         _ZN9rocsparseL19gtsv_LBM_rhs_kernelILj256ELj4ELj8EdEEviiiPKT2_S3_S3_PS1_S3_PKi.kd
    .uniform_work_group_size: 1
    .uses_dynamic_stack: false
    .vgpr_count:     90
    .vgpr_spill_count: 0
    .wavefront_size: 64
  - .agpr_count:     0
    .args:
      - .offset:         0
        .size:           4
        .value_kind:     by_value
      - .offset:         4
        .size:           4
        .value_kind:     by_value
      - .offset:         8
        .size:           4
        .value_kind:     by_value
      - .actual_access:  read_only
        .address_space:  global
        .offset:         16
        .size:           8
        .value_kind:     global_buffer
      - .actual_access:  read_only
        .address_space:  global
        .offset:         24
        .size:           8
        .value_kind:     global_buffer
      - .actual_access:  read_only
        .address_space:  global
        .offset:         32
        .size:           8
        .value_kind:     global_buffer
      - .address_space:  global
        .offset:         40
        .size:           8
        .value_kind:     global_buffer
      - .actual_access:  read_only
        .address_space:  global
        .offset:         48
        .size:           8
        .value_kind:     global_buffer
      - .actual_access:  read_only
        .address_space:  global
        .offset:         56
        .size:           8
        .value_kind:     global_buffer
    .group_segment_fixed_size: 0
    .kernarg_segment_align: 8
    .kernarg_segment_size: 64
    .language:       OpenCL C
    .language_version:
      - 2
      - 0
    .max_flat_workgroup_size: 256
    .name:           _ZN9rocsparseL19gtsv_LBM_rhs_kernelILj256ELj4ELj4EdEEviiiPKT2_S3_S3_PS1_S3_PKi
    .private_segment_fixed_size: 0
    .sgpr_count:     37
    .sgpr_spill_count: 0
    .symbol:         _ZN9rocsparseL19gtsv_LBM_rhs_kernelILj256ELj4ELj4EdEEviiiPKT2_S3_S3_PS1_S3_PKi.kd
    .uniform_work_group_size: 1
    .uses_dynamic_stack: false
    .vgpr_count:     54
    .vgpr_spill_count: 0
    .wavefront_size: 64
  - .agpr_count:     0
    .args:
      - .offset:         0
        .size:           4
        .value_kind:     by_value
      - .offset:         4
        .size:           4
        .value_kind:     by_value
      - .offset:         8
        .size:           4
        .value_kind:     by_value
      - .actual_access:  read_only
        .address_space:  global
        .offset:         16
        .size:           8
        .value_kind:     global_buffer
      - .actual_access:  read_only
        .address_space:  global
        .offset:         24
        .size:           8
        .value_kind:     global_buffer
      - .actual_access:  read_only
        .address_space:  global
        .offset:         32
        .size:           8
        .value_kind:     global_buffer
      - .address_space:  global
        .offset:         40
        .size:           8
        .value_kind:     global_buffer
      - .actual_access:  read_only
        .address_space:  global
        .offset:         48
        .size:           8
        .value_kind:     global_buffer
      - .actual_access:  read_only
        .address_space:  global
        .offset:         56
        .size:           8
        .value_kind:     global_buffer
    .group_segment_fixed_size: 0
    .kernarg_segment_align: 8
    .kernarg_segment_size: 64
    .language:       OpenCL C
    .language_version:
      - 2
      - 0
    .max_flat_workgroup_size: 256
    .name:           _ZN9rocsparseL19gtsv_LBM_rhs_kernelILj256ELj4ELj2EdEEviiiPKT2_S3_S3_PS1_S3_PKi
    .private_segment_fixed_size: 0
    .sgpr_count:     35
    .sgpr_spill_count: 0
    .symbol:         _ZN9rocsparseL19gtsv_LBM_rhs_kernelILj256ELj4ELj2EdEEviiiPKT2_S3_S3_PS1_S3_PKi.kd
    .uniform_work_group_size: 1
    .uses_dynamic_stack: false
    .vgpr_count:     44
    .vgpr_spill_count: 0
    .wavefront_size: 64
  - .agpr_count:     0
    .args:
      - .offset:         0
        .size:           4
        .value_kind:     by_value
      - .offset:         4
        .size:           4
        .value_kind:     by_value
      - .offset:         8
        .size:           4
        .value_kind:     by_value
      - .actual_access:  read_only
        .address_space:  global
        .offset:         16
        .size:           8
        .value_kind:     global_buffer
      - .actual_access:  read_only
        .address_space:  global
        .offset:         24
        .size:           8
        .value_kind:     global_buffer
      - .actual_access:  read_only
        .address_space:  global
        .offset:         32
        .size:           8
        .value_kind:     global_buffer
      - .address_space:  global
        .offset:         40
        .size:           8
        .value_kind:     global_buffer
      - .actual_access:  read_only
        .address_space:  global
        .offset:         48
        .size:           8
        .value_kind:     global_buffer
      - .actual_access:  read_only
        .address_space:  global
        .offset:         56
        .size:           8
        .value_kind:     global_buffer
    .group_segment_fixed_size: 0
    .kernarg_segment_align: 8
    .kernarg_segment_size: 64
    .language:       OpenCL C
    .language_version:
      - 2
      - 0
    .max_flat_workgroup_size: 256
    .name:           _ZN9rocsparseL19gtsv_LBM_rhs_kernelILj256ELj4ELj1EdEEviiiPKT2_S3_S3_PS1_S3_PKi
    .private_segment_fixed_size: 0
    .sgpr_count:     33
    .sgpr_spill_count: 0
    .symbol:         _ZN9rocsparseL19gtsv_LBM_rhs_kernelILj256ELj4ELj1EdEEviiiPKT2_S3_S3_PS1_S3_PKi.kd
    .uniform_work_group_size: 1
    .uses_dynamic_stack: false
    .vgpr_count:     38
    .vgpr_spill_count: 0
    .wavefront_size: 64
  - .agpr_count:     0
    .args:
      - .offset:         0
        .size:           4
        .value_kind:     by_value
      - .offset:         4
        .size:           4
        .value_kind:     by_value
      - .offset:         8
        .size:           4
        .value_kind:     by_value
      - .address_space:  global
        .offset:         16
        .size:           8
        .value_kind:     global_buffer
      - .actual_access:  read_only
        .address_space:  global
        .offset:         24
        .size:           8
        .value_kind:     global_buffer
      - .actual_access:  read_only
        .address_space:  global
        .offset:         32
        .size:           8
        .value_kind:     global_buffer
      - .actual_access:  write_only
        .address_space:  global
        .offset:         40
        .size:           8
        .value_kind:     global_buffer
      - .actual_access:  write_only
        .address_space:  global
        .offset:         48
        .size:           8
        .value_kind:     global_buffer
      - .actual_access:  write_only
        .address_space:  global
        .offset:         56
        .size:           8
        .value_kind:     global_buffer
      - .actual_access:  write_only
        .address_space:  global
        .offset:         64
        .size:           8
        .value_kind:     global_buffer
      - .actual_access:  write_only
        .address_space:  global
        .offset:         72
        .size:           8
        .value_kind:     global_buffer
      - .offset:         80
        .size:           4
        .value_kind:     hidden_block_count_x
      - .offset:         84
        .size:           4
        .value_kind:     hidden_block_count_y
      - .offset:         88
        .size:           4
        .value_kind:     hidden_block_count_z
      - .offset:         92
        .size:           2
        .value_kind:     hidden_group_size_x
      - .offset:         94
        .size:           2
        .value_kind:     hidden_group_size_y
      - .offset:         96
        .size:           2
        .value_kind:     hidden_group_size_z
      - .offset:         98
        .size:           2
        .value_kind:     hidden_remainder_x
      - .offset:         100
        .size:           2
        .value_kind:     hidden_remainder_y
      - .offset:         102
        .size:           2
        .value_kind:     hidden_remainder_z
      - .offset:         120
        .size:           8
        .value_kind:     hidden_global_offset_x
      - .offset:         128
        .size:           8
        .value_kind:     hidden_global_offset_y
      - .offset:         136
        .size:           8
        .value_kind:     hidden_global_offset_z
      - .offset:         144
        .size:           2
        .value_kind:     hidden_grid_dims
    .group_segment_fixed_size: 12288
    .kernarg_segment_align: 8
    .kernarg_segment_size: 336
    .language:       OpenCL C
    .language_version:
      - 2
      - 0
    .max_flat_workgroup_size: 256
    .name:           _ZN9rocsparseL29gtsv_spike_block_level_kernelILj256ELj4EdEEviiiPT1_PKS1_S4_S2_S2_S2_S2_S2_
    .private_segment_fixed_size: 0
    .sgpr_count:     30
    .sgpr_spill_count: 0
    .symbol:         _ZN9rocsparseL29gtsv_spike_block_level_kernelILj256ELj4EdEEviiiPT1_PKS1_S4_S2_S2_S2_S2_S2_.kd
    .uniform_work_group_size: 1
    .uses_dynamic_stack: false
    .vgpr_count:     43
    .vgpr_spill_count: 0
    .wavefront_size: 64
  - .agpr_count:     0
    .args:
      - .offset:         0
        .size:           4
        .value_kind:     by_value
      - .offset:         4
        .size:           4
        .value_kind:     by_value
      - .offset:         8
        .size:           4
        .value_kind:     by_value
      - .address_space:  global
        .offset:         16
        .size:           8
        .value_kind:     global_buffer
      - .actual_access:  read_only
        .address_space:  global
        .offset:         24
        .size:           8
        .value_kind:     global_buffer
      - .actual_access:  read_only
        .address_space:  global
        .offset:         32
        .size:           8
        .value_kind:     global_buffer
      - .actual_access:  read_only
        .address_space:  global
        .offset:         40
        .size:           8
        .value_kind:     global_buffer
      - .offset:         48
        .size:           4
        .value_kind:     hidden_block_count_x
      - .offset:         52
        .size:           4
        .value_kind:     hidden_block_count_y
      - .offset:         56
        .size:           4
        .value_kind:     hidden_block_count_z
      - .offset:         60
        .size:           2
        .value_kind:     hidden_group_size_x
      - .offset:         62
        .size:           2
        .value_kind:     hidden_group_size_y
      - .offset:         64
        .size:           2
        .value_kind:     hidden_group_size_z
      - .offset:         66
        .size:           2
        .value_kind:     hidden_remainder_x
      - .offset:         68
        .size:           2
        .value_kind:     hidden_remainder_y
      - .offset:         70
        .size:           2
        .value_kind:     hidden_remainder_z
      - .offset:         88
        .size:           8
        .value_kind:     hidden_global_offset_x
      - .offset:         96
        .size:           8
        .value_kind:     hidden_global_offset_y
      - .offset:         104
        .size:           8
        .value_kind:     hidden_global_offset_z
      - .offset:         112
        .size:           2
        .value_kind:     hidden_grid_dims
    .group_segment_fixed_size: 12304
    .kernarg_segment_align: 8
    .kernarg_segment_size: 304
    .language:       OpenCL C
    .language_version:
      - 2
      - 0
    .max_flat_workgroup_size: 256
    .name:           _ZN9rocsparseL33gtsv_solve_spike_propagate_kernelILj256ELj4EdEEviiiPT1_PKS1_S4_S4_
    .private_segment_fixed_size: 0
    .sgpr_count:     24
    .sgpr_spill_count: 0
    .symbol:         _ZN9rocsparseL33gtsv_solve_spike_propagate_kernelILj256ELj4EdEEviiiPT1_PKS1_S4_S4_.kd
    .uniform_work_group_size: 1
    .uses_dynamic_stack: false
    .vgpr_count:     20
    .vgpr_spill_count: 0
    .wavefront_size: 64
  - .agpr_count:     0
    .args:
      - .offset:         0
        .size:           4
        .value_kind:     by_value
      - .offset:         4
        .size:           4
        .value_kind:     by_value
      - .offset:         8
        .size:           4
        .value_kind:     by_value
      - .address_space:  global
        .offset:         16
        .size:           8
        .value_kind:     global_buffer
      - .actual_access:  read_only
        .address_space:  global
        .offset:         24
        .size:           8
        .value_kind:     global_buffer
      - .actual_access:  read_only
        .address_space:  global
        .offset:         32
        .size:           8
        .value_kind:     global_buffer
    .group_segment_fixed_size: 0
    .kernarg_segment_align: 8
    .kernarg_segment_size: 40
    .language:       OpenCL C
    .language_version:
      - 2
      - 0
    .max_flat_workgroup_size: 256
    .name:           _ZN9rocsparseL39gtsv_spike_backward_substitution_kernelILj256ELj4EdEEviiiPT1_PKS1_S4_
    .private_segment_fixed_size: 0
    .sgpr_count:     19
    .sgpr_spill_count: 0
    .symbol:         _ZN9rocsparseL39gtsv_spike_backward_substitution_kernelILj256ELj4EdEEviiiPT1_PKS1_S4_.kd
    .uniform_work_group_size: 1
    .uses_dynamic_stack: false
    .vgpr_count:     18
    .vgpr_spill_count: 0
    .wavefront_size: 64
  - .agpr_count:     0
    .args:
      - .offset:         0
        .size:           4
        .value_kind:     by_value
      - .offset:         4
        .size:           4
        .value_kind:     by_value
      - .offset:         8
        .size:           4
        .value_kind:     by_value
      - .actual_access:  read_only
        .address_space:  global
        .offset:         16
        .size:           8
        .value_kind:     global_buffer
      - .actual_access:  write_only
        .address_space:  global
        .offset:         24
        .size:           8
        .value_kind:     global_buffer
    .group_segment_fixed_size: 0
    .kernarg_segment_align: 8
    .kernarg_segment_size: 32
    .language:       OpenCL C
    .language_version:
      - 2
      - 0
    .max_flat_workgroup_size: 256
    .name:           _ZN9rocsparseL32gtsv_transpose_back_array_kernelILj256ELj4EdEEviiiPKT1_PS1_
    .private_segment_fixed_size: 0
    .sgpr_count:     18
    .sgpr_spill_count: 0
    .symbol:         _ZN9rocsparseL32gtsv_transpose_back_array_kernelILj256ELj4EdEEviiiPKT1_PS1_.kd
    .uniform_work_group_size: 1
    .uses_dynamic_stack: false
    .vgpr_count:     5
    .vgpr_spill_count: 0
    .wavefront_size: 64
  - .agpr_count:     0
    .args:
      - .offset:         0
        .size:           4
        .value_kind:     by_value
      - .offset:         4
        .size:           4
        .value_kind:     by_value
      - .offset:         8
        .size:           4
        .value_kind:     by_value
      - .actual_access:  read_only
        .address_space:  global
        .offset:         16
        .size:           8
        .value_kind:     global_buffer
      - .actual_access:  write_only
        .address_space:  global
        .offset:         24
        .size:           8
        .value_kind:     global_buffer
      - .offset:         32
        .size:           8
        .value_kind:     by_value
    .group_segment_fixed_size: 2048
    .kernarg_segment_align: 8
    .kernarg_segment_size: 40
    .language:       OpenCL C
    .language_version:
      - 2
      - 0
    .max_flat_workgroup_size: 256
    .name:           _ZN9rocsparseL42gtsv_transpose_and_pad_array_shared_kernelILj256ELj8EdEEviiiPKT1_PS1_S1_
    .private_segment_fixed_size: 0
    .sgpr_count:     18
    .sgpr_spill_count: 0
    .symbol:         _ZN9rocsparseL42gtsv_transpose_and_pad_array_shared_kernelILj256ELj8EdEEviiiPKT1_PS1_S1_.kd
    .uniform_work_group_size: 1
    .uses_dynamic_stack: false
    .vgpr_count:     6
    .vgpr_spill_count: 0
    .wavefront_size: 64
  - .agpr_count:     0
    .args:
      - .offset:         0
        .size:           4
        .value_kind:     by_value
      - .offset:         4
        .size:           4
        .value_kind:     by_value
      - .offset:         8
        .size:           4
        .value_kind:     by_value
      - .actual_access:  read_only
        .address_space:  global
        .offset:         16
        .size:           8
        .value_kind:     global_buffer
      - .actual_access:  read_only
        .address_space:  global
        .offset:         24
        .size:           8
        .value_kind:     global_buffer
      - .actual_access:  read_only
        .address_space:  global
        .offset:         32
        .size:           8
        .value_kind:     global_buffer
      - .address_space:  global
        .offset:         40
        .size:           8
        .value_kind:     global_buffer
      - .address_space:  global
        .offset:         48
        .size:           8
        .value_kind:     global_buffer
      - .address_space:  global
        .offset:         56
        .size:           8
        .value_kind:     global_buffer
      - .address_space:  global
        .offset:         64
        .size:           8
        .value_kind:     global_buffer
    .group_segment_fixed_size: 0
    .kernarg_segment_align: 8
    .kernarg_segment_size: 72
    .language:       OpenCL C
    .language_version:
      - 2
      - 0
    .max_flat_workgroup_size: 256
    .name:           _ZN9rocsparseL18gtsv_LBM_wv_kernelILj256ELj8EdEEviiiPKT1_S3_S3_PS1_S4_S4_Pi
    .private_segment_fixed_size: 0
    .sgpr_count:     37
    .sgpr_spill_count: 0
    .symbol:         _ZN9rocsparseL18gtsv_LBM_wv_kernelILj256ELj8EdEEviiiPKT1_S3_S3_PS1_S4_S4_Pi.kd
    .uniform_work_group_size: 1
    .uses_dynamic_stack: false
    .vgpr_count:     56
    .vgpr_spill_count: 0
    .wavefront_size: 64
  - .agpr_count:     0
    .args:
      - .offset:         0
        .size:           4
        .value_kind:     by_value
      - .offset:         4
        .size:           4
        .value_kind:     by_value
      - .offset:         8
        .size:           4
        .value_kind:     by_value
      - .actual_access:  read_only
        .address_space:  global
        .offset:         16
        .size:           8
        .value_kind:     global_buffer
      - .actual_access:  read_only
        .address_space:  global
        .offset:         24
        .size:           8
        .value_kind:     global_buffer
      - .actual_access:  read_only
        .address_space:  global
        .offset:         32
        .size:           8
        .value_kind:     global_buffer
      - .address_space:  global
        .offset:         40
        .size:           8
        .value_kind:     global_buffer
      - .actual_access:  read_only
        .address_space:  global
        .offset:         48
        .size:           8
        .value_kind:     global_buffer
      - .actual_access:  read_only
        .address_space:  global
        .offset:         56
        .size:           8
        .value_kind:     global_buffer
    .group_segment_fixed_size: 0
    .kernarg_segment_align: 8
    .kernarg_segment_size: 64
    .language:       OpenCL C
    .language_version:
      - 2
      - 0
    .max_flat_workgroup_size: 256
    .name:           _ZN9rocsparseL19gtsv_LBM_rhs_kernelILj256ELj8ELj8EdEEviiiPKT2_S3_S3_PS1_S3_PKi
    .private_segment_fixed_size: 0
    .sgpr_count:     43
    .sgpr_spill_count: 0
    .symbol:         _ZN9rocsparseL19gtsv_LBM_rhs_kernelILj256ELj8ELj8EdEEviiiPKT2_S3_S3_PS1_S3_PKi.kd
    .uniform_work_group_size: 1
    .uses_dynamic_stack: false
    .vgpr_count:     90
    .vgpr_spill_count: 0
    .wavefront_size: 64
  - .agpr_count:     0
    .args:
      - .offset:         0
        .size:           4
        .value_kind:     by_value
      - .offset:         4
        .size:           4
        .value_kind:     by_value
      - .offset:         8
        .size:           4
        .value_kind:     by_value
      - .actual_access:  read_only
        .address_space:  global
        .offset:         16
        .size:           8
        .value_kind:     global_buffer
      - .actual_access:  read_only
        .address_space:  global
        .offset:         24
        .size:           8
        .value_kind:     global_buffer
      - .actual_access:  read_only
        .address_space:  global
        .offset:         32
        .size:           8
        .value_kind:     global_buffer
      - .address_space:  global
        .offset:         40
        .size:           8
        .value_kind:     global_buffer
      - .actual_access:  read_only
        .address_space:  global
        .offset:         48
        .size:           8
        .value_kind:     global_buffer
      - .actual_access:  read_only
        .address_space:  global
        .offset:         56
        .size:           8
        .value_kind:     global_buffer
    .group_segment_fixed_size: 0
    .kernarg_segment_align: 8
    .kernarg_segment_size: 64
    .language:       OpenCL C
    .language_version:
      - 2
      - 0
    .max_flat_workgroup_size: 256
    .name:           _ZN9rocsparseL19gtsv_LBM_rhs_kernelILj256ELj8ELj4EdEEviiiPKT2_S3_S3_PS1_S3_PKi
    .private_segment_fixed_size: 0
    .sgpr_count:     38
    .sgpr_spill_count: 0
    .symbol:         _ZN9rocsparseL19gtsv_LBM_rhs_kernelILj256ELj8ELj4EdEEviiiPKT2_S3_S3_PS1_S3_PKi.kd
    .uniform_work_group_size: 1
    .uses_dynamic_stack: false
    .vgpr_count:     54
    .vgpr_spill_count: 0
    .wavefront_size: 64
  - .agpr_count:     0
    .args:
      - .offset:         0
        .size:           4
        .value_kind:     by_value
      - .offset:         4
        .size:           4
        .value_kind:     by_value
      - .offset:         8
        .size:           4
        .value_kind:     by_value
      - .actual_access:  read_only
        .address_space:  global
        .offset:         16
        .size:           8
        .value_kind:     global_buffer
      - .actual_access:  read_only
        .address_space:  global
        .offset:         24
        .size:           8
        .value_kind:     global_buffer
      - .actual_access:  read_only
        .address_space:  global
        .offset:         32
        .size:           8
        .value_kind:     global_buffer
      - .address_space:  global
        .offset:         40
        .size:           8
        .value_kind:     global_buffer
      - .actual_access:  read_only
        .address_space:  global
        .offset:         48
        .size:           8
        .value_kind:     global_buffer
      - .actual_access:  read_only
        .address_space:  global
        .offset:         56
        .size:           8
        .value_kind:     global_buffer
    .group_segment_fixed_size: 0
    .kernarg_segment_align: 8
    .kernarg_segment_size: 64
    .language:       OpenCL C
    .language_version:
      - 2
      - 0
    .max_flat_workgroup_size: 256
    .name:           _ZN9rocsparseL19gtsv_LBM_rhs_kernelILj256ELj8ELj2EdEEviiiPKT2_S3_S3_PS1_S3_PKi
    .private_segment_fixed_size: 0
    .sgpr_count:     36
    .sgpr_spill_count: 0
    .symbol:         _ZN9rocsparseL19gtsv_LBM_rhs_kernelILj256ELj8ELj2EdEEviiiPKT2_S3_S3_PS1_S3_PKi.kd
    .uniform_work_group_size: 1
    .uses_dynamic_stack: false
    .vgpr_count:     44
    .vgpr_spill_count: 0
    .wavefront_size: 64
  - .agpr_count:     0
    .args:
      - .offset:         0
        .size:           4
        .value_kind:     by_value
      - .offset:         4
        .size:           4
        .value_kind:     by_value
      - .offset:         8
        .size:           4
        .value_kind:     by_value
      - .actual_access:  read_only
        .address_space:  global
        .offset:         16
        .size:           8
        .value_kind:     global_buffer
      - .actual_access:  read_only
        .address_space:  global
        .offset:         24
        .size:           8
        .value_kind:     global_buffer
      - .actual_access:  read_only
        .address_space:  global
        .offset:         32
        .size:           8
        .value_kind:     global_buffer
      - .address_space:  global
        .offset:         40
        .size:           8
        .value_kind:     global_buffer
      - .actual_access:  read_only
        .address_space:  global
        .offset:         48
        .size:           8
        .value_kind:     global_buffer
      - .actual_access:  read_only
        .address_space:  global
        .offset:         56
        .size:           8
        .value_kind:     global_buffer
    .group_segment_fixed_size: 0
    .kernarg_segment_align: 8
    .kernarg_segment_size: 64
    .language:       OpenCL C
    .language_version:
      - 2
      - 0
    .max_flat_workgroup_size: 256
    .name:           _ZN9rocsparseL19gtsv_LBM_rhs_kernelILj256ELj8ELj1EdEEviiiPKT2_S3_S3_PS1_S3_PKi
    .private_segment_fixed_size: 0
    .sgpr_count:     34
    .sgpr_spill_count: 0
    .symbol:         _ZN9rocsparseL19gtsv_LBM_rhs_kernelILj256ELj8ELj1EdEEviiiPKT2_S3_S3_PS1_S3_PKi.kd
    .uniform_work_group_size: 1
    .uses_dynamic_stack: false
    .vgpr_count:     38
    .vgpr_spill_count: 0
    .wavefront_size: 64
  - .agpr_count:     0
    .args:
      - .offset:         0
        .size:           4
        .value_kind:     by_value
      - .offset:         4
        .size:           4
        .value_kind:     by_value
      - .offset:         8
        .size:           4
        .value_kind:     by_value
      - .address_space:  global
        .offset:         16
        .size:           8
        .value_kind:     global_buffer
      - .actual_access:  read_only
        .address_space:  global
        .offset:         24
        .size:           8
        .value_kind:     global_buffer
      - .actual_access:  read_only
        .address_space:  global
        .offset:         32
        .size:           8
        .value_kind:     global_buffer
      - .actual_access:  write_only
        .address_space:  global
        .offset:         40
        .size:           8
        .value_kind:     global_buffer
      - .actual_access:  write_only
        .address_space:  global
        .offset:         48
        .size:           8
        .value_kind:     global_buffer
      - .actual_access:  write_only
        .address_space:  global
        .offset:         56
        .size:           8
        .value_kind:     global_buffer
      - .actual_access:  write_only
        .address_space:  global
        .offset:         64
        .size:           8
        .value_kind:     global_buffer
      - .actual_access:  write_only
        .address_space:  global
        .offset:         72
        .size:           8
        .value_kind:     global_buffer
      - .offset:         80
        .size:           4
        .value_kind:     hidden_block_count_x
      - .offset:         84
        .size:           4
        .value_kind:     hidden_block_count_y
      - .offset:         88
        .size:           4
        .value_kind:     hidden_block_count_z
      - .offset:         92
        .size:           2
        .value_kind:     hidden_group_size_x
      - .offset:         94
        .size:           2
        .value_kind:     hidden_group_size_y
      - .offset:         96
        .size:           2
        .value_kind:     hidden_group_size_z
      - .offset:         98
        .size:           2
        .value_kind:     hidden_remainder_x
      - .offset:         100
        .size:           2
        .value_kind:     hidden_remainder_y
      - .offset:         102
        .size:           2
        .value_kind:     hidden_remainder_z
      - .offset:         120
        .size:           8
        .value_kind:     hidden_global_offset_x
      - .offset:         128
        .size:           8
        .value_kind:     hidden_global_offset_y
      - .offset:         136
        .size:           8
        .value_kind:     hidden_global_offset_z
      - .offset:         144
        .size:           2
        .value_kind:     hidden_grid_dims
    .group_segment_fixed_size: 12288
    .kernarg_segment_align: 8
    .kernarg_segment_size: 336
    .language:       OpenCL C
    .language_version:
      - 2
      - 0
    .max_flat_workgroup_size: 256
    .name:           _ZN9rocsparseL29gtsv_spike_block_level_kernelILj256ELj8EdEEviiiPT1_PKS1_S4_S2_S2_S2_S2_S2_
    .private_segment_fixed_size: 0
    .sgpr_count:     30
    .sgpr_spill_count: 0
    .symbol:         _ZN9rocsparseL29gtsv_spike_block_level_kernelILj256ELj8EdEEviiiPT1_PKS1_S4_S2_S2_S2_S2_S2_.kd
    .uniform_work_group_size: 1
    .uses_dynamic_stack: false
    .vgpr_count:     43
    .vgpr_spill_count: 0
    .wavefront_size: 64
  - .agpr_count:     0
    .args:
      - .offset:         0
        .size:           4
        .value_kind:     by_value
      - .offset:         4
        .size:           4
        .value_kind:     by_value
      - .offset:         8
        .size:           4
        .value_kind:     by_value
      - .address_space:  global
        .offset:         16
        .size:           8
        .value_kind:     global_buffer
      - .actual_access:  read_only
        .address_space:  global
        .offset:         24
        .size:           8
        .value_kind:     global_buffer
      - .actual_access:  read_only
        .address_space:  global
        .offset:         32
        .size:           8
        .value_kind:     global_buffer
      - .actual_access:  read_only
        .address_space:  global
        .offset:         40
        .size:           8
        .value_kind:     global_buffer
      - .offset:         48
        .size:           4
        .value_kind:     hidden_block_count_x
      - .offset:         52
        .size:           4
        .value_kind:     hidden_block_count_y
      - .offset:         56
        .size:           4
        .value_kind:     hidden_block_count_z
      - .offset:         60
        .size:           2
        .value_kind:     hidden_group_size_x
      - .offset:         62
        .size:           2
        .value_kind:     hidden_group_size_y
      - .offset:         64
        .size:           2
        .value_kind:     hidden_group_size_z
      - .offset:         66
        .size:           2
        .value_kind:     hidden_remainder_x
      - .offset:         68
        .size:           2
        .value_kind:     hidden_remainder_y
      - .offset:         70
        .size:           2
        .value_kind:     hidden_remainder_z
      - .offset:         88
        .size:           8
        .value_kind:     hidden_global_offset_x
      - .offset:         96
        .size:           8
        .value_kind:     hidden_global_offset_y
      - .offset:         104
        .size:           8
        .value_kind:     hidden_global_offset_z
      - .offset:         112
        .size:           2
        .value_kind:     hidden_grid_dims
    .group_segment_fixed_size: 12304
    .kernarg_segment_align: 8
    .kernarg_segment_size: 304
    .language:       OpenCL C
    .language_version:
      - 2
      - 0
    .max_flat_workgroup_size: 256
    .name:           _ZN9rocsparseL33gtsv_solve_spike_propagate_kernelILj256ELj8EdEEviiiPT1_PKS1_S4_S4_
    .private_segment_fixed_size: 0
    .sgpr_count:     24
    .sgpr_spill_count: 0
    .symbol:         _ZN9rocsparseL33gtsv_solve_spike_propagate_kernelILj256ELj8EdEEviiiPT1_PKS1_S4_S4_.kd
    .uniform_work_group_size: 1
    .uses_dynamic_stack: false
    .vgpr_count:     20
    .vgpr_spill_count: 0
    .wavefront_size: 64
  - .agpr_count:     0
    .args:
      - .offset:         0
        .size:           4
        .value_kind:     by_value
      - .offset:         4
        .size:           4
        .value_kind:     by_value
      - .offset:         8
        .size:           4
        .value_kind:     by_value
      - .address_space:  global
        .offset:         16
        .size:           8
        .value_kind:     global_buffer
      - .actual_access:  read_only
        .address_space:  global
        .offset:         24
        .size:           8
        .value_kind:     global_buffer
      - .actual_access:  read_only
        .address_space:  global
        .offset:         32
        .size:           8
        .value_kind:     global_buffer
    .group_segment_fixed_size: 0
    .kernarg_segment_align: 8
    .kernarg_segment_size: 40
    .language:       OpenCL C
    .language_version:
      - 2
      - 0
    .max_flat_workgroup_size: 256
    .name:           _ZN9rocsparseL39gtsv_spike_backward_substitution_kernelILj256ELj8EdEEviiiPT1_PKS1_S4_
    .private_segment_fixed_size: 0
    .sgpr_count:     19
    .sgpr_spill_count: 0
    .symbol:         _ZN9rocsparseL39gtsv_spike_backward_substitution_kernelILj256ELj8EdEEviiiPT1_PKS1_S4_.kd
    .uniform_work_group_size: 1
    .uses_dynamic_stack: false
    .vgpr_count:     22
    .vgpr_spill_count: 0
    .wavefront_size: 64
  - .agpr_count:     0
    .args:
      - .offset:         0
        .size:           4
        .value_kind:     by_value
      - .offset:         4
        .size:           4
        .value_kind:     by_value
      - .offset:         8
        .size:           4
        .value_kind:     by_value
      - .actual_access:  read_only
        .address_space:  global
        .offset:         16
        .size:           8
        .value_kind:     global_buffer
      - .actual_access:  write_only
        .address_space:  global
        .offset:         24
        .size:           8
        .value_kind:     global_buffer
    .group_segment_fixed_size: 0
    .kernarg_segment_align: 8
    .kernarg_segment_size: 32
    .language:       OpenCL C
    .language_version:
      - 2
      - 0
    .max_flat_workgroup_size: 256
    .name:           _ZN9rocsparseL32gtsv_transpose_back_array_kernelILj256ELj8EdEEviiiPKT1_PS1_
    .private_segment_fixed_size: 0
    .sgpr_count:     18
    .sgpr_spill_count: 0
    .symbol:         _ZN9rocsparseL32gtsv_transpose_back_array_kernelILj256ELj8EdEEviiiPKT1_PS1_.kd
    .uniform_work_group_size: 1
    .uses_dynamic_stack: false
    .vgpr_count:     5
    .vgpr_spill_count: 0
    .wavefront_size: 64
  - .agpr_count:     0
    .args:
      - .offset:         0
        .size:           4
        .value_kind:     by_value
      - .offset:         4
        .size:           4
        .value_kind:     by_value
      - .offset:         8
        .size:           4
        .value_kind:     by_value
      - .actual_access:  read_only
        .address_space:  global
        .offset:         16
        .size:           8
        .value_kind:     global_buffer
      - .actual_access:  write_only
        .address_space:  global
        .offset:         24
        .size:           8
        .value_kind:     global_buffer
      - .offset:         32
        .size:           8
        .value_kind:     by_value
    .group_segment_fixed_size: 2048
    .kernarg_segment_align: 8
    .kernarg_segment_size: 40
    .language:       OpenCL C
    .language_version:
      - 2
      - 0
    .max_flat_workgroup_size: 256
    .name:           _ZN9rocsparseL42gtsv_transpose_and_pad_array_shared_kernelILj256ELj16EdEEviiiPKT1_PS1_S1_
    .private_segment_fixed_size: 0
    .sgpr_count:     18
    .sgpr_spill_count: 0
    .symbol:         _ZN9rocsparseL42gtsv_transpose_and_pad_array_shared_kernelILj256ELj16EdEEviiiPKT1_PS1_S1_.kd
    .uniform_work_group_size: 1
    .uses_dynamic_stack: false
    .vgpr_count:     6
    .vgpr_spill_count: 0
    .wavefront_size: 64
  - .agpr_count:     0
    .args:
      - .offset:         0
        .size:           4
        .value_kind:     by_value
      - .offset:         4
        .size:           4
        .value_kind:     by_value
      - .offset:         8
        .size:           4
        .value_kind:     by_value
      - .actual_access:  read_only
        .address_space:  global
        .offset:         16
        .size:           8
        .value_kind:     global_buffer
      - .actual_access:  read_only
        .address_space:  global
        .offset:         24
        .size:           8
        .value_kind:     global_buffer
      - .actual_access:  read_only
        .address_space:  global
        .offset:         32
        .size:           8
        .value_kind:     global_buffer
      - .address_space:  global
        .offset:         40
        .size:           8
        .value_kind:     global_buffer
      - .address_space:  global
        .offset:         48
        .size:           8
        .value_kind:     global_buffer
      - .address_space:  global
        .offset:         56
        .size:           8
        .value_kind:     global_buffer
      - .address_space:  global
        .offset:         64
        .size:           8
        .value_kind:     global_buffer
    .group_segment_fixed_size: 0
    .kernarg_segment_align: 8
    .kernarg_segment_size: 72
    .language:       OpenCL C
    .language_version:
      - 2
      - 0
    .max_flat_workgroup_size: 256
    .name:           _ZN9rocsparseL18gtsv_LBM_wv_kernelILj256ELj16EdEEviiiPKT1_S3_S3_PS1_S4_S4_Pi
    .private_segment_fixed_size: 0
    .sgpr_count:     37
    .sgpr_spill_count: 0
    .symbol:         _ZN9rocsparseL18gtsv_LBM_wv_kernelILj256ELj16EdEEviiiPKT1_S3_S3_PS1_S4_S4_Pi.kd
    .uniform_work_group_size: 1
    .uses_dynamic_stack: false
    .vgpr_count:     56
    .vgpr_spill_count: 0
    .wavefront_size: 64
  - .agpr_count:     0
    .args:
      - .offset:         0
        .size:           4
        .value_kind:     by_value
      - .offset:         4
        .size:           4
        .value_kind:     by_value
      - .offset:         8
        .size:           4
        .value_kind:     by_value
      - .actual_access:  read_only
        .address_space:  global
        .offset:         16
        .size:           8
        .value_kind:     global_buffer
      - .actual_access:  read_only
        .address_space:  global
        .offset:         24
        .size:           8
        .value_kind:     global_buffer
      - .actual_access:  read_only
        .address_space:  global
        .offset:         32
        .size:           8
        .value_kind:     global_buffer
      - .address_space:  global
        .offset:         40
        .size:           8
        .value_kind:     global_buffer
      - .actual_access:  read_only
        .address_space:  global
        .offset:         48
        .size:           8
        .value_kind:     global_buffer
      - .actual_access:  read_only
        .address_space:  global
        .offset:         56
        .size:           8
        .value_kind:     global_buffer
    .group_segment_fixed_size: 0
    .kernarg_segment_align: 8
    .kernarg_segment_size: 64
    .language:       OpenCL C
    .language_version:
      - 2
      - 0
    .max_flat_workgroup_size: 256
    .name:           _ZN9rocsparseL19gtsv_LBM_rhs_kernelILj256ELj16ELj8EdEEviiiPKT2_S3_S3_PS1_S3_PKi
    .private_segment_fixed_size: 0
    .sgpr_count:     43
    .sgpr_spill_count: 0
    .symbol:         _ZN9rocsparseL19gtsv_LBM_rhs_kernelILj256ELj16ELj8EdEEviiiPKT2_S3_S3_PS1_S3_PKi.kd
    .uniform_work_group_size: 1
    .uses_dynamic_stack: false
    .vgpr_count:     90
    .vgpr_spill_count: 0
    .wavefront_size: 64
  - .agpr_count:     0
    .args:
      - .offset:         0
        .size:           4
        .value_kind:     by_value
      - .offset:         4
        .size:           4
        .value_kind:     by_value
      - .offset:         8
        .size:           4
        .value_kind:     by_value
      - .actual_access:  read_only
        .address_space:  global
        .offset:         16
        .size:           8
        .value_kind:     global_buffer
      - .actual_access:  read_only
        .address_space:  global
        .offset:         24
        .size:           8
        .value_kind:     global_buffer
      - .actual_access:  read_only
        .address_space:  global
        .offset:         32
        .size:           8
        .value_kind:     global_buffer
      - .address_space:  global
        .offset:         40
        .size:           8
        .value_kind:     global_buffer
      - .actual_access:  read_only
        .address_space:  global
        .offset:         48
        .size:           8
        .value_kind:     global_buffer
      - .actual_access:  read_only
        .address_space:  global
        .offset:         56
        .size:           8
        .value_kind:     global_buffer
    .group_segment_fixed_size: 0
    .kernarg_segment_align: 8
    .kernarg_segment_size: 64
    .language:       OpenCL C
    .language_version:
      - 2
      - 0
    .max_flat_workgroup_size: 256
    .name:           _ZN9rocsparseL19gtsv_LBM_rhs_kernelILj256ELj16ELj4EdEEviiiPKT2_S3_S3_PS1_S3_PKi
    .private_segment_fixed_size: 0
    .sgpr_count:     38
    .sgpr_spill_count: 0
    .symbol:         _ZN9rocsparseL19gtsv_LBM_rhs_kernelILj256ELj16ELj4EdEEviiiPKT2_S3_S3_PS1_S3_PKi.kd
    .uniform_work_group_size: 1
    .uses_dynamic_stack: false
    .vgpr_count:     54
    .vgpr_spill_count: 0
    .wavefront_size: 64
  - .agpr_count:     0
    .args:
      - .offset:         0
        .size:           4
        .value_kind:     by_value
      - .offset:         4
        .size:           4
        .value_kind:     by_value
      - .offset:         8
        .size:           4
        .value_kind:     by_value
      - .actual_access:  read_only
        .address_space:  global
        .offset:         16
        .size:           8
        .value_kind:     global_buffer
      - .actual_access:  read_only
        .address_space:  global
        .offset:         24
        .size:           8
        .value_kind:     global_buffer
      - .actual_access:  read_only
        .address_space:  global
        .offset:         32
        .size:           8
        .value_kind:     global_buffer
      - .address_space:  global
        .offset:         40
        .size:           8
        .value_kind:     global_buffer
      - .actual_access:  read_only
        .address_space:  global
        .offset:         48
        .size:           8
        .value_kind:     global_buffer
      - .actual_access:  read_only
        .address_space:  global
        .offset:         56
        .size:           8
        .value_kind:     global_buffer
    .group_segment_fixed_size: 0
    .kernarg_segment_align: 8
    .kernarg_segment_size: 64
    .language:       OpenCL C
    .language_version:
      - 2
      - 0
    .max_flat_workgroup_size: 256
    .name:           _ZN9rocsparseL19gtsv_LBM_rhs_kernelILj256ELj16ELj2EdEEviiiPKT2_S3_S3_PS1_S3_PKi
    .private_segment_fixed_size: 0
    .sgpr_count:     36
    .sgpr_spill_count: 0
    .symbol:         _ZN9rocsparseL19gtsv_LBM_rhs_kernelILj256ELj16ELj2EdEEviiiPKT2_S3_S3_PS1_S3_PKi.kd
    .uniform_work_group_size: 1
    .uses_dynamic_stack: false
    .vgpr_count:     44
    .vgpr_spill_count: 0
    .wavefront_size: 64
  - .agpr_count:     0
    .args:
      - .offset:         0
        .size:           4
        .value_kind:     by_value
      - .offset:         4
        .size:           4
        .value_kind:     by_value
      - .offset:         8
        .size:           4
        .value_kind:     by_value
      - .actual_access:  read_only
        .address_space:  global
        .offset:         16
        .size:           8
        .value_kind:     global_buffer
      - .actual_access:  read_only
        .address_space:  global
        .offset:         24
        .size:           8
        .value_kind:     global_buffer
      - .actual_access:  read_only
        .address_space:  global
        .offset:         32
        .size:           8
        .value_kind:     global_buffer
      - .address_space:  global
        .offset:         40
        .size:           8
        .value_kind:     global_buffer
      - .actual_access:  read_only
        .address_space:  global
        .offset:         48
        .size:           8
        .value_kind:     global_buffer
      - .actual_access:  read_only
        .address_space:  global
        .offset:         56
        .size:           8
        .value_kind:     global_buffer
    .group_segment_fixed_size: 0
    .kernarg_segment_align: 8
    .kernarg_segment_size: 64
    .language:       OpenCL C
    .language_version:
      - 2
      - 0
    .max_flat_workgroup_size: 256
    .name:           _ZN9rocsparseL19gtsv_LBM_rhs_kernelILj256ELj16ELj1EdEEviiiPKT2_S3_S3_PS1_S3_PKi
    .private_segment_fixed_size: 0
    .sgpr_count:     34
    .sgpr_spill_count: 0
    .symbol:         _ZN9rocsparseL19gtsv_LBM_rhs_kernelILj256ELj16ELj1EdEEviiiPKT2_S3_S3_PS1_S3_PKi.kd
    .uniform_work_group_size: 1
    .uses_dynamic_stack: false
    .vgpr_count:     38
    .vgpr_spill_count: 0
    .wavefront_size: 64
  - .agpr_count:     0
    .args:
      - .offset:         0
        .size:           4
        .value_kind:     by_value
      - .offset:         4
        .size:           4
        .value_kind:     by_value
      - .offset:         8
        .size:           4
        .value_kind:     by_value
      - .address_space:  global
        .offset:         16
        .size:           8
        .value_kind:     global_buffer
      - .actual_access:  read_only
        .address_space:  global
        .offset:         24
        .size:           8
        .value_kind:     global_buffer
      - .actual_access:  read_only
        .address_space:  global
        .offset:         32
        .size:           8
        .value_kind:     global_buffer
      - .actual_access:  write_only
        .address_space:  global
        .offset:         40
        .size:           8
        .value_kind:     global_buffer
      - .actual_access:  write_only
        .address_space:  global
        .offset:         48
        .size:           8
        .value_kind:     global_buffer
      - .actual_access:  write_only
        .address_space:  global
        .offset:         56
        .size:           8
        .value_kind:     global_buffer
      - .actual_access:  write_only
        .address_space:  global
        .offset:         64
        .size:           8
        .value_kind:     global_buffer
      - .actual_access:  write_only
        .address_space:  global
        .offset:         72
        .size:           8
        .value_kind:     global_buffer
      - .offset:         80
        .size:           4
        .value_kind:     hidden_block_count_x
      - .offset:         84
        .size:           4
        .value_kind:     hidden_block_count_y
      - .offset:         88
        .size:           4
        .value_kind:     hidden_block_count_z
      - .offset:         92
        .size:           2
        .value_kind:     hidden_group_size_x
      - .offset:         94
        .size:           2
        .value_kind:     hidden_group_size_y
      - .offset:         96
        .size:           2
        .value_kind:     hidden_group_size_z
      - .offset:         98
        .size:           2
        .value_kind:     hidden_remainder_x
      - .offset:         100
        .size:           2
        .value_kind:     hidden_remainder_y
      - .offset:         102
        .size:           2
        .value_kind:     hidden_remainder_z
      - .offset:         120
        .size:           8
        .value_kind:     hidden_global_offset_x
      - .offset:         128
        .size:           8
        .value_kind:     hidden_global_offset_y
      - .offset:         136
        .size:           8
        .value_kind:     hidden_global_offset_z
      - .offset:         144
        .size:           2
        .value_kind:     hidden_grid_dims
    .group_segment_fixed_size: 12288
    .kernarg_segment_align: 8
    .kernarg_segment_size: 336
    .language:       OpenCL C
    .language_version:
      - 2
      - 0
    .max_flat_workgroup_size: 256
    .name:           _ZN9rocsparseL29gtsv_spike_block_level_kernelILj256ELj16EdEEviiiPT1_PKS1_S4_S2_S2_S2_S2_S2_
    .private_segment_fixed_size: 0
    .sgpr_count:     30
    .sgpr_spill_count: 0
    .symbol:         _ZN9rocsparseL29gtsv_spike_block_level_kernelILj256ELj16EdEEviiiPT1_PKS1_S4_S2_S2_S2_S2_S2_.kd
    .uniform_work_group_size: 1
    .uses_dynamic_stack: false
    .vgpr_count:     43
    .vgpr_spill_count: 0
    .wavefront_size: 64
  - .agpr_count:     0
    .args:
      - .offset:         0
        .size:           4
        .value_kind:     by_value
      - .offset:         4
        .size:           4
        .value_kind:     by_value
      - .offset:         8
        .size:           4
        .value_kind:     by_value
      - .address_space:  global
        .offset:         16
        .size:           8
        .value_kind:     global_buffer
      - .actual_access:  read_only
        .address_space:  global
        .offset:         24
        .size:           8
        .value_kind:     global_buffer
      - .actual_access:  read_only
        .address_space:  global
        .offset:         32
        .size:           8
        .value_kind:     global_buffer
      - .actual_access:  read_only
        .address_space:  global
        .offset:         40
        .size:           8
        .value_kind:     global_buffer
      - .offset:         48
        .size:           4
        .value_kind:     hidden_block_count_x
      - .offset:         52
        .size:           4
        .value_kind:     hidden_block_count_y
      - .offset:         56
        .size:           4
        .value_kind:     hidden_block_count_z
      - .offset:         60
        .size:           2
        .value_kind:     hidden_group_size_x
      - .offset:         62
        .size:           2
        .value_kind:     hidden_group_size_y
      - .offset:         64
        .size:           2
        .value_kind:     hidden_group_size_z
      - .offset:         66
        .size:           2
        .value_kind:     hidden_remainder_x
      - .offset:         68
        .size:           2
        .value_kind:     hidden_remainder_y
      - .offset:         70
        .size:           2
        .value_kind:     hidden_remainder_z
      - .offset:         88
        .size:           8
        .value_kind:     hidden_global_offset_x
      - .offset:         96
        .size:           8
        .value_kind:     hidden_global_offset_y
      - .offset:         104
        .size:           8
        .value_kind:     hidden_global_offset_z
      - .offset:         112
        .size:           2
        .value_kind:     hidden_grid_dims
    .group_segment_fixed_size: 12304
    .kernarg_segment_align: 8
    .kernarg_segment_size: 304
    .language:       OpenCL C
    .language_version:
      - 2
      - 0
    .max_flat_workgroup_size: 256
    .name:           _ZN9rocsparseL33gtsv_solve_spike_propagate_kernelILj256ELj16EdEEviiiPT1_PKS1_S4_S4_
    .private_segment_fixed_size: 0
    .sgpr_count:     24
    .sgpr_spill_count: 0
    .symbol:         _ZN9rocsparseL33gtsv_solve_spike_propagate_kernelILj256ELj16EdEEviiiPT1_PKS1_S4_S4_.kd
    .uniform_work_group_size: 1
    .uses_dynamic_stack: false
    .vgpr_count:     20
    .vgpr_spill_count: 0
    .wavefront_size: 64
  - .agpr_count:     0
    .args:
      - .offset:         0
        .size:           4
        .value_kind:     by_value
      - .offset:         4
        .size:           4
        .value_kind:     by_value
      - .offset:         8
        .size:           4
        .value_kind:     by_value
      - .address_space:  global
        .offset:         16
        .size:           8
        .value_kind:     global_buffer
      - .actual_access:  read_only
        .address_space:  global
        .offset:         24
        .size:           8
        .value_kind:     global_buffer
      - .actual_access:  read_only
        .address_space:  global
        .offset:         32
        .size:           8
        .value_kind:     global_buffer
    .group_segment_fixed_size: 0
    .kernarg_segment_align: 8
    .kernarg_segment_size: 40
    .language:       OpenCL C
    .language_version:
      - 2
      - 0
    .max_flat_workgroup_size: 256
    .name:           _ZN9rocsparseL39gtsv_spike_backward_substitution_kernelILj256ELj16EdEEviiiPT1_PKS1_S4_
    .private_segment_fixed_size: 0
    .sgpr_count:     19
    .sgpr_spill_count: 0
    .symbol:         _ZN9rocsparseL39gtsv_spike_backward_substitution_kernelILj256ELj16EdEEviiiPT1_PKS1_S4_.kd
    .uniform_work_group_size: 1
    .uses_dynamic_stack: false
    .vgpr_count:     22
    .vgpr_spill_count: 0
    .wavefront_size: 64
  - .agpr_count:     0
    .args:
      - .offset:         0
        .size:           4
        .value_kind:     by_value
      - .offset:         4
        .size:           4
        .value_kind:     by_value
      - .offset:         8
        .size:           4
        .value_kind:     by_value
      - .actual_access:  read_only
        .address_space:  global
        .offset:         16
        .size:           8
        .value_kind:     global_buffer
      - .actual_access:  write_only
        .address_space:  global
        .offset:         24
        .size:           8
        .value_kind:     global_buffer
    .group_segment_fixed_size: 0
    .kernarg_segment_align: 8
    .kernarg_segment_size: 32
    .language:       OpenCL C
    .language_version:
      - 2
      - 0
    .max_flat_workgroup_size: 256
    .name:           _ZN9rocsparseL32gtsv_transpose_back_array_kernelILj256ELj16EdEEviiiPKT1_PS1_
    .private_segment_fixed_size: 0
    .sgpr_count:     18
    .sgpr_spill_count: 0
    .symbol:         _ZN9rocsparseL32gtsv_transpose_back_array_kernelILj256ELj16EdEEviiiPKT1_PS1_.kd
    .uniform_work_group_size: 1
    .uses_dynamic_stack: false
    .vgpr_count:     5
    .vgpr_spill_count: 0
    .wavefront_size: 64
  - .agpr_count:     0
    .args:
      - .offset:         0
        .size:           4
        .value_kind:     by_value
      - .offset:         4
        .size:           4
        .value_kind:     by_value
      - .offset:         8
        .size:           4
        .value_kind:     by_value
      - .actual_access:  read_only
        .address_space:  global
        .offset:         16
        .size:           8
        .value_kind:     global_buffer
      - .actual_access:  write_only
        .address_space:  global
        .offset:         24
        .size:           8
        .value_kind:     global_buffer
      - .offset:         32
        .size:           8
        .value_kind:     by_value
    .group_segment_fixed_size: 2048
    .kernarg_segment_align: 8
    .kernarg_segment_size: 40
    .language:       OpenCL C
    .language_version:
      - 2
      - 0
    .max_flat_workgroup_size: 256
    .name:           _ZN9rocsparseL42gtsv_transpose_and_pad_array_shared_kernelILj256ELj32EdEEviiiPKT1_PS1_S1_
    .private_segment_fixed_size: 0
    .sgpr_count:     18
    .sgpr_spill_count: 0
    .symbol:         _ZN9rocsparseL42gtsv_transpose_and_pad_array_shared_kernelILj256ELj32EdEEviiiPKT1_PS1_S1_.kd
    .uniform_work_group_size: 1
    .uses_dynamic_stack: false
    .vgpr_count:     6
    .vgpr_spill_count: 0
    .wavefront_size: 64
  - .agpr_count:     0
    .args:
      - .offset:         0
        .size:           4
        .value_kind:     by_value
      - .offset:         4
        .size:           4
        .value_kind:     by_value
      - .offset:         8
        .size:           4
        .value_kind:     by_value
      - .actual_access:  read_only
        .address_space:  global
        .offset:         16
        .size:           8
        .value_kind:     global_buffer
      - .actual_access:  read_only
        .address_space:  global
        .offset:         24
        .size:           8
        .value_kind:     global_buffer
      - .actual_access:  read_only
        .address_space:  global
        .offset:         32
        .size:           8
        .value_kind:     global_buffer
      - .address_space:  global
        .offset:         40
        .size:           8
        .value_kind:     global_buffer
      - .address_space:  global
        .offset:         48
        .size:           8
        .value_kind:     global_buffer
      - .address_space:  global
        .offset:         56
        .size:           8
        .value_kind:     global_buffer
      - .address_space:  global
        .offset:         64
        .size:           8
        .value_kind:     global_buffer
    .group_segment_fixed_size: 0
    .kernarg_segment_align: 8
    .kernarg_segment_size: 72
    .language:       OpenCL C
    .language_version:
      - 2
      - 0
    .max_flat_workgroup_size: 256
    .name:           _ZN9rocsparseL18gtsv_LBM_wv_kernelILj256ELj32EdEEviiiPKT1_S3_S3_PS1_S4_S4_Pi
    .private_segment_fixed_size: 0
    .sgpr_count:     37
    .sgpr_spill_count: 0
    .symbol:         _ZN9rocsparseL18gtsv_LBM_wv_kernelILj256ELj32EdEEviiiPKT1_S3_S3_PS1_S4_S4_Pi.kd
    .uniform_work_group_size: 1
    .uses_dynamic_stack: false
    .vgpr_count:     56
    .vgpr_spill_count: 0
    .wavefront_size: 64
  - .agpr_count:     0
    .args:
      - .offset:         0
        .size:           4
        .value_kind:     by_value
      - .offset:         4
        .size:           4
        .value_kind:     by_value
      - .offset:         8
        .size:           4
        .value_kind:     by_value
      - .actual_access:  read_only
        .address_space:  global
        .offset:         16
        .size:           8
        .value_kind:     global_buffer
      - .actual_access:  read_only
        .address_space:  global
        .offset:         24
        .size:           8
        .value_kind:     global_buffer
      - .actual_access:  read_only
        .address_space:  global
        .offset:         32
        .size:           8
        .value_kind:     global_buffer
      - .address_space:  global
        .offset:         40
        .size:           8
        .value_kind:     global_buffer
      - .actual_access:  read_only
        .address_space:  global
        .offset:         48
        .size:           8
        .value_kind:     global_buffer
      - .actual_access:  read_only
        .address_space:  global
        .offset:         56
        .size:           8
        .value_kind:     global_buffer
    .group_segment_fixed_size: 0
    .kernarg_segment_align: 8
    .kernarg_segment_size: 64
    .language:       OpenCL C
    .language_version:
      - 2
      - 0
    .max_flat_workgroup_size: 256
    .name:           _ZN9rocsparseL19gtsv_LBM_rhs_kernelILj256ELj32ELj8EdEEviiiPKT2_S3_S3_PS1_S3_PKi
    .private_segment_fixed_size: 0
    .sgpr_count:     43
    .sgpr_spill_count: 0
    .symbol:         _ZN9rocsparseL19gtsv_LBM_rhs_kernelILj256ELj32ELj8EdEEviiiPKT2_S3_S3_PS1_S3_PKi.kd
    .uniform_work_group_size: 1
    .uses_dynamic_stack: false
    .vgpr_count:     90
    .vgpr_spill_count: 0
    .wavefront_size: 64
  - .agpr_count:     0
    .args:
      - .offset:         0
        .size:           4
        .value_kind:     by_value
      - .offset:         4
        .size:           4
        .value_kind:     by_value
      - .offset:         8
        .size:           4
        .value_kind:     by_value
      - .actual_access:  read_only
        .address_space:  global
        .offset:         16
        .size:           8
        .value_kind:     global_buffer
      - .actual_access:  read_only
        .address_space:  global
        .offset:         24
        .size:           8
        .value_kind:     global_buffer
      - .actual_access:  read_only
        .address_space:  global
        .offset:         32
        .size:           8
        .value_kind:     global_buffer
      - .address_space:  global
        .offset:         40
        .size:           8
        .value_kind:     global_buffer
      - .actual_access:  read_only
        .address_space:  global
        .offset:         48
        .size:           8
        .value_kind:     global_buffer
      - .actual_access:  read_only
        .address_space:  global
        .offset:         56
        .size:           8
        .value_kind:     global_buffer
    .group_segment_fixed_size: 0
    .kernarg_segment_align: 8
    .kernarg_segment_size: 64
    .language:       OpenCL C
    .language_version:
      - 2
      - 0
    .max_flat_workgroup_size: 256
    .name:           _ZN9rocsparseL19gtsv_LBM_rhs_kernelILj256ELj32ELj4EdEEviiiPKT2_S3_S3_PS1_S3_PKi
    .private_segment_fixed_size: 0
    .sgpr_count:     38
    .sgpr_spill_count: 0
    .symbol:         _ZN9rocsparseL19gtsv_LBM_rhs_kernelILj256ELj32ELj4EdEEviiiPKT2_S3_S3_PS1_S3_PKi.kd
    .uniform_work_group_size: 1
    .uses_dynamic_stack: false
    .vgpr_count:     54
    .vgpr_spill_count: 0
    .wavefront_size: 64
  - .agpr_count:     0
    .args:
      - .offset:         0
        .size:           4
        .value_kind:     by_value
      - .offset:         4
        .size:           4
        .value_kind:     by_value
      - .offset:         8
        .size:           4
        .value_kind:     by_value
      - .actual_access:  read_only
        .address_space:  global
        .offset:         16
        .size:           8
        .value_kind:     global_buffer
      - .actual_access:  read_only
        .address_space:  global
        .offset:         24
        .size:           8
        .value_kind:     global_buffer
      - .actual_access:  read_only
        .address_space:  global
        .offset:         32
        .size:           8
        .value_kind:     global_buffer
      - .address_space:  global
        .offset:         40
        .size:           8
        .value_kind:     global_buffer
      - .actual_access:  read_only
        .address_space:  global
        .offset:         48
        .size:           8
        .value_kind:     global_buffer
      - .actual_access:  read_only
        .address_space:  global
        .offset:         56
        .size:           8
        .value_kind:     global_buffer
    .group_segment_fixed_size: 0
    .kernarg_segment_align: 8
    .kernarg_segment_size: 64
    .language:       OpenCL C
    .language_version:
      - 2
      - 0
    .max_flat_workgroup_size: 256
    .name:           _ZN9rocsparseL19gtsv_LBM_rhs_kernelILj256ELj32ELj2EdEEviiiPKT2_S3_S3_PS1_S3_PKi
    .private_segment_fixed_size: 0
    .sgpr_count:     36
    .sgpr_spill_count: 0
    .symbol:         _ZN9rocsparseL19gtsv_LBM_rhs_kernelILj256ELj32ELj2EdEEviiiPKT2_S3_S3_PS1_S3_PKi.kd
    .uniform_work_group_size: 1
    .uses_dynamic_stack: false
    .vgpr_count:     44
    .vgpr_spill_count: 0
    .wavefront_size: 64
  - .agpr_count:     0
    .args:
      - .offset:         0
        .size:           4
        .value_kind:     by_value
      - .offset:         4
        .size:           4
        .value_kind:     by_value
      - .offset:         8
        .size:           4
        .value_kind:     by_value
      - .actual_access:  read_only
        .address_space:  global
        .offset:         16
        .size:           8
        .value_kind:     global_buffer
      - .actual_access:  read_only
        .address_space:  global
        .offset:         24
        .size:           8
        .value_kind:     global_buffer
      - .actual_access:  read_only
        .address_space:  global
        .offset:         32
        .size:           8
        .value_kind:     global_buffer
      - .address_space:  global
        .offset:         40
        .size:           8
        .value_kind:     global_buffer
      - .actual_access:  read_only
        .address_space:  global
        .offset:         48
        .size:           8
        .value_kind:     global_buffer
      - .actual_access:  read_only
        .address_space:  global
        .offset:         56
        .size:           8
        .value_kind:     global_buffer
    .group_segment_fixed_size: 0
    .kernarg_segment_align: 8
    .kernarg_segment_size: 64
    .language:       OpenCL C
    .language_version:
      - 2
      - 0
    .max_flat_workgroup_size: 256
    .name:           _ZN9rocsparseL19gtsv_LBM_rhs_kernelILj256ELj32ELj1EdEEviiiPKT2_S3_S3_PS1_S3_PKi
    .private_segment_fixed_size: 0
    .sgpr_count:     34
    .sgpr_spill_count: 0
    .symbol:         _ZN9rocsparseL19gtsv_LBM_rhs_kernelILj256ELj32ELj1EdEEviiiPKT2_S3_S3_PS1_S3_PKi.kd
    .uniform_work_group_size: 1
    .uses_dynamic_stack: false
    .vgpr_count:     38
    .vgpr_spill_count: 0
    .wavefront_size: 64
  - .agpr_count:     0
    .args:
      - .offset:         0
        .size:           4
        .value_kind:     by_value
      - .offset:         4
        .size:           4
        .value_kind:     by_value
      - .offset:         8
        .size:           4
        .value_kind:     by_value
      - .address_space:  global
        .offset:         16
        .size:           8
        .value_kind:     global_buffer
      - .actual_access:  read_only
        .address_space:  global
        .offset:         24
        .size:           8
        .value_kind:     global_buffer
      - .actual_access:  read_only
        .address_space:  global
        .offset:         32
        .size:           8
        .value_kind:     global_buffer
      - .actual_access:  write_only
        .address_space:  global
        .offset:         40
        .size:           8
        .value_kind:     global_buffer
      - .actual_access:  write_only
        .address_space:  global
        .offset:         48
        .size:           8
        .value_kind:     global_buffer
      - .actual_access:  write_only
        .address_space:  global
        .offset:         56
        .size:           8
        .value_kind:     global_buffer
      - .actual_access:  write_only
        .address_space:  global
        .offset:         64
        .size:           8
        .value_kind:     global_buffer
      - .actual_access:  write_only
        .address_space:  global
        .offset:         72
        .size:           8
        .value_kind:     global_buffer
      - .offset:         80
        .size:           4
        .value_kind:     hidden_block_count_x
      - .offset:         84
        .size:           4
        .value_kind:     hidden_block_count_y
      - .offset:         88
        .size:           4
        .value_kind:     hidden_block_count_z
      - .offset:         92
        .size:           2
        .value_kind:     hidden_group_size_x
      - .offset:         94
        .size:           2
        .value_kind:     hidden_group_size_y
      - .offset:         96
        .size:           2
        .value_kind:     hidden_group_size_z
      - .offset:         98
        .size:           2
        .value_kind:     hidden_remainder_x
      - .offset:         100
        .size:           2
        .value_kind:     hidden_remainder_y
      - .offset:         102
        .size:           2
        .value_kind:     hidden_remainder_z
      - .offset:         120
        .size:           8
        .value_kind:     hidden_global_offset_x
      - .offset:         128
        .size:           8
        .value_kind:     hidden_global_offset_y
      - .offset:         136
        .size:           8
        .value_kind:     hidden_global_offset_z
      - .offset:         144
        .size:           2
        .value_kind:     hidden_grid_dims
    .group_segment_fixed_size: 12288
    .kernarg_segment_align: 8
    .kernarg_segment_size: 336
    .language:       OpenCL C
    .language_version:
      - 2
      - 0
    .max_flat_workgroup_size: 256
    .name:           _ZN9rocsparseL29gtsv_spike_block_level_kernelILj256ELj32EdEEviiiPT1_PKS1_S4_S2_S2_S2_S2_S2_
    .private_segment_fixed_size: 0
    .sgpr_count:     30
    .sgpr_spill_count: 0
    .symbol:         _ZN9rocsparseL29gtsv_spike_block_level_kernelILj256ELj32EdEEviiiPT1_PKS1_S4_S2_S2_S2_S2_S2_.kd
    .uniform_work_group_size: 1
    .uses_dynamic_stack: false
    .vgpr_count:     43
    .vgpr_spill_count: 0
    .wavefront_size: 64
  - .agpr_count:     0
    .args:
      - .offset:         0
        .size:           4
        .value_kind:     by_value
      - .offset:         4
        .size:           4
        .value_kind:     by_value
      - .offset:         8
        .size:           4
        .value_kind:     by_value
      - .address_space:  global
        .offset:         16
        .size:           8
        .value_kind:     global_buffer
      - .actual_access:  read_only
        .address_space:  global
        .offset:         24
        .size:           8
        .value_kind:     global_buffer
      - .actual_access:  read_only
        .address_space:  global
        .offset:         32
        .size:           8
        .value_kind:     global_buffer
      - .actual_access:  read_only
        .address_space:  global
        .offset:         40
        .size:           8
        .value_kind:     global_buffer
      - .offset:         48
        .size:           4
        .value_kind:     hidden_block_count_x
      - .offset:         52
        .size:           4
        .value_kind:     hidden_block_count_y
      - .offset:         56
        .size:           4
        .value_kind:     hidden_block_count_z
      - .offset:         60
        .size:           2
        .value_kind:     hidden_group_size_x
      - .offset:         62
        .size:           2
        .value_kind:     hidden_group_size_y
      - .offset:         64
        .size:           2
        .value_kind:     hidden_group_size_z
      - .offset:         66
        .size:           2
        .value_kind:     hidden_remainder_x
      - .offset:         68
        .size:           2
        .value_kind:     hidden_remainder_y
      - .offset:         70
        .size:           2
        .value_kind:     hidden_remainder_z
      - .offset:         88
        .size:           8
        .value_kind:     hidden_global_offset_x
      - .offset:         96
        .size:           8
        .value_kind:     hidden_global_offset_y
      - .offset:         104
        .size:           8
        .value_kind:     hidden_global_offset_z
      - .offset:         112
        .size:           2
        .value_kind:     hidden_grid_dims
    .group_segment_fixed_size: 12304
    .kernarg_segment_align: 8
    .kernarg_segment_size: 304
    .language:       OpenCL C
    .language_version:
      - 2
      - 0
    .max_flat_workgroup_size: 256
    .name:           _ZN9rocsparseL33gtsv_solve_spike_propagate_kernelILj256ELj32EdEEviiiPT1_PKS1_S4_S4_
    .private_segment_fixed_size: 0
    .sgpr_count:     24
    .sgpr_spill_count: 0
    .symbol:         _ZN9rocsparseL33gtsv_solve_spike_propagate_kernelILj256ELj32EdEEviiiPT1_PKS1_S4_S4_.kd
    .uniform_work_group_size: 1
    .uses_dynamic_stack: false
    .vgpr_count:     20
    .vgpr_spill_count: 0
    .wavefront_size: 64
  - .agpr_count:     0
    .args:
      - .offset:         0
        .size:           4
        .value_kind:     by_value
      - .offset:         4
        .size:           4
        .value_kind:     by_value
      - .offset:         8
        .size:           4
        .value_kind:     by_value
      - .address_space:  global
        .offset:         16
        .size:           8
        .value_kind:     global_buffer
      - .actual_access:  read_only
        .address_space:  global
        .offset:         24
        .size:           8
        .value_kind:     global_buffer
      - .actual_access:  read_only
        .address_space:  global
        .offset:         32
        .size:           8
        .value_kind:     global_buffer
    .group_segment_fixed_size: 0
    .kernarg_segment_align: 8
    .kernarg_segment_size: 40
    .language:       OpenCL C
    .language_version:
      - 2
      - 0
    .max_flat_workgroup_size: 256
    .name:           _ZN9rocsparseL39gtsv_spike_backward_substitution_kernelILj256ELj32EdEEviiiPT1_PKS1_S4_
    .private_segment_fixed_size: 0
    .sgpr_count:     18
    .sgpr_spill_count: 0
    .symbol:         _ZN9rocsparseL39gtsv_spike_backward_substitution_kernelILj256ELj32EdEEviiiPT1_PKS1_S4_.kd
    .uniform_work_group_size: 1
    .uses_dynamic_stack: false
    .vgpr_count:     30
    .vgpr_spill_count: 0
    .wavefront_size: 64
  - .agpr_count:     0
    .args:
      - .offset:         0
        .size:           4
        .value_kind:     by_value
      - .offset:         4
        .size:           4
        .value_kind:     by_value
      - .offset:         8
        .size:           4
        .value_kind:     by_value
      - .actual_access:  read_only
        .address_space:  global
        .offset:         16
        .size:           8
        .value_kind:     global_buffer
      - .actual_access:  write_only
        .address_space:  global
        .offset:         24
        .size:           8
        .value_kind:     global_buffer
    .group_segment_fixed_size: 0
    .kernarg_segment_align: 8
    .kernarg_segment_size: 32
    .language:       OpenCL C
    .language_version:
      - 2
      - 0
    .max_flat_workgroup_size: 256
    .name:           _ZN9rocsparseL32gtsv_transpose_back_array_kernelILj256ELj32EdEEviiiPKT1_PS1_
    .private_segment_fixed_size: 0
    .sgpr_count:     18
    .sgpr_spill_count: 0
    .symbol:         _ZN9rocsparseL32gtsv_transpose_back_array_kernelILj256ELj32EdEEviiiPKT1_PS1_.kd
    .uniform_work_group_size: 1
    .uses_dynamic_stack: false
    .vgpr_count:     5
    .vgpr_spill_count: 0
    .wavefront_size: 64
  - .agpr_count:     0
    .args:
      - .offset:         0
        .size:           4
        .value_kind:     by_value
      - .offset:         4
        .size:           4
        .value_kind:     by_value
      - .offset:         8
        .size:           4
        .value_kind:     by_value
      - .actual_access:  read_only
        .address_space:  global
        .offset:         16
        .size:           8
        .value_kind:     global_buffer
      - .actual_access:  write_only
        .address_space:  global
        .offset:         24
        .size:           8
        .value_kind:     global_buffer
      - .offset:         32
        .size:           8
        .value_kind:     by_value
    .group_segment_fixed_size: 2048
    .kernarg_segment_align: 8
    .kernarg_segment_size: 40
    .language:       OpenCL C
    .language_version:
      - 2
      - 0
    .max_flat_workgroup_size: 256
    .name:           _ZN9rocsparseL42gtsv_transpose_and_pad_array_shared_kernelILj256ELj64EdEEviiiPKT1_PS1_S1_
    .private_segment_fixed_size: 0
    .sgpr_count:     18
    .sgpr_spill_count: 0
    .symbol:         _ZN9rocsparseL42gtsv_transpose_and_pad_array_shared_kernelILj256ELj64EdEEviiiPKT1_PS1_S1_.kd
    .uniform_work_group_size: 1
    .uses_dynamic_stack: false
    .vgpr_count:     6
    .vgpr_spill_count: 0
    .wavefront_size: 64
  - .agpr_count:     0
    .args:
      - .offset:         0
        .size:           4
        .value_kind:     by_value
      - .offset:         4
        .size:           4
        .value_kind:     by_value
      - .offset:         8
        .size:           4
        .value_kind:     by_value
      - .actual_access:  read_only
        .address_space:  global
        .offset:         16
        .size:           8
        .value_kind:     global_buffer
      - .actual_access:  read_only
        .address_space:  global
        .offset:         24
        .size:           8
        .value_kind:     global_buffer
      - .actual_access:  read_only
        .address_space:  global
        .offset:         32
        .size:           8
        .value_kind:     global_buffer
      - .address_space:  global
        .offset:         40
        .size:           8
        .value_kind:     global_buffer
      - .address_space:  global
        .offset:         48
        .size:           8
        .value_kind:     global_buffer
      - .address_space:  global
        .offset:         56
        .size:           8
        .value_kind:     global_buffer
      - .address_space:  global
        .offset:         64
        .size:           8
        .value_kind:     global_buffer
    .group_segment_fixed_size: 0
    .kernarg_segment_align: 8
    .kernarg_segment_size: 72
    .language:       OpenCL C
    .language_version:
      - 2
      - 0
    .max_flat_workgroup_size: 256
    .name:           _ZN9rocsparseL18gtsv_LBM_wv_kernelILj256ELj64EdEEviiiPKT1_S3_S3_PS1_S4_S4_Pi
    .private_segment_fixed_size: 0
    .sgpr_count:     37
    .sgpr_spill_count: 0
    .symbol:         _ZN9rocsparseL18gtsv_LBM_wv_kernelILj256ELj64EdEEviiiPKT1_S3_S3_PS1_S4_S4_Pi.kd
    .uniform_work_group_size: 1
    .uses_dynamic_stack: false
    .vgpr_count:     56
    .vgpr_spill_count: 0
    .wavefront_size: 64
  - .agpr_count:     0
    .args:
      - .offset:         0
        .size:           4
        .value_kind:     by_value
      - .offset:         4
        .size:           4
        .value_kind:     by_value
      - .offset:         8
        .size:           4
        .value_kind:     by_value
      - .actual_access:  read_only
        .address_space:  global
        .offset:         16
        .size:           8
        .value_kind:     global_buffer
      - .actual_access:  read_only
        .address_space:  global
        .offset:         24
        .size:           8
        .value_kind:     global_buffer
      - .actual_access:  read_only
        .address_space:  global
        .offset:         32
        .size:           8
        .value_kind:     global_buffer
      - .address_space:  global
        .offset:         40
        .size:           8
        .value_kind:     global_buffer
      - .actual_access:  read_only
        .address_space:  global
        .offset:         48
        .size:           8
        .value_kind:     global_buffer
      - .actual_access:  read_only
        .address_space:  global
        .offset:         56
        .size:           8
        .value_kind:     global_buffer
    .group_segment_fixed_size: 0
    .kernarg_segment_align: 8
    .kernarg_segment_size: 64
    .language:       OpenCL C
    .language_version:
      - 2
      - 0
    .max_flat_workgroup_size: 256
    .name:           _ZN9rocsparseL19gtsv_LBM_rhs_kernelILj256ELj64ELj8EdEEviiiPKT2_S3_S3_PS1_S3_PKi
    .private_segment_fixed_size: 0
    .sgpr_count:     43
    .sgpr_spill_count: 0
    .symbol:         _ZN9rocsparseL19gtsv_LBM_rhs_kernelILj256ELj64ELj8EdEEviiiPKT2_S3_S3_PS1_S3_PKi.kd
    .uniform_work_group_size: 1
    .uses_dynamic_stack: false
    .vgpr_count:     90
    .vgpr_spill_count: 0
    .wavefront_size: 64
  - .agpr_count:     0
    .args:
      - .offset:         0
        .size:           4
        .value_kind:     by_value
      - .offset:         4
        .size:           4
        .value_kind:     by_value
      - .offset:         8
        .size:           4
        .value_kind:     by_value
      - .actual_access:  read_only
        .address_space:  global
        .offset:         16
        .size:           8
        .value_kind:     global_buffer
      - .actual_access:  read_only
        .address_space:  global
        .offset:         24
        .size:           8
        .value_kind:     global_buffer
      - .actual_access:  read_only
        .address_space:  global
        .offset:         32
        .size:           8
        .value_kind:     global_buffer
      - .address_space:  global
        .offset:         40
        .size:           8
        .value_kind:     global_buffer
      - .actual_access:  read_only
        .address_space:  global
        .offset:         48
        .size:           8
        .value_kind:     global_buffer
      - .actual_access:  read_only
        .address_space:  global
        .offset:         56
        .size:           8
        .value_kind:     global_buffer
    .group_segment_fixed_size: 0
    .kernarg_segment_align: 8
    .kernarg_segment_size: 64
    .language:       OpenCL C
    .language_version:
      - 2
      - 0
    .max_flat_workgroup_size: 256
    .name:           _ZN9rocsparseL19gtsv_LBM_rhs_kernelILj256ELj64ELj4EdEEviiiPKT2_S3_S3_PS1_S3_PKi
    .private_segment_fixed_size: 0
    .sgpr_count:     38
    .sgpr_spill_count: 0
    .symbol:         _ZN9rocsparseL19gtsv_LBM_rhs_kernelILj256ELj64ELj4EdEEviiiPKT2_S3_S3_PS1_S3_PKi.kd
    .uniform_work_group_size: 1
    .uses_dynamic_stack: false
    .vgpr_count:     54
    .vgpr_spill_count: 0
    .wavefront_size: 64
  - .agpr_count:     0
    .args:
      - .offset:         0
        .size:           4
        .value_kind:     by_value
      - .offset:         4
        .size:           4
        .value_kind:     by_value
      - .offset:         8
        .size:           4
        .value_kind:     by_value
      - .actual_access:  read_only
        .address_space:  global
        .offset:         16
        .size:           8
        .value_kind:     global_buffer
      - .actual_access:  read_only
        .address_space:  global
        .offset:         24
        .size:           8
        .value_kind:     global_buffer
      - .actual_access:  read_only
        .address_space:  global
        .offset:         32
        .size:           8
        .value_kind:     global_buffer
      - .address_space:  global
        .offset:         40
        .size:           8
        .value_kind:     global_buffer
      - .actual_access:  read_only
        .address_space:  global
        .offset:         48
        .size:           8
        .value_kind:     global_buffer
      - .actual_access:  read_only
        .address_space:  global
        .offset:         56
        .size:           8
        .value_kind:     global_buffer
    .group_segment_fixed_size: 0
    .kernarg_segment_align: 8
    .kernarg_segment_size: 64
    .language:       OpenCL C
    .language_version:
      - 2
      - 0
    .max_flat_workgroup_size: 256
    .name:           _ZN9rocsparseL19gtsv_LBM_rhs_kernelILj256ELj64ELj2EdEEviiiPKT2_S3_S3_PS1_S3_PKi
    .private_segment_fixed_size: 0
    .sgpr_count:     36
    .sgpr_spill_count: 0
    .symbol:         _ZN9rocsparseL19gtsv_LBM_rhs_kernelILj256ELj64ELj2EdEEviiiPKT2_S3_S3_PS1_S3_PKi.kd
    .uniform_work_group_size: 1
    .uses_dynamic_stack: false
    .vgpr_count:     44
    .vgpr_spill_count: 0
    .wavefront_size: 64
  - .agpr_count:     0
    .args:
      - .offset:         0
        .size:           4
        .value_kind:     by_value
      - .offset:         4
        .size:           4
        .value_kind:     by_value
      - .offset:         8
        .size:           4
        .value_kind:     by_value
      - .actual_access:  read_only
        .address_space:  global
        .offset:         16
        .size:           8
        .value_kind:     global_buffer
      - .actual_access:  read_only
        .address_space:  global
        .offset:         24
        .size:           8
        .value_kind:     global_buffer
      - .actual_access:  read_only
        .address_space:  global
        .offset:         32
        .size:           8
        .value_kind:     global_buffer
      - .address_space:  global
        .offset:         40
        .size:           8
        .value_kind:     global_buffer
      - .actual_access:  read_only
        .address_space:  global
        .offset:         48
        .size:           8
        .value_kind:     global_buffer
      - .actual_access:  read_only
        .address_space:  global
        .offset:         56
        .size:           8
        .value_kind:     global_buffer
    .group_segment_fixed_size: 0
    .kernarg_segment_align: 8
    .kernarg_segment_size: 64
    .language:       OpenCL C
    .language_version:
      - 2
      - 0
    .max_flat_workgroup_size: 256
    .name:           _ZN9rocsparseL19gtsv_LBM_rhs_kernelILj256ELj64ELj1EdEEviiiPKT2_S3_S3_PS1_S3_PKi
    .private_segment_fixed_size: 0
    .sgpr_count:     34
    .sgpr_spill_count: 0
    .symbol:         _ZN9rocsparseL19gtsv_LBM_rhs_kernelILj256ELj64ELj1EdEEviiiPKT2_S3_S3_PS1_S3_PKi.kd
    .uniform_work_group_size: 1
    .uses_dynamic_stack: false
    .vgpr_count:     38
    .vgpr_spill_count: 0
    .wavefront_size: 64
  - .agpr_count:     0
    .args:
      - .offset:         0
        .size:           4
        .value_kind:     by_value
      - .offset:         4
        .size:           4
        .value_kind:     by_value
      - .offset:         8
        .size:           4
        .value_kind:     by_value
      - .address_space:  global
        .offset:         16
        .size:           8
        .value_kind:     global_buffer
      - .actual_access:  read_only
        .address_space:  global
        .offset:         24
        .size:           8
        .value_kind:     global_buffer
      - .actual_access:  read_only
        .address_space:  global
        .offset:         32
        .size:           8
        .value_kind:     global_buffer
      - .actual_access:  write_only
        .address_space:  global
        .offset:         40
        .size:           8
        .value_kind:     global_buffer
      - .actual_access:  write_only
        .address_space:  global
        .offset:         48
        .size:           8
        .value_kind:     global_buffer
      - .actual_access:  write_only
        .address_space:  global
        .offset:         56
        .size:           8
        .value_kind:     global_buffer
      - .actual_access:  write_only
        .address_space:  global
        .offset:         64
        .size:           8
        .value_kind:     global_buffer
      - .actual_access:  write_only
        .address_space:  global
        .offset:         72
        .size:           8
        .value_kind:     global_buffer
      - .offset:         80
        .size:           4
        .value_kind:     hidden_block_count_x
      - .offset:         84
        .size:           4
        .value_kind:     hidden_block_count_y
      - .offset:         88
        .size:           4
        .value_kind:     hidden_block_count_z
      - .offset:         92
        .size:           2
        .value_kind:     hidden_group_size_x
      - .offset:         94
        .size:           2
        .value_kind:     hidden_group_size_y
      - .offset:         96
        .size:           2
        .value_kind:     hidden_group_size_z
      - .offset:         98
        .size:           2
        .value_kind:     hidden_remainder_x
      - .offset:         100
        .size:           2
        .value_kind:     hidden_remainder_y
      - .offset:         102
        .size:           2
        .value_kind:     hidden_remainder_z
      - .offset:         120
        .size:           8
        .value_kind:     hidden_global_offset_x
      - .offset:         128
        .size:           8
        .value_kind:     hidden_global_offset_y
      - .offset:         136
        .size:           8
        .value_kind:     hidden_global_offset_z
      - .offset:         144
        .size:           2
        .value_kind:     hidden_grid_dims
    .group_segment_fixed_size: 12288
    .kernarg_segment_align: 8
    .kernarg_segment_size: 336
    .language:       OpenCL C
    .language_version:
      - 2
      - 0
    .max_flat_workgroup_size: 256
    .name:           _ZN9rocsparseL29gtsv_spike_block_level_kernelILj256ELj64EdEEviiiPT1_PKS1_S4_S2_S2_S2_S2_S2_
    .private_segment_fixed_size: 0
    .sgpr_count:     30
    .sgpr_spill_count: 0
    .symbol:         _ZN9rocsparseL29gtsv_spike_block_level_kernelILj256ELj64EdEEviiiPT1_PKS1_S4_S2_S2_S2_S2_S2_.kd
    .uniform_work_group_size: 1
    .uses_dynamic_stack: false
    .vgpr_count:     43
    .vgpr_spill_count: 0
    .wavefront_size: 64
  - .agpr_count:     0
    .args:
      - .offset:         0
        .size:           4
        .value_kind:     by_value
      - .offset:         4
        .size:           4
        .value_kind:     by_value
      - .offset:         8
        .size:           4
        .value_kind:     by_value
      - .address_space:  global
        .offset:         16
        .size:           8
        .value_kind:     global_buffer
      - .actual_access:  read_only
        .address_space:  global
        .offset:         24
        .size:           8
        .value_kind:     global_buffer
      - .actual_access:  read_only
        .address_space:  global
        .offset:         32
        .size:           8
        .value_kind:     global_buffer
      - .actual_access:  read_only
        .address_space:  global
        .offset:         40
        .size:           8
        .value_kind:     global_buffer
      - .offset:         48
        .size:           4
        .value_kind:     hidden_block_count_x
      - .offset:         52
        .size:           4
        .value_kind:     hidden_block_count_y
      - .offset:         56
        .size:           4
        .value_kind:     hidden_block_count_z
      - .offset:         60
        .size:           2
        .value_kind:     hidden_group_size_x
      - .offset:         62
        .size:           2
        .value_kind:     hidden_group_size_y
      - .offset:         64
        .size:           2
        .value_kind:     hidden_group_size_z
      - .offset:         66
        .size:           2
        .value_kind:     hidden_remainder_x
      - .offset:         68
        .size:           2
        .value_kind:     hidden_remainder_y
      - .offset:         70
        .size:           2
        .value_kind:     hidden_remainder_z
      - .offset:         88
        .size:           8
        .value_kind:     hidden_global_offset_x
      - .offset:         96
        .size:           8
        .value_kind:     hidden_global_offset_y
      - .offset:         104
        .size:           8
        .value_kind:     hidden_global_offset_z
      - .offset:         112
        .size:           2
        .value_kind:     hidden_grid_dims
    .group_segment_fixed_size: 12304
    .kernarg_segment_align: 8
    .kernarg_segment_size: 304
    .language:       OpenCL C
    .language_version:
      - 2
      - 0
    .max_flat_workgroup_size: 256
    .name:           _ZN9rocsparseL33gtsv_solve_spike_propagate_kernelILj256ELj64EdEEviiiPT1_PKS1_S4_S4_
    .private_segment_fixed_size: 0
    .sgpr_count:     24
    .sgpr_spill_count: 0
    .symbol:         _ZN9rocsparseL33gtsv_solve_spike_propagate_kernelILj256ELj64EdEEviiiPT1_PKS1_S4_S4_.kd
    .uniform_work_group_size: 1
    .uses_dynamic_stack: false
    .vgpr_count:     20
    .vgpr_spill_count: 0
    .wavefront_size: 64
  - .agpr_count:     0
    .args:
      - .offset:         0
        .size:           4
        .value_kind:     by_value
      - .offset:         4
        .size:           4
        .value_kind:     by_value
      - .offset:         8
        .size:           4
        .value_kind:     by_value
      - .address_space:  global
        .offset:         16
        .size:           8
        .value_kind:     global_buffer
      - .actual_access:  read_only
        .address_space:  global
        .offset:         24
        .size:           8
        .value_kind:     global_buffer
      - .actual_access:  read_only
        .address_space:  global
        .offset:         32
        .size:           8
        .value_kind:     global_buffer
    .group_segment_fixed_size: 0
    .kernarg_segment_align: 8
    .kernarg_segment_size: 40
    .language:       OpenCL C
    .language_version:
      - 2
      - 0
    .max_flat_workgroup_size: 256
    .name:           _ZN9rocsparseL39gtsv_spike_backward_substitution_kernelILj256ELj64EdEEviiiPT1_PKS1_S4_
    .private_segment_fixed_size: 0
    .sgpr_count:     18
    .sgpr_spill_count: 0
    .symbol:         _ZN9rocsparseL39gtsv_spike_backward_substitution_kernelILj256ELj64EdEEviiiPT1_PKS1_S4_.kd
    .uniform_work_group_size: 1
    .uses_dynamic_stack: false
    .vgpr_count:     24
    .vgpr_spill_count: 0
    .wavefront_size: 64
  - .agpr_count:     0
    .args:
      - .offset:         0
        .size:           4
        .value_kind:     by_value
      - .offset:         4
        .size:           4
        .value_kind:     by_value
      - .offset:         8
        .size:           4
        .value_kind:     by_value
      - .actual_access:  read_only
        .address_space:  global
        .offset:         16
        .size:           8
        .value_kind:     global_buffer
      - .actual_access:  write_only
        .address_space:  global
        .offset:         24
        .size:           8
        .value_kind:     global_buffer
    .group_segment_fixed_size: 0
    .kernarg_segment_align: 8
    .kernarg_segment_size: 32
    .language:       OpenCL C
    .language_version:
      - 2
      - 0
    .max_flat_workgroup_size: 256
    .name:           _ZN9rocsparseL32gtsv_transpose_back_array_kernelILj256ELj64EdEEviiiPKT1_PS1_
    .private_segment_fixed_size: 0
    .sgpr_count:     18
    .sgpr_spill_count: 0
    .symbol:         _ZN9rocsparseL32gtsv_transpose_back_array_kernelILj256ELj64EdEEviiiPKT1_PS1_.kd
    .uniform_work_group_size: 1
    .uses_dynamic_stack: false
    .vgpr_count:     5
    .vgpr_spill_count: 0
    .wavefront_size: 64
  - .agpr_count:     0
    .args:
      - .offset:         0
        .size:           4
        .value_kind:     by_value
      - .offset:         4
        .size:           4
        .value_kind:     by_value
      - .offset:         8
        .size:           4
        .value_kind:     by_value
      - .actual_access:  read_only
        .address_space:  global
        .offset:         16
        .size:           8
        .value_kind:     global_buffer
      - .actual_access:  write_only
        .address_space:  global
        .offset:         24
        .size:           8
        .value_kind:     global_buffer
      - .offset:         32
        .size:           8
        .value_kind:     by_value
    .group_segment_fixed_size: 2048
    .kernarg_segment_align: 8
    .kernarg_segment_size: 40
    .language:       OpenCL C
    .language_version:
      - 2
      - 0
    .max_flat_workgroup_size: 256
    .name:           _ZN9rocsparseL42gtsv_transpose_and_pad_array_shared_kernelILj256ELj128EdEEviiiPKT1_PS1_S1_
    .private_segment_fixed_size: 0
    .sgpr_count:     18
    .sgpr_spill_count: 0
    .symbol:         _ZN9rocsparseL42gtsv_transpose_and_pad_array_shared_kernelILj256ELj128EdEEviiiPKT1_PS1_S1_.kd
    .uniform_work_group_size: 1
    .uses_dynamic_stack: false
    .vgpr_count:     6
    .vgpr_spill_count: 0
    .wavefront_size: 64
  - .agpr_count:     0
    .args:
      - .offset:         0
        .size:           4
        .value_kind:     by_value
      - .offset:         4
        .size:           4
        .value_kind:     by_value
      - .offset:         8
        .size:           4
        .value_kind:     by_value
      - .actual_access:  read_only
        .address_space:  global
        .offset:         16
        .size:           8
        .value_kind:     global_buffer
      - .actual_access:  read_only
        .address_space:  global
        .offset:         24
        .size:           8
        .value_kind:     global_buffer
      - .actual_access:  read_only
        .address_space:  global
        .offset:         32
        .size:           8
        .value_kind:     global_buffer
      - .address_space:  global
        .offset:         40
        .size:           8
        .value_kind:     global_buffer
      - .address_space:  global
        .offset:         48
        .size:           8
        .value_kind:     global_buffer
      - .address_space:  global
        .offset:         56
        .size:           8
        .value_kind:     global_buffer
      - .address_space:  global
        .offset:         64
        .size:           8
        .value_kind:     global_buffer
    .group_segment_fixed_size: 0
    .kernarg_segment_align: 8
    .kernarg_segment_size: 72
    .language:       OpenCL C
    .language_version:
      - 2
      - 0
    .max_flat_workgroup_size: 256
    .name:           _ZN9rocsparseL18gtsv_LBM_wv_kernelILj256ELj128EdEEviiiPKT1_S3_S3_PS1_S4_S4_Pi
    .private_segment_fixed_size: 0
    .sgpr_count:     37
    .sgpr_spill_count: 0
    .symbol:         _ZN9rocsparseL18gtsv_LBM_wv_kernelILj256ELj128EdEEviiiPKT1_S3_S3_PS1_S4_S4_Pi.kd
    .uniform_work_group_size: 1
    .uses_dynamic_stack: false
    .vgpr_count:     56
    .vgpr_spill_count: 0
    .wavefront_size: 64
  - .agpr_count:     0
    .args:
      - .offset:         0
        .size:           4
        .value_kind:     by_value
      - .offset:         4
        .size:           4
        .value_kind:     by_value
      - .offset:         8
        .size:           4
        .value_kind:     by_value
      - .actual_access:  read_only
        .address_space:  global
        .offset:         16
        .size:           8
        .value_kind:     global_buffer
      - .actual_access:  read_only
        .address_space:  global
        .offset:         24
        .size:           8
        .value_kind:     global_buffer
      - .actual_access:  read_only
        .address_space:  global
        .offset:         32
        .size:           8
        .value_kind:     global_buffer
      - .address_space:  global
        .offset:         40
        .size:           8
        .value_kind:     global_buffer
      - .actual_access:  read_only
        .address_space:  global
        .offset:         48
        .size:           8
        .value_kind:     global_buffer
      - .actual_access:  read_only
        .address_space:  global
        .offset:         56
        .size:           8
        .value_kind:     global_buffer
    .group_segment_fixed_size: 0
    .kernarg_segment_align: 8
    .kernarg_segment_size: 64
    .language:       OpenCL C
    .language_version:
      - 2
      - 0
    .max_flat_workgroup_size: 256
    .name:           _ZN9rocsparseL19gtsv_LBM_rhs_kernelILj256ELj128ELj8EdEEviiiPKT2_S3_S3_PS1_S3_PKi
    .private_segment_fixed_size: 0
    .sgpr_count:     43
    .sgpr_spill_count: 0
    .symbol:         _ZN9rocsparseL19gtsv_LBM_rhs_kernelILj256ELj128ELj8EdEEviiiPKT2_S3_S3_PS1_S3_PKi.kd
    .uniform_work_group_size: 1
    .uses_dynamic_stack: false
    .vgpr_count:     90
    .vgpr_spill_count: 0
    .wavefront_size: 64
  - .agpr_count:     0
    .args:
      - .offset:         0
        .size:           4
        .value_kind:     by_value
      - .offset:         4
        .size:           4
        .value_kind:     by_value
      - .offset:         8
        .size:           4
        .value_kind:     by_value
      - .actual_access:  read_only
        .address_space:  global
        .offset:         16
        .size:           8
        .value_kind:     global_buffer
      - .actual_access:  read_only
        .address_space:  global
        .offset:         24
        .size:           8
        .value_kind:     global_buffer
      - .actual_access:  read_only
        .address_space:  global
        .offset:         32
        .size:           8
        .value_kind:     global_buffer
      - .address_space:  global
        .offset:         40
        .size:           8
        .value_kind:     global_buffer
      - .actual_access:  read_only
        .address_space:  global
        .offset:         48
        .size:           8
        .value_kind:     global_buffer
      - .actual_access:  read_only
        .address_space:  global
        .offset:         56
        .size:           8
        .value_kind:     global_buffer
    .group_segment_fixed_size: 0
    .kernarg_segment_align: 8
    .kernarg_segment_size: 64
    .language:       OpenCL C
    .language_version:
      - 2
      - 0
    .max_flat_workgroup_size: 256
    .name:           _ZN9rocsparseL19gtsv_LBM_rhs_kernelILj256ELj128ELj4EdEEviiiPKT2_S3_S3_PS1_S3_PKi
    .private_segment_fixed_size: 0
    .sgpr_count:     38
    .sgpr_spill_count: 0
    .symbol:         _ZN9rocsparseL19gtsv_LBM_rhs_kernelILj256ELj128ELj4EdEEviiiPKT2_S3_S3_PS1_S3_PKi.kd
    .uniform_work_group_size: 1
    .uses_dynamic_stack: false
    .vgpr_count:     54
    .vgpr_spill_count: 0
    .wavefront_size: 64
  - .agpr_count:     0
    .args:
      - .offset:         0
        .size:           4
        .value_kind:     by_value
      - .offset:         4
        .size:           4
        .value_kind:     by_value
      - .offset:         8
        .size:           4
        .value_kind:     by_value
      - .actual_access:  read_only
        .address_space:  global
        .offset:         16
        .size:           8
        .value_kind:     global_buffer
      - .actual_access:  read_only
        .address_space:  global
        .offset:         24
        .size:           8
        .value_kind:     global_buffer
      - .actual_access:  read_only
        .address_space:  global
        .offset:         32
        .size:           8
        .value_kind:     global_buffer
      - .address_space:  global
        .offset:         40
        .size:           8
        .value_kind:     global_buffer
      - .actual_access:  read_only
        .address_space:  global
        .offset:         48
        .size:           8
        .value_kind:     global_buffer
      - .actual_access:  read_only
        .address_space:  global
        .offset:         56
        .size:           8
        .value_kind:     global_buffer
    .group_segment_fixed_size: 0
    .kernarg_segment_align: 8
    .kernarg_segment_size: 64
    .language:       OpenCL C
    .language_version:
      - 2
      - 0
    .max_flat_workgroup_size: 256
    .name:           _ZN9rocsparseL19gtsv_LBM_rhs_kernelILj256ELj128ELj2EdEEviiiPKT2_S3_S3_PS1_S3_PKi
    .private_segment_fixed_size: 0
    .sgpr_count:     36
    .sgpr_spill_count: 0
    .symbol:         _ZN9rocsparseL19gtsv_LBM_rhs_kernelILj256ELj128ELj2EdEEviiiPKT2_S3_S3_PS1_S3_PKi.kd
    .uniform_work_group_size: 1
    .uses_dynamic_stack: false
    .vgpr_count:     44
    .vgpr_spill_count: 0
    .wavefront_size: 64
  - .agpr_count:     0
    .args:
      - .offset:         0
        .size:           4
        .value_kind:     by_value
      - .offset:         4
        .size:           4
        .value_kind:     by_value
      - .offset:         8
        .size:           4
        .value_kind:     by_value
      - .actual_access:  read_only
        .address_space:  global
        .offset:         16
        .size:           8
        .value_kind:     global_buffer
      - .actual_access:  read_only
        .address_space:  global
        .offset:         24
        .size:           8
        .value_kind:     global_buffer
      - .actual_access:  read_only
        .address_space:  global
        .offset:         32
        .size:           8
        .value_kind:     global_buffer
      - .address_space:  global
        .offset:         40
        .size:           8
        .value_kind:     global_buffer
      - .actual_access:  read_only
        .address_space:  global
        .offset:         48
        .size:           8
        .value_kind:     global_buffer
      - .actual_access:  read_only
        .address_space:  global
        .offset:         56
        .size:           8
        .value_kind:     global_buffer
    .group_segment_fixed_size: 0
    .kernarg_segment_align: 8
    .kernarg_segment_size: 64
    .language:       OpenCL C
    .language_version:
      - 2
      - 0
    .max_flat_workgroup_size: 256
    .name:           _ZN9rocsparseL19gtsv_LBM_rhs_kernelILj256ELj128ELj1EdEEviiiPKT2_S3_S3_PS1_S3_PKi
    .private_segment_fixed_size: 0
    .sgpr_count:     34
    .sgpr_spill_count: 0
    .symbol:         _ZN9rocsparseL19gtsv_LBM_rhs_kernelILj256ELj128ELj1EdEEviiiPKT2_S3_S3_PS1_S3_PKi.kd
    .uniform_work_group_size: 1
    .uses_dynamic_stack: false
    .vgpr_count:     38
    .vgpr_spill_count: 0
    .wavefront_size: 64
  - .agpr_count:     0
    .args:
      - .offset:         0
        .size:           4
        .value_kind:     by_value
      - .offset:         4
        .size:           4
        .value_kind:     by_value
      - .offset:         8
        .size:           4
        .value_kind:     by_value
      - .address_space:  global
        .offset:         16
        .size:           8
        .value_kind:     global_buffer
      - .actual_access:  read_only
        .address_space:  global
        .offset:         24
        .size:           8
        .value_kind:     global_buffer
      - .actual_access:  read_only
        .address_space:  global
        .offset:         32
        .size:           8
        .value_kind:     global_buffer
      - .actual_access:  write_only
        .address_space:  global
        .offset:         40
        .size:           8
        .value_kind:     global_buffer
      - .actual_access:  write_only
        .address_space:  global
        .offset:         48
        .size:           8
        .value_kind:     global_buffer
      - .actual_access:  write_only
        .address_space:  global
        .offset:         56
        .size:           8
        .value_kind:     global_buffer
      - .actual_access:  write_only
        .address_space:  global
        .offset:         64
        .size:           8
        .value_kind:     global_buffer
      - .actual_access:  write_only
        .address_space:  global
        .offset:         72
        .size:           8
        .value_kind:     global_buffer
      - .offset:         80
        .size:           4
        .value_kind:     hidden_block_count_x
      - .offset:         84
        .size:           4
        .value_kind:     hidden_block_count_y
      - .offset:         88
        .size:           4
        .value_kind:     hidden_block_count_z
      - .offset:         92
        .size:           2
        .value_kind:     hidden_group_size_x
      - .offset:         94
        .size:           2
        .value_kind:     hidden_group_size_y
      - .offset:         96
        .size:           2
        .value_kind:     hidden_group_size_z
      - .offset:         98
        .size:           2
        .value_kind:     hidden_remainder_x
      - .offset:         100
        .size:           2
        .value_kind:     hidden_remainder_y
      - .offset:         102
        .size:           2
        .value_kind:     hidden_remainder_z
      - .offset:         120
        .size:           8
        .value_kind:     hidden_global_offset_x
      - .offset:         128
        .size:           8
        .value_kind:     hidden_global_offset_y
      - .offset:         136
        .size:           8
        .value_kind:     hidden_global_offset_z
      - .offset:         144
        .size:           2
        .value_kind:     hidden_grid_dims
    .group_segment_fixed_size: 12288
    .kernarg_segment_align: 8
    .kernarg_segment_size: 336
    .language:       OpenCL C
    .language_version:
      - 2
      - 0
    .max_flat_workgroup_size: 256
    .name:           _ZN9rocsparseL29gtsv_spike_block_level_kernelILj256ELj128EdEEviiiPT1_PKS1_S4_S2_S2_S2_S2_S2_
    .private_segment_fixed_size: 0
    .sgpr_count:     30
    .sgpr_spill_count: 0
    .symbol:         _ZN9rocsparseL29gtsv_spike_block_level_kernelILj256ELj128EdEEviiiPT1_PKS1_S4_S2_S2_S2_S2_S2_.kd
    .uniform_work_group_size: 1
    .uses_dynamic_stack: false
    .vgpr_count:     43
    .vgpr_spill_count: 0
    .wavefront_size: 64
  - .agpr_count:     0
    .args:
      - .offset:         0
        .size:           4
        .value_kind:     by_value
      - .offset:         4
        .size:           4
        .value_kind:     by_value
      - .offset:         8
        .size:           4
        .value_kind:     by_value
      - .address_space:  global
        .offset:         16
        .size:           8
        .value_kind:     global_buffer
      - .actual_access:  read_only
        .address_space:  global
        .offset:         24
        .size:           8
        .value_kind:     global_buffer
      - .actual_access:  read_only
        .address_space:  global
        .offset:         32
        .size:           8
        .value_kind:     global_buffer
      - .actual_access:  read_only
        .address_space:  global
        .offset:         40
        .size:           8
        .value_kind:     global_buffer
      - .offset:         48
        .size:           4
        .value_kind:     hidden_block_count_x
      - .offset:         52
        .size:           4
        .value_kind:     hidden_block_count_y
      - .offset:         56
        .size:           4
        .value_kind:     hidden_block_count_z
      - .offset:         60
        .size:           2
        .value_kind:     hidden_group_size_x
      - .offset:         62
        .size:           2
        .value_kind:     hidden_group_size_y
      - .offset:         64
        .size:           2
        .value_kind:     hidden_group_size_z
      - .offset:         66
        .size:           2
        .value_kind:     hidden_remainder_x
      - .offset:         68
        .size:           2
        .value_kind:     hidden_remainder_y
      - .offset:         70
        .size:           2
        .value_kind:     hidden_remainder_z
      - .offset:         88
        .size:           8
        .value_kind:     hidden_global_offset_x
      - .offset:         96
        .size:           8
        .value_kind:     hidden_global_offset_y
      - .offset:         104
        .size:           8
        .value_kind:     hidden_global_offset_z
      - .offset:         112
        .size:           2
        .value_kind:     hidden_grid_dims
    .group_segment_fixed_size: 12304
    .kernarg_segment_align: 8
    .kernarg_segment_size: 304
    .language:       OpenCL C
    .language_version:
      - 2
      - 0
    .max_flat_workgroup_size: 256
    .name:           _ZN9rocsparseL33gtsv_solve_spike_propagate_kernelILj256ELj128EdEEviiiPT1_PKS1_S4_S4_
    .private_segment_fixed_size: 0
    .sgpr_count:     24
    .sgpr_spill_count: 0
    .symbol:         _ZN9rocsparseL33gtsv_solve_spike_propagate_kernelILj256ELj128EdEEviiiPT1_PKS1_S4_S4_.kd
    .uniform_work_group_size: 1
    .uses_dynamic_stack: false
    .vgpr_count:     20
    .vgpr_spill_count: 0
    .wavefront_size: 64
  - .agpr_count:     0
    .args:
      - .offset:         0
        .size:           4
        .value_kind:     by_value
      - .offset:         4
        .size:           4
        .value_kind:     by_value
      - .offset:         8
        .size:           4
        .value_kind:     by_value
      - .address_space:  global
        .offset:         16
        .size:           8
        .value_kind:     global_buffer
      - .actual_access:  read_only
        .address_space:  global
        .offset:         24
        .size:           8
        .value_kind:     global_buffer
      - .actual_access:  read_only
        .address_space:  global
        .offset:         32
        .size:           8
        .value_kind:     global_buffer
    .group_segment_fixed_size: 0
    .kernarg_segment_align: 8
    .kernarg_segment_size: 40
    .language:       OpenCL C
    .language_version:
      - 2
      - 0
    .max_flat_workgroup_size: 256
    .name:           _ZN9rocsparseL39gtsv_spike_backward_substitution_kernelILj256ELj128EdEEviiiPT1_PKS1_S4_
    .private_segment_fixed_size: 0
    .sgpr_count:     18
    .sgpr_spill_count: 0
    .symbol:         _ZN9rocsparseL39gtsv_spike_backward_substitution_kernelILj256ELj128EdEEviiiPT1_PKS1_S4_.kd
    .uniform_work_group_size: 1
    .uses_dynamic_stack: false
    .vgpr_count:     32
    .vgpr_spill_count: 0
    .wavefront_size: 64
  - .agpr_count:     0
    .args:
      - .offset:         0
        .size:           4
        .value_kind:     by_value
      - .offset:         4
        .size:           4
        .value_kind:     by_value
      - .offset:         8
        .size:           4
        .value_kind:     by_value
      - .actual_access:  read_only
        .address_space:  global
        .offset:         16
        .size:           8
        .value_kind:     global_buffer
      - .actual_access:  write_only
        .address_space:  global
        .offset:         24
        .size:           8
        .value_kind:     global_buffer
    .group_segment_fixed_size: 0
    .kernarg_segment_align: 8
    .kernarg_segment_size: 32
    .language:       OpenCL C
    .language_version:
      - 2
      - 0
    .max_flat_workgroup_size: 256
    .name:           _ZN9rocsparseL32gtsv_transpose_back_array_kernelILj256ELj128EdEEviiiPKT1_PS1_
    .private_segment_fixed_size: 0
    .sgpr_count:     18
    .sgpr_spill_count: 0
    .symbol:         _ZN9rocsparseL32gtsv_transpose_back_array_kernelILj256ELj128EdEEviiiPKT1_PS1_.kd
    .uniform_work_group_size: 1
    .uses_dynamic_stack: false
    .vgpr_count:     5
    .vgpr_spill_count: 0
    .wavefront_size: 64
  - .agpr_count:     0
    .args:
      - .offset:         0
        .size:           4
        .value_kind:     by_value
      - .offset:         4
        .size:           4
        .value_kind:     by_value
      - .offset:         8
        .size:           4
        .value_kind:     by_value
      - .actual_access:  read_only
        .address_space:  global
        .offset:         16
        .size:           8
        .value_kind:     global_buffer
      - .actual_access:  write_only
        .address_space:  global
        .offset:         24
        .size:           8
        .value_kind:     global_buffer
      - .offset:         32
        .size:           8
        .value_kind:     by_value
    .group_segment_fixed_size: 2048
    .kernarg_segment_align: 8
    .kernarg_segment_size: 40
    .language:       OpenCL C
    .language_version:
      - 2
      - 0
    .max_flat_workgroup_size: 256
    .name:           _ZN9rocsparseL42gtsv_transpose_and_pad_array_shared_kernelILj256ELj256EdEEviiiPKT1_PS1_S1_
    .private_segment_fixed_size: 0
    .sgpr_count:     18
    .sgpr_spill_count: 0
    .symbol:         _ZN9rocsparseL42gtsv_transpose_and_pad_array_shared_kernelILj256ELj256EdEEviiiPKT1_PS1_S1_.kd
    .uniform_work_group_size: 1
    .uses_dynamic_stack: false
    .vgpr_count:     4
    .vgpr_spill_count: 0
    .wavefront_size: 64
  - .agpr_count:     0
    .args:
      - .offset:         0
        .size:           4
        .value_kind:     by_value
      - .offset:         4
        .size:           4
        .value_kind:     by_value
      - .offset:         8
        .size:           4
        .value_kind:     by_value
      - .actual_access:  read_only
        .address_space:  global
        .offset:         16
        .size:           8
        .value_kind:     global_buffer
      - .actual_access:  read_only
        .address_space:  global
        .offset:         24
        .size:           8
        .value_kind:     global_buffer
      - .actual_access:  read_only
        .address_space:  global
        .offset:         32
        .size:           8
        .value_kind:     global_buffer
      - .address_space:  global
        .offset:         40
        .size:           8
        .value_kind:     global_buffer
      - .address_space:  global
        .offset:         48
        .size:           8
        .value_kind:     global_buffer
      - .address_space:  global
        .offset:         56
        .size:           8
        .value_kind:     global_buffer
      - .address_space:  global
        .offset:         64
        .size:           8
        .value_kind:     global_buffer
    .group_segment_fixed_size: 0
    .kernarg_segment_align: 8
    .kernarg_segment_size: 72
    .language:       OpenCL C
    .language_version:
      - 2
      - 0
    .max_flat_workgroup_size: 256
    .name:           _ZN9rocsparseL18gtsv_LBM_wv_kernelILj256ELj256EdEEviiiPKT1_S3_S3_PS1_S4_S4_Pi
    .private_segment_fixed_size: 0
    .sgpr_count:     37
    .sgpr_spill_count: 0
    .symbol:         _ZN9rocsparseL18gtsv_LBM_wv_kernelILj256ELj256EdEEviiiPKT1_S3_S3_PS1_S4_S4_Pi.kd
    .uniform_work_group_size: 1
    .uses_dynamic_stack: false
    .vgpr_count:     56
    .vgpr_spill_count: 0
    .wavefront_size: 64
  - .agpr_count:     0
    .args:
      - .offset:         0
        .size:           4
        .value_kind:     by_value
      - .offset:         4
        .size:           4
        .value_kind:     by_value
      - .offset:         8
        .size:           4
        .value_kind:     by_value
      - .actual_access:  read_only
        .address_space:  global
        .offset:         16
        .size:           8
        .value_kind:     global_buffer
      - .actual_access:  read_only
        .address_space:  global
        .offset:         24
        .size:           8
        .value_kind:     global_buffer
      - .actual_access:  read_only
        .address_space:  global
        .offset:         32
        .size:           8
        .value_kind:     global_buffer
      - .address_space:  global
        .offset:         40
        .size:           8
        .value_kind:     global_buffer
      - .actual_access:  read_only
        .address_space:  global
        .offset:         48
        .size:           8
        .value_kind:     global_buffer
      - .actual_access:  read_only
        .address_space:  global
        .offset:         56
        .size:           8
        .value_kind:     global_buffer
    .group_segment_fixed_size: 0
    .kernarg_segment_align: 8
    .kernarg_segment_size: 64
    .language:       OpenCL C
    .language_version:
      - 2
      - 0
    .max_flat_workgroup_size: 256
    .name:           _ZN9rocsparseL19gtsv_LBM_rhs_kernelILj256ELj256ELj8EdEEviiiPKT2_S3_S3_PS1_S3_PKi
    .private_segment_fixed_size: 0
    .sgpr_count:     43
    .sgpr_spill_count: 0
    .symbol:         _ZN9rocsparseL19gtsv_LBM_rhs_kernelILj256ELj256ELj8EdEEviiiPKT2_S3_S3_PS1_S3_PKi.kd
    .uniform_work_group_size: 1
    .uses_dynamic_stack: false
    .vgpr_count:     90
    .vgpr_spill_count: 0
    .wavefront_size: 64
  - .agpr_count:     0
    .args:
      - .offset:         0
        .size:           4
        .value_kind:     by_value
      - .offset:         4
        .size:           4
        .value_kind:     by_value
      - .offset:         8
        .size:           4
        .value_kind:     by_value
      - .actual_access:  read_only
        .address_space:  global
        .offset:         16
        .size:           8
        .value_kind:     global_buffer
      - .actual_access:  read_only
        .address_space:  global
        .offset:         24
        .size:           8
        .value_kind:     global_buffer
      - .actual_access:  read_only
        .address_space:  global
        .offset:         32
        .size:           8
        .value_kind:     global_buffer
      - .address_space:  global
        .offset:         40
        .size:           8
        .value_kind:     global_buffer
      - .actual_access:  read_only
        .address_space:  global
        .offset:         48
        .size:           8
        .value_kind:     global_buffer
      - .actual_access:  read_only
        .address_space:  global
        .offset:         56
        .size:           8
        .value_kind:     global_buffer
    .group_segment_fixed_size: 0
    .kernarg_segment_align: 8
    .kernarg_segment_size: 64
    .language:       OpenCL C
    .language_version:
      - 2
      - 0
    .max_flat_workgroup_size: 256
    .name:           _ZN9rocsparseL19gtsv_LBM_rhs_kernelILj256ELj256ELj4EdEEviiiPKT2_S3_S3_PS1_S3_PKi
    .private_segment_fixed_size: 0
    .sgpr_count:     38
    .sgpr_spill_count: 0
    .symbol:         _ZN9rocsparseL19gtsv_LBM_rhs_kernelILj256ELj256ELj4EdEEviiiPKT2_S3_S3_PS1_S3_PKi.kd
    .uniform_work_group_size: 1
    .uses_dynamic_stack: false
    .vgpr_count:     54
    .vgpr_spill_count: 0
    .wavefront_size: 64
  - .agpr_count:     0
    .args:
      - .offset:         0
        .size:           4
        .value_kind:     by_value
      - .offset:         4
        .size:           4
        .value_kind:     by_value
      - .offset:         8
        .size:           4
        .value_kind:     by_value
      - .actual_access:  read_only
        .address_space:  global
        .offset:         16
        .size:           8
        .value_kind:     global_buffer
      - .actual_access:  read_only
        .address_space:  global
        .offset:         24
        .size:           8
        .value_kind:     global_buffer
      - .actual_access:  read_only
        .address_space:  global
        .offset:         32
        .size:           8
        .value_kind:     global_buffer
      - .address_space:  global
        .offset:         40
        .size:           8
        .value_kind:     global_buffer
      - .actual_access:  read_only
        .address_space:  global
        .offset:         48
        .size:           8
        .value_kind:     global_buffer
      - .actual_access:  read_only
        .address_space:  global
        .offset:         56
        .size:           8
        .value_kind:     global_buffer
    .group_segment_fixed_size: 0
    .kernarg_segment_align: 8
    .kernarg_segment_size: 64
    .language:       OpenCL C
    .language_version:
      - 2
      - 0
    .max_flat_workgroup_size: 256
    .name:           _ZN9rocsparseL19gtsv_LBM_rhs_kernelILj256ELj256ELj2EdEEviiiPKT2_S3_S3_PS1_S3_PKi
    .private_segment_fixed_size: 0
    .sgpr_count:     36
    .sgpr_spill_count: 0
    .symbol:         _ZN9rocsparseL19gtsv_LBM_rhs_kernelILj256ELj256ELj2EdEEviiiPKT2_S3_S3_PS1_S3_PKi.kd
    .uniform_work_group_size: 1
    .uses_dynamic_stack: false
    .vgpr_count:     44
    .vgpr_spill_count: 0
    .wavefront_size: 64
  - .agpr_count:     0
    .args:
      - .offset:         0
        .size:           4
        .value_kind:     by_value
      - .offset:         4
        .size:           4
        .value_kind:     by_value
      - .offset:         8
        .size:           4
        .value_kind:     by_value
      - .actual_access:  read_only
        .address_space:  global
        .offset:         16
        .size:           8
        .value_kind:     global_buffer
      - .actual_access:  read_only
        .address_space:  global
        .offset:         24
        .size:           8
        .value_kind:     global_buffer
      - .actual_access:  read_only
        .address_space:  global
        .offset:         32
        .size:           8
        .value_kind:     global_buffer
      - .address_space:  global
        .offset:         40
        .size:           8
        .value_kind:     global_buffer
      - .actual_access:  read_only
        .address_space:  global
        .offset:         48
        .size:           8
        .value_kind:     global_buffer
      - .actual_access:  read_only
        .address_space:  global
        .offset:         56
        .size:           8
        .value_kind:     global_buffer
    .group_segment_fixed_size: 0
    .kernarg_segment_align: 8
    .kernarg_segment_size: 64
    .language:       OpenCL C
    .language_version:
      - 2
      - 0
    .max_flat_workgroup_size: 256
    .name:           _ZN9rocsparseL19gtsv_LBM_rhs_kernelILj256ELj256ELj1EdEEviiiPKT2_S3_S3_PS1_S3_PKi
    .private_segment_fixed_size: 0
    .sgpr_count:     34
    .sgpr_spill_count: 0
    .symbol:         _ZN9rocsparseL19gtsv_LBM_rhs_kernelILj256ELj256ELj1EdEEviiiPKT2_S3_S3_PS1_S3_PKi.kd
    .uniform_work_group_size: 1
    .uses_dynamic_stack: false
    .vgpr_count:     38
    .vgpr_spill_count: 0
    .wavefront_size: 64
  - .agpr_count:     0
    .args:
      - .offset:         0
        .size:           4
        .value_kind:     by_value
      - .offset:         4
        .size:           4
        .value_kind:     by_value
      - .offset:         8
        .size:           4
        .value_kind:     by_value
      - .address_space:  global
        .offset:         16
        .size:           8
        .value_kind:     global_buffer
      - .actual_access:  read_only
        .address_space:  global
        .offset:         24
        .size:           8
        .value_kind:     global_buffer
      - .actual_access:  read_only
        .address_space:  global
        .offset:         32
        .size:           8
        .value_kind:     global_buffer
      - .actual_access:  write_only
        .address_space:  global
        .offset:         40
        .size:           8
        .value_kind:     global_buffer
      - .actual_access:  write_only
        .address_space:  global
        .offset:         48
        .size:           8
        .value_kind:     global_buffer
      - .actual_access:  write_only
        .address_space:  global
        .offset:         56
        .size:           8
        .value_kind:     global_buffer
      - .actual_access:  write_only
        .address_space:  global
        .offset:         64
        .size:           8
        .value_kind:     global_buffer
      - .actual_access:  write_only
        .address_space:  global
        .offset:         72
        .size:           8
        .value_kind:     global_buffer
      - .offset:         80
        .size:           4
        .value_kind:     hidden_block_count_x
      - .offset:         84
        .size:           4
        .value_kind:     hidden_block_count_y
      - .offset:         88
        .size:           4
        .value_kind:     hidden_block_count_z
      - .offset:         92
        .size:           2
        .value_kind:     hidden_group_size_x
      - .offset:         94
        .size:           2
        .value_kind:     hidden_group_size_y
      - .offset:         96
        .size:           2
        .value_kind:     hidden_group_size_z
      - .offset:         98
        .size:           2
        .value_kind:     hidden_remainder_x
      - .offset:         100
        .size:           2
        .value_kind:     hidden_remainder_y
      - .offset:         102
        .size:           2
        .value_kind:     hidden_remainder_z
      - .offset:         120
        .size:           8
        .value_kind:     hidden_global_offset_x
      - .offset:         128
        .size:           8
        .value_kind:     hidden_global_offset_y
      - .offset:         136
        .size:           8
        .value_kind:     hidden_global_offset_z
      - .offset:         144
        .size:           2
        .value_kind:     hidden_grid_dims
    .group_segment_fixed_size: 12288
    .kernarg_segment_align: 8
    .kernarg_segment_size: 336
    .language:       OpenCL C
    .language_version:
      - 2
      - 0
    .max_flat_workgroup_size: 256
    .name:           _ZN9rocsparseL29gtsv_spike_block_level_kernelILj256ELj256EdEEviiiPT1_PKS1_S4_S2_S2_S2_S2_S2_
    .private_segment_fixed_size: 0
    .sgpr_count:     30
    .sgpr_spill_count: 0
    .symbol:         _ZN9rocsparseL29gtsv_spike_block_level_kernelILj256ELj256EdEEviiiPT1_PKS1_S4_S2_S2_S2_S2_S2_.kd
    .uniform_work_group_size: 1
    .uses_dynamic_stack: false
    .vgpr_count:     43
    .vgpr_spill_count: 0
    .wavefront_size: 64
  - .agpr_count:     0
    .args:
      - .offset:         0
        .size:           4
        .value_kind:     by_value
      - .offset:         4
        .size:           4
        .value_kind:     by_value
      - .offset:         8
        .size:           4
        .value_kind:     by_value
      - .address_space:  global
        .offset:         16
        .size:           8
        .value_kind:     global_buffer
      - .actual_access:  read_only
        .address_space:  global
        .offset:         24
        .size:           8
        .value_kind:     global_buffer
      - .actual_access:  read_only
        .address_space:  global
        .offset:         32
        .size:           8
        .value_kind:     global_buffer
      - .actual_access:  read_only
        .address_space:  global
        .offset:         40
        .size:           8
        .value_kind:     global_buffer
      - .offset:         48
        .size:           4
        .value_kind:     hidden_block_count_x
      - .offset:         52
        .size:           4
        .value_kind:     hidden_block_count_y
      - .offset:         56
        .size:           4
        .value_kind:     hidden_block_count_z
      - .offset:         60
        .size:           2
        .value_kind:     hidden_group_size_x
      - .offset:         62
        .size:           2
        .value_kind:     hidden_group_size_y
      - .offset:         64
        .size:           2
        .value_kind:     hidden_group_size_z
      - .offset:         66
        .size:           2
        .value_kind:     hidden_remainder_x
      - .offset:         68
        .size:           2
        .value_kind:     hidden_remainder_y
      - .offset:         70
        .size:           2
        .value_kind:     hidden_remainder_z
      - .offset:         88
        .size:           8
        .value_kind:     hidden_global_offset_x
      - .offset:         96
        .size:           8
        .value_kind:     hidden_global_offset_y
      - .offset:         104
        .size:           8
        .value_kind:     hidden_global_offset_z
      - .offset:         112
        .size:           2
        .value_kind:     hidden_grid_dims
    .group_segment_fixed_size: 12304
    .kernarg_segment_align: 8
    .kernarg_segment_size: 304
    .language:       OpenCL C
    .language_version:
      - 2
      - 0
    .max_flat_workgroup_size: 256
    .name:           _ZN9rocsparseL33gtsv_solve_spike_propagate_kernelILj256ELj256EdEEviiiPT1_PKS1_S4_S4_
    .private_segment_fixed_size: 0
    .sgpr_count:     24
    .sgpr_spill_count: 0
    .symbol:         _ZN9rocsparseL33gtsv_solve_spike_propagate_kernelILj256ELj256EdEEviiiPT1_PKS1_S4_S4_.kd
    .uniform_work_group_size: 1
    .uses_dynamic_stack: false
    .vgpr_count:     20
    .vgpr_spill_count: 0
    .wavefront_size: 64
  - .agpr_count:     0
    .args:
      - .offset:         0
        .size:           4
        .value_kind:     by_value
      - .offset:         4
        .size:           4
        .value_kind:     by_value
      - .offset:         8
        .size:           4
        .value_kind:     by_value
      - .address_space:  global
        .offset:         16
        .size:           8
        .value_kind:     global_buffer
      - .actual_access:  read_only
        .address_space:  global
        .offset:         24
        .size:           8
        .value_kind:     global_buffer
      - .actual_access:  read_only
        .address_space:  global
        .offset:         32
        .size:           8
        .value_kind:     global_buffer
    .group_segment_fixed_size: 0
    .kernarg_segment_align: 8
    .kernarg_segment_size: 40
    .language:       OpenCL C
    .language_version:
      - 2
      - 0
    .max_flat_workgroup_size: 256
    .name:           _ZN9rocsparseL39gtsv_spike_backward_substitution_kernelILj256ELj256EdEEviiiPT1_PKS1_S4_
    .private_segment_fixed_size: 0
    .sgpr_count:     18
    .sgpr_spill_count: 0
    .symbol:         _ZN9rocsparseL39gtsv_spike_backward_substitution_kernelILj256ELj256EdEEviiiPT1_PKS1_S4_.kd
    .uniform_work_group_size: 1
    .uses_dynamic_stack: false
    .vgpr_count:     24
    .vgpr_spill_count: 0
    .wavefront_size: 64
  - .agpr_count:     0
    .args:
      - .offset:         0
        .size:           4
        .value_kind:     by_value
      - .offset:         4
        .size:           4
        .value_kind:     by_value
      - .offset:         8
        .size:           4
        .value_kind:     by_value
      - .actual_access:  read_only
        .address_space:  global
        .offset:         16
        .size:           8
        .value_kind:     global_buffer
      - .actual_access:  write_only
        .address_space:  global
        .offset:         24
        .size:           8
        .value_kind:     global_buffer
    .group_segment_fixed_size: 0
    .kernarg_segment_align: 8
    .kernarg_segment_size: 32
    .language:       OpenCL C
    .language_version:
      - 2
      - 0
    .max_flat_workgroup_size: 256
    .name:           _ZN9rocsparseL32gtsv_transpose_back_array_kernelILj256ELj256EdEEviiiPKT1_PS1_
    .private_segment_fixed_size: 0
    .sgpr_count:     18
    .sgpr_spill_count: 0
    .symbol:         _ZN9rocsparseL32gtsv_transpose_back_array_kernelILj256ELj256EdEEviiiPKT1_PS1_.kd
    .uniform_work_group_size: 1
    .uses_dynamic_stack: false
    .vgpr_count:     5
    .vgpr_spill_count: 0
    .wavefront_size: 64
  - .agpr_count:     0
    .args:
      - .offset:         0
        .size:           4
        .value_kind:     by_value
      - .offset:         4
        .size:           4
        .value_kind:     by_value
      - .offset:         8
        .size:           4
        .value_kind:     by_value
      - .actual_access:  read_only
        .address_space:  global
        .offset:         16
        .size:           8
        .value_kind:     global_buffer
      - .actual_access:  write_only
        .address_space:  global
        .offset:         24
        .size:           8
        .value_kind:     global_buffer
      - .offset:         32
        .size:           8
        .value_kind:     by_value
    .group_segment_fixed_size: 2048
    .kernarg_segment_align: 8
    .kernarg_segment_size: 40
    .language:       OpenCL C
    .language_version:
      - 2
      - 0
    .max_flat_workgroup_size: 256
    .name:           _ZN9rocsparseL42gtsv_transpose_and_pad_array_shared_kernelILj256ELj2E21rocsparse_complex_numIfEEEviiiPKT1_PS3_S3_
    .private_segment_fixed_size: 0
    .sgpr_count:     18
    .sgpr_spill_count: 0
    .symbol:         _ZN9rocsparseL42gtsv_transpose_and_pad_array_shared_kernelILj256ELj2E21rocsparse_complex_numIfEEEviiiPKT1_PS3_S3_.kd
    .uniform_work_group_size: 1
    .uses_dynamic_stack: false
    .vgpr_count:     6
    .vgpr_spill_count: 0
    .wavefront_size: 64
  - .agpr_count:     0
    .args:
      - .offset:         0
        .size:           4
        .value_kind:     by_value
      - .offset:         4
        .size:           4
        .value_kind:     by_value
      - .offset:         8
        .size:           4
        .value_kind:     by_value
      - .actual_access:  read_only
        .address_space:  global
        .offset:         16
        .size:           8
        .value_kind:     global_buffer
      - .actual_access:  read_only
        .address_space:  global
        .offset:         24
        .size:           8
        .value_kind:     global_buffer
      - .actual_access:  read_only
        .address_space:  global
        .offset:         32
        .size:           8
        .value_kind:     global_buffer
      - .address_space:  global
        .offset:         40
        .size:           8
        .value_kind:     global_buffer
      - .address_space:  global
        .offset:         48
        .size:           8
        .value_kind:     global_buffer
      - .address_space:  global
        .offset:         56
        .size:           8
        .value_kind:     global_buffer
      - .address_space:  global
        .offset:         64
        .size:           8
        .value_kind:     global_buffer
    .group_segment_fixed_size: 0
    .kernarg_segment_align: 8
    .kernarg_segment_size: 72
    .language:       OpenCL C
    .language_version:
      - 2
      - 0
    .max_flat_workgroup_size: 256
    .name:           _ZN9rocsparseL18gtsv_LBM_wv_kernelILj256ELj2E21rocsparse_complex_numIfEEEviiiPKT1_S5_S5_PS3_S6_S6_Pi
    .private_segment_fixed_size: 0
    .sgpr_count:     36
    .sgpr_spill_count: 0
    .symbol:         _ZN9rocsparseL18gtsv_LBM_wv_kernelILj256ELj2E21rocsparse_complex_numIfEEEviiiPKT1_S5_S5_PS3_S6_S6_Pi.kd
    .uniform_work_group_size: 1
    .uses_dynamic_stack: false
    .vgpr_count:     61
    .vgpr_spill_count: 0
    .wavefront_size: 64
  - .agpr_count:     0
    .args:
      - .offset:         0
        .size:           4
        .value_kind:     by_value
      - .offset:         4
        .size:           4
        .value_kind:     by_value
      - .offset:         8
        .size:           4
        .value_kind:     by_value
      - .actual_access:  read_only
        .address_space:  global
        .offset:         16
        .size:           8
        .value_kind:     global_buffer
      - .actual_access:  read_only
        .address_space:  global
        .offset:         24
        .size:           8
        .value_kind:     global_buffer
      - .actual_access:  read_only
        .address_space:  global
        .offset:         32
        .size:           8
        .value_kind:     global_buffer
      - .address_space:  global
        .offset:         40
        .size:           8
        .value_kind:     global_buffer
      - .actual_access:  read_only
        .address_space:  global
        .offset:         48
        .size:           8
        .value_kind:     global_buffer
      - .actual_access:  read_only
        .address_space:  global
        .offset:         56
        .size:           8
        .value_kind:     global_buffer
    .group_segment_fixed_size: 0
    .kernarg_segment_align: 8
    .kernarg_segment_size: 64
    .language:       OpenCL C
    .language_version:
      - 2
      - 0
    .max_flat_workgroup_size: 256
    .name:           _ZN9rocsparseL19gtsv_LBM_rhs_kernelILj256ELj2ELj8E21rocsparse_complex_numIfEEEviiiPKT2_S5_S5_PS3_S5_PKi
    .private_segment_fixed_size: 0
    .sgpr_count:     38
    .sgpr_spill_count: 0
    .symbol:         _ZN9rocsparseL19gtsv_LBM_rhs_kernelILj256ELj2ELj8E21rocsparse_complex_numIfEEEviiiPKT2_S5_S5_PS3_S5_PKi.kd
    .uniform_work_group_size: 1
    .uses_dynamic_stack: false
    .vgpr_count:     104
    .vgpr_spill_count: 0
    .wavefront_size: 64
  - .agpr_count:     0
    .args:
      - .offset:         0
        .size:           4
        .value_kind:     by_value
      - .offset:         4
        .size:           4
        .value_kind:     by_value
      - .offset:         8
        .size:           4
        .value_kind:     by_value
      - .actual_access:  read_only
        .address_space:  global
        .offset:         16
        .size:           8
        .value_kind:     global_buffer
      - .actual_access:  read_only
        .address_space:  global
        .offset:         24
        .size:           8
        .value_kind:     global_buffer
      - .actual_access:  read_only
        .address_space:  global
        .offset:         32
        .size:           8
        .value_kind:     global_buffer
      - .address_space:  global
        .offset:         40
        .size:           8
        .value_kind:     global_buffer
      - .actual_access:  read_only
        .address_space:  global
        .offset:         48
        .size:           8
        .value_kind:     global_buffer
      - .actual_access:  read_only
        .address_space:  global
        .offset:         56
        .size:           8
        .value_kind:     global_buffer
    .group_segment_fixed_size: 0
    .kernarg_segment_align: 8
    .kernarg_segment_size: 64
    .language:       OpenCL C
    .language_version:
      - 2
      - 0
    .max_flat_workgroup_size: 256
    .name:           _ZN9rocsparseL19gtsv_LBM_rhs_kernelILj256ELj2ELj4E21rocsparse_complex_numIfEEEviiiPKT2_S5_S5_PS3_S5_PKi
    .private_segment_fixed_size: 0
    .sgpr_count:     34
    .sgpr_spill_count: 0
    .symbol:         _ZN9rocsparseL19gtsv_LBM_rhs_kernelILj256ELj2ELj4E21rocsparse_complex_numIfEEEviiiPKT2_S5_S5_PS3_S5_PKi.kd
    .uniform_work_group_size: 1
    .uses_dynamic_stack: false
    .vgpr_count:     64
    .vgpr_spill_count: 0
    .wavefront_size: 64
  - .agpr_count:     0
    .args:
      - .offset:         0
        .size:           4
        .value_kind:     by_value
      - .offset:         4
        .size:           4
        .value_kind:     by_value
      - .offset:         8
        .size:           4
        .value_kind:     by_value
      - .actual_access:  read_only
        .address_space:  global
        .offset:         16
        .size:           8
        .value_kind:     global_buffer
      - .actual_access:  read_only
        .address_space:  global
        .offset:         24
        .size:           8
        .value_kind:     global_buffer
      - .actual_access:  read_only
        .address_space:  global
        .offset:         32
        .size:           8
        .value_kind:     global_buffer
      - .address_space:  global
        .offset:         40
        .size:           8
        .value_kind:     global_buffer
      - .actual_access:  read_only
        .address_space:  global
        .offset:         48
        .size:           8
        .value_kind:     global_buffer
      - .actual_access:  read_only
        .address_space:  global
        .offset:         56
        .size:           8
        .value_kind:     global_buffer
    .group_segment_fixed_size: 0
    .kernarg_segment_align: 8
    .kernarg_segment_size: 64
    .language:       OpenCL C
    .language_version:
      - 2
      - 0
    .max_flat_workgroup_size: 256
    .name:           _ZN9rocsparseL19gtsv_LBM_rhs_kernelILj256ELj2ELj2E21rocsparse_complex_numIfEEEviiiPKT2_S5_S5_PS3_S5_PKi
    .private_segment_fixed_size: 0
    .sgpr_count:     32
    .sgpr_spill_count: 0
    .symbol:         _ZN9rocsparseL19gtsv_LBM_rhs_kernelILj256ELj2ELj2E21rocsparse_complex_numIfEEEviiiPKT2_S5_S5_PS3_S5_PKi.kd
    .uniform_work_group_size: 1
    .uses_dynamic_stack: false
    .vgpr_count:     50
    .vgpr_spill_count: 0
    .wavefront_size: 64
  - .agpr_count:     0
    .args:
      - .offset:         0
        .size:           4
        .value_kind:     by_value
      - .offset:         4
        .size:           4
        .value_kind:     by_value
      - .offset:         8
        .size:           4
        .value_kind:     by_value
      - .actual_access:  read_only
        .address_space:  global
        .offset:         16
        .size:           8
        .value_kind:     global_buffer
      - .actual_access:  read_only
        .address_space:  global
        .offset:         24
        .size:           8
        .value_kind:     global_buffer
      - .actual_access:  read_only
        .address_space:  global
        .offset:         32
        .size:           8
        .value_kind:     global_buffer
      - .address_space:  global
        .offset:         40
        .size:           8
        .value_kind:     global_buffer
      - .actual_access:  read_only
        .address_space:  global
        .offset:         48
        .size:           8
        .value_kind:     global_buffer
      - .actual_access:  read_only
        .address_space:  global
        .offset:         56
        .size:           8
        .value_kind:     global_buffer
    .group_segment_fixed_size: 0
    .kernarg_segment_align: 8
    .kernarg_segment_size: 64
    .language:       OpenCL C
    .language_version:
      - 2
      - 0
    .max_flat_workgroup_size: 256
    .name:           _ZN9rocsparseL19gtsv_LBM_rhs_kernelILj256ELj2ELj1E21rocsparse_complex_numIfEEEviiiPKT2_S5_S5_PS3_S5_PKi
    .private_segment_fixed_size: 0
    .sgpr_count:     30
    .sgpr_spill_count: 0
    .symbol:         _ZN9rocsparseL19gtsv_LBM_rhs_kernelILj256ELj2ELj1E21rocsparse_complex_numIfEEEviiiPKT2_S5_S5_PS3_S5_PKi.kd
    .uniform_work_group_size: 1
    .uses_dynamic_stack: false
    .vgpr_count:     38
    .vgpr_spill_count: 0
    .wavefront_size: 64
  - .agpr_count:     0
    .args:
      - .offset:         0
        .size:           4
        .value_kind:     by_value
      - .offset:         4
        .size:           4
        .value_kind:     by_value
      - .offset:         8
        .size:           4
        .value_kind:     by_value
      - .address_space:  global
        .offset:         16
        .size:           8
        .value_kind:     global_buffer
      - .actual_access:  read_only
        .address_space:  global
        .offset:         24
        .size:           8
        .value_kind:     global_buffer
      - .actual_access:  read_only
        .address_space:  global
        .offset:         32
        .size:           8
        .value_kind:     global_buffer
      - .actual_access:  write_only
        .address_space:  global
        .offset:         40
        .size:           8
        .value_kind:     global_buffer
      - .actual_access:  write_only
        .address_space:  global
        .offset:         48
        .size:           8
        .value_kind:     global_buffer
      - .actual_access:  write_only
        .address_space:  global
        .offset:         56
        .size:           8
        .value_kind:     global_buffer
      - .actual_access:  write_only
        .address_space:  global
        .offset:         64
        .size:           8
        .value_kind:     global_buffer
      - .actual_access:  write_only
        .address_space:  global
        .offset:         72
        .size:           8
        .value_kind:     global_buffer
      - .offset:         80
        .size:           4
        .value_kind:     hidden_block_count_x
      - .offset:         84
        .size:           4
        .value_kind:     hidden_block_count_y
      - .offset:         88
        .size:           4
        .value_kind:     hidden_block_count_z
      - .offset:         92
        .size:           2
        .value_kind:     hidden_group_size_x
      - .offset:         94
        .size:           2
        .value_kind:     hidden_group_size_y
      - .offset:         96
        .size:           2
        .value_kind:     hidden_group_size_z
      - .offset:         98
        .size:           2
        .value_kind:     hidden_remainder_x
      - .offset:         100
        .size:           2
        .value_kind:     hidden_remainder_y
      - .offset:         102
        .size:           2
        .value_kind:     hidden_remainder_z
      - .offset:         120
        .size:           8
        .value_kind:     hidden_global_offset_x
      - .offset:         128
        .size:           8
        .value_kind:     hidden_global_offset_y
      - .offset:         136
        .size:           8
        .value_kind:     hidden_global_offset_z
      - .offset:         144
        .size:           2
        .value_kind:     hidden_grid_dims
    .group_segment_fixed_size: 12288
    .kernarg_segment_align: 8
    .kernarg_segment_size: 336
    .language:       OpenCL C
    .language_version:
      - 2
      - 0
    .max_flat_workgroup_size: 256
    .name:           _ZN9rocsparseL29gtsv_spike_block_level_kernelILj256ELj2E21rocsparse_complex_numIfEEEviiiPT1_PKS3_S6_S4_S4_S4_S4_S4_
    .private_segment_fixed_size: 0
    .sgpr_count:     30
    .sgpr_spill_count: 0
    .symbol:         _ZN9rocsparseL29gtsv_spike_block_level_kernelILj256ELj2E21rocsparse_complex_numIfEEEviiiPT1_PKS3_S6_S4_S4_S4_S4_S4_.kd
    .uniform_work_group_size: 1
    .uses_dynamic_stack: false
    .vgpr_count:     50
    .vgpr_spill_count: 0
    .wavefront_size: 64
  - .agpr_count:     0
    .args:
      - .offset:         0
        .size:           4
        .value_kind:     by_value
      - .offset:         4
        .size:           4
        .value_kind:     by_value
      - .offset:         8
        .size:           4
        .value_kind:     by_value
      - .address_space:  global
        .offset:         16
        .size:           8
        .value_kind:     global_buffer
      - .actual_access:  read_only
        .address_space:  global
        .offset:         24
        .size:           8
        .value_kind:     global_buffer
      - .actual_access:  read_only
        .address_space:  global
        .offset:         32
        .size:           8
        .value_kind:     global_buffer
    .group_segment_fixed_size: 96
    .kernarg_segment_align: 8
    .kernarg_segment_size: 40
    .language:       OpenCL C
    .language_version:
      - 2
      - 0
    .max_flat_workgroup_size: 2
    .name:           _ZN9rocsparseL34gtsv_solve_spike_grid_level_kernelILj2E21rocsparse_complex_numIfEEEviiiPT0_PKS3_S6_
    .private_segment_fixed_size: 0
    .sgpr_count:     16
    .sgpr_spill_count: 0
    .symbol:         _ZN9rocsparseL34gtsv_solve_spike_grid_level_kernelILj2E21rocsparse_complex_numIfEEEviiiPT0_PKS3_S6_.kd
    .uniform_work_group_size: 1
    .uses_dynamic_stack: false
    .vgpr_count:     40
    .vgpr_spill_count: 0
    .wavefront_size: 64
  - .agpr_count:     0
    .args:
      - .offset:         0
        .size:           4
        .value_kind:     by_value
      - .offset:         4
        .size:           4
        .value_kind:     by_value
      - .offset:         8
        .size:           4
        .value_kind:     by_value
      - .address_space:  global
        .offset:         16
        .size:           8
        .value_kind:     global_buffer
      - .actual_access:  read_only
        .address_space:  global
        .offset:         24
        .size:           8
        .value_kind:     global_buffer
      - .actual_access:  read_only
        .address_space:  global
        .offset:         32
        .size:           8
        .value_kind:     global_buffer
    .group_segment_fixed_size: 192
    .kernarg_segment_align: 8
    .kernarg_segment_size: 40
    .language:       OpenCL C
    .language_version:
      - 2
      - 0
    .max_flat_workgroup_size: 4
    .name:           _ZN9rocsparseL34gtsv_solve_spike_grid_level_kernelILj4E21rocsparse_complex_numIfEEEviiiPT0_PKS3_S6_
    .private_segment_fixed_size: 0
    .sgpr_count:     16
    .sgpr_spill_count: 0
    .symbol:         _ZN9rocsparseL34gtsv_solve_spike_grid_level_kernelILj4E21rocsparse_complex_numIfEEEviiiPT0_PKS3_S6_.kd
    .uniform_work_group_size: 1
    .uses_dynamic_stack: false
    .vgpr_count:     46
    .vgpr_spill_count: 0
    .wavefront_size: 64
  - .agpr_count:     0
    .args:
      - .offset:         0
        .size:           4
        .value_kind:     by_value
      - .offset:         4
        .size:           4
        .value_kind:     by_value
      - .offset:         8
        .size:           4
        .value_kind:     by_value
      - .address_space:  global
        .offset:         16
        .size:           8
        .value_kind:     global_buffer
      - .actual_access:  read_only
        .address_space:  global
        .offset:         24
        .size:           8
        .value_kind:     global_buffer
      - .actual_access:  read_only
        .address_space:  global
        .offset:         32
        .size:           8
        .value_kind:     global_buffer
    .group_segment_fixed_size: 384
    .kernarg_segment_align: 8
    .kernarg_segment_size: 40
    .language:       OpenCL C
    .language_version:
      - 2
      - 0
    .max_flat_workgroup_size: 8
    .name:           _ZN9rocsparseL34gtsv_solve_spike_grid_level_kernelILj8E21rocsparse_complex_numIfEEEviiiPT0_PKS3_S6_
    .private_segment_fixed_size: 0
    .sgpr_count:     16
    .sgpr_spill_count: 0
    .symbol:         _ZN9rocsparseL34gtsv_solve_spike_grid_level_kernelILj8E21rocsparse_complex_numIfEEEviiiPT0_PKS3_S6_.kd
    .uniform_work_group_size: 1
    .uses_dynamic_stack: false
    .vgpr_count:     48
    .vgpr_spill_count: 0
    .wavefront_size: 64
  - .agpr_count:     0
    .args:
      - .offset:         0
        .size:           4
        .value_kind:     by_value
      - .offset:         4
        .size:           4
        .value_kind:     by_value
      - .offset:         8
        .size:           4
        .value_kind:     by_value
      - .address_space:  global
        .offset:         16
        .size:           8
        .value_kind:     global_buffer
      - .actual_access:  read_only
        .address_space:  global
        .offset:         24
        .size:           8
        .value_kind:     global_buffer
      - .actual_access:  read_only
        .address_space:  global
        .offset:         32
        .size:           8
        .value_kind:     global_buffer
    .group_segment_fixed_size: 768
    .kernarg_segment_align: 8
    .kernarg_segment_size: 40
    .language:       OpenCL C
    .language_version:
      - 2
      - 0
    .max_flat_workgroup_size: 16
    .name:           _ZN9rocsparseL34gtsv_solve_spike_grid_level_kernelILj16E21rocsparse_complex_numIfEEEviiiPT0_PKS3_S6_
    .private_segment_fixed_size: 0
    .sgpr_count:     16
    .sgpr_spill_count: 0
    .symbol:         _ZN9rocsparseL34gtsv_solve_spike_grid_level_kernelILj16E21rocsparse_complex_numIfEEEviiiPT0_PKS3_S6_.kd
    .uniform_work_group_size: 1
    .uses_dynamic_stack: false
    .vgpr_count:     50
    .vgpr_spill_count: 0
    .wavefront_size: 64
  - .agpr_count:     0
    .args:
      - .offset:         0
        .size:           4
        .value_kind:     by_value
      - .offset:         4
        .size:           4
        .value_kind:     by_value
      - .offset:         8
        .size:           4
        .value_kind:     by_value
      - .address_space:  global
        .offset:         16
        .size:           8
        .value_kind:     global_buffer
      - .actual_access:  read_only
        .address_space:  global
        .offset:         24
        .size:           8
        .value_kind:     global_buffer
      - .actual_access:  read_only
        .address_space:  global
        .offset:         32
        .size:           8
        .value_kind:     global_buffer
    .group_segment_fixed_size: 1536
    .kernarg_segment_align: 8
    .kernarg_segment_size: 40
    .language:       OpenCL C
    .language_version:
      - 2
      - 0
    .max_flat_workgroup_size: 32
    .name:           _ZN9rocsparseL34gtsv_solve_spike_grid_level_kernelILj32E21rocsparse_complex_numIfEEEviiiPT0_PKS3_S6_
    .private_segment_fixed_size: 0
    .sgpr_count:     18
    .sgpr_spill_count: 0
    .symbol:         _ZN9rocsparseL34gtsv_solve_spike_grid_level_kernelILj32E21rocsparse_complex_numIfEEEviiiPT0_PKS3_S6_.kd
    .uniform_work_group_size: 1
    .uses_dynamic_stack: false
    .vgpr_count:     50
    .vgpr_spill_count: 0
    .wavefront_size: 64
  - .agpr_count:     0
    .args:
      - .offset:         0
        .size:           4
        .value_kind:     by_value
      - .offset:         4
        .size:           4
        .value_kind:     by_value
      - .offset:         8
        .size:           4
        .value_kind:     by_value
      - .address_space:  global
        .offset:         16
        .size:           8
        .value_kind:     global_buffer
      - .actual_access:  read_only
        .address_space:  global
        .offset:         24
        .size:           8
        .value_kind:     global_buffer
      - .actual_access:  read_only
        .address_space:  global
        .offset:         32
        .size:           8
        .value_kind:     global_buffer
    .group_segment_fixed_size: 3072
    .kernarg_segment_align: 8
    .kernarg_segment_size: 40
    .language:       OpenCL C
    .language_version:
      - 2
      - 0
    .max_flat_workgroup_size: 64
    .name:           _ZN9rocsparseL34gtsv_solve_spike_grid_level_kernelILj64E21rocsparse_complex_numIfEEEviiiPT0_PKS3_S6_
    .private_segment_fixed_size: 0
    .sgpr_count:     20
    .sgpr_spill_count: 0
    .symbol:         _ZN9rocsparseL34gtsv_solve_spike_grid_level_kernelILj64E21rocsparse_complex_numIfEEEviiiPT0_PKS3_S6_.kd
    .uniform_work_group_size: 1
    .uses_dynamic_stack: false
    .vgpr_count:     52
    .vgpr_spill_count: 0
    .wavefront_size: 64
  - .agpr_count:     0
    .args:
      - .offset:         0
        .size:           4
        .value_kind:     by_value
      - .offset:         4
        .size:           4
        .value_kind:     by_value
      - .offset:         8
        .size:           4
        .value_kind:     by_value
      - .address_space:  global
        .offset:         16
        .size:           8
        .value_kind:     global_buffer
      - .actual_access:  read_only
        .address_space:  global
        .offset:         24
        .size:           8
        .value_kind:     global_buffer
      - .actual_access:  read_only
        .address_space:  global
        .offset:         32
        .size:           8
        .value_kind:     global_buffer
    .group_segment_fixed_size: 6144
    .kernarg_segment_align: 8
    .kernarg_segment_size: 40
    .language:       OpenCL C
    .language_version:
      - 2
      - 0
    .max_flat_workgroup_size: 128
    .name:           _ZN9rocsparseL34gtsv_solve_spike_grid_level_kernelILj128E21rocsparse_complex_numIfEEEviiiPT0_PKS3_S6_
    .private_segment_fixed_size: 0
    .sgpr_count:     22
    .sgpr_spill_count: 0
    .symbol:         _ZN9rocsparseL34gtsv_solve_spike_grid_level_kernelILj128E21rocsparse_complex_numIfEEEviiiPT0_PKS3_S6_.kd
    .uniform_work_group_size: 1
    .uses_dynamic_stack: false
    .vgpr_count:     53
    .vgpr_spill_count: 0
    .wavefront_size: 64
  - .agpr_count:     0
    .args:
      - .offset:         0
        .size:           4
        .value_kind:     by_value
      - .offset:         4
        .size:           4
        .value_kind:     by_value
      - .offset:         8
        .size:           4
        .value_kind:     by_value
      - .address_space:  global
        .offset:         16
        .size:           8
        .value_kind:     global_buffer
      - .actual_access:  read_only
        .address_space:  global
        .offset:         24
        .size:           8
        .value_kind:     global_buffer
      - .actual_access:  read_only
        .address_space:  global
        .offset:         32
        .size:           8
        .value_kind:     global_buffer
    .group_segment_fixed_size: 12288
    .kernarg_segment_align: 8
    .kernarg_segment_size: 40
    .language:       OpenCL C
    .language_version:
      - 2
      - 0
    .max_flat_workgroup_size: 256
    .name:           _ZN9rocsparseL34gtsv_solve_spike_grid_level_kernelILj256E21rocsparse_complex_numIfEEEviiiPT0_PKS3_S6_
    .private_segment_fixed_size: 0
    .sgpr_count:     24
    .sgpr_spill_count: 0
    .symbol:         _ZN9rocsparseL34gtsv_solve_spike_grid_level_kernelILj256E21rocsparse_complex_numIfEEEviiiPT0_PKS3_S6_.kd
    .uniform_work_group_size: 1
    .uses_dynamic_stack: false
    .vgpr_count:     54
    .vgpr_spill_count: 0
    .wavefront_size: 64
  - .agpr_count:     0
    .args:
      - .offset:         0
        .size:           4
        .value_kind:     by_value
      - .offset:         4
        .size:           4
        .value_kind:     by_value
      - .offset:         8
        .size:           4
        .value_kind:     by_value
      - .address_space:  global
        .offset:         16
        .size:           8
        .value_kind:     global_buffer
      - .actual_access:  read_only
        .address_space:  global
        .offset:         24
        .size:           8
        .value_kind:     global_buffer
      - .actual_access:  read_only
        .address_space:  global
        .offset:         32
        .size:           8
        .value_kind:     global_buffer
    .group_segment_fixed_size: 24576
    .kernarg_segment_align: 8
    .kernarg_segment_size: 40
    .language:       OpenCL C
    .language_version:
      - 2
      - 0
    .max_flat_workgroup_size: 512
    .name:           _ZN9rocsparseL34gtsv_solve_spike_grid_level_kernelILj512E21rocsparse_complex_numIfEEEviiiPT0_PKS3_S6_
    .private_segment_fixed_size: 0
    .sgpr_count:     26
    .sgpr_spill_count: 0
    .symbol:         _ZN9rocsparseL34gtsv_solve_spike_grid_level_kernelILj512E21rocsparse_complex_numIfEEEviiiPT0_PKS3_S6_.kd
    .uniform_work_group_size: 1
    .uses_dynamic_stack: false
    .vgpr_count:     58
    .vgpr_spill_count: 0
    .wavefront_size: 64
  - .agpr_count:     0
    .args:
      - .offset:         0
        .size:           4
        .value_kind:     by_value
      - .offset:         4
        .size:           4
        .value_kind:     by_value
      - .offset:         8
        .size:           4
        .value_kind:     by_value
      - .address_space:  global
        .offset:         16
        .size:           8
        .value_kind:     global_buffer
      - .actual_access:  read_only
        .address_space:  global
        .offset:         24
        .size:           8
        .value_kind:     global_buffer
      - .actual_access:  read_only
        .address_space:  global
        .offset:         32
        .size:           8
        .value_kind:     global_buffer
      - .actual_access:  read_only
        .address_space:  global
        .offset:         40
        .size:           8
        .value_kind:     global_buffer
      - .offset:         48
        .size:           4
        .value_kind:     hidden_block_count_x
      - .offset:         52
        .size:           4
        .value_kind:     hidden_block_count_y
      - .offset:         56
        .size:           4
        .value_kind:     hidden_block_count_z
      - .offset:         60
        .size:           2
        .value_kind:     hidden_group_size_x
      - .offset:         62
        .size:           2
        .value_kind:     hidden_group_size_y
      - .offset:         64
        .size:           2
        .value_kind:     hidden_group_size_z
      - .offset:         66
        .size:           2
        .value_kind:     hidden_remainder_x
      - .offset:         68
        .size:           2
        .value_kind:     hidden_remainder_y
      - .offset:         70
        .size:           2
        .value_kind:     hidden_remainder_z
      - .offset:         88
        .size:           8
        .value_kind:     hidden_global_offset_x
      - .offset:         96
        .size:           8
        .value_kind:     hidden_global_offset_y
      - .offset:         104
        .size:           8
        .value_kind:     hidden_global_offset_z
      - .offset:         112
        .size:           2
        .value_kind:     hidden_grid_dims
    .group_segment_fixed_size: 12304
    .kernarg_segment_align: 8
    .kernarg_segment_size: 304
    .language:       OpenCL C
    .language_version:
      - 2
      - 0
    .max_flat_workgroup_size: 256
    .name:           _ZN9rocsparseL33gtsv_solve_spike_propagate_kernelILj256ELj2E21rocsparse_complex_numIfEEEviiiPT1_PKS3_S6_S6_
    .private_segment_fixed_size: 0
    .sgpr_count:     24
    .sgpr_spill_count: 0
    .symbol:         _ZN9rocsparseL33gtsv_solve_spike_propagate_kernelILj256ELj2E21rocsparse_complex_numIfEEEviiiPT1_PKS3_S6_S6_.kd
    .uniform_work_group_size: 1
    .uses_dynamic_stack: false
    .vgpr_count:     22
    .vgpr_spill_count: 0
    .wavefront_size: 64
  - .agpr_count:     0
    .args:
      - .offset:         0
        .size:           4
        .value_kind:     by_value
      - .offset:         4
        .size:           4
        .value_kind:     by_value
      - .offset:         8
        .size:           4
        .value_kind:     by_value
      - .actual_access:  read_only
        .address_space:  global
        .offset:         16
        .size:           8
        .value_kind:     global_buffer
      - .actual_access:  read_only
        .address_space:  global
        .offset:         24
        .size:           8
        .value_kind:     global_buffer
      - .actual_access:  read_only
        .address_space:  global
        .offset:         32
        .size:           8
        .value_kind:     global_buffer
    .group_segment_fixed_size: 0
    .kernarg_segment_align: 8
    .kernarg_segment_size: 40
    .language:       OpenCL C
    .language_version:
      - 2
      - 0
    .max_flat_workgroup_size: 256
    .name:           _ZN9rocsparseL39gtsv_spike_backward_substitution_kernelILj256ELj2E21rocsparse_complex_numIfEEEviiiPT1_PKS3_S6_
    .private_segment_fixed_size: 0
    .sgpr_count:     6
    .sgpr_spill_count: 0
    .symbol:         _ZN9rocsparseL39gtsv_spike_backward_substitution_kernelILj256ELj2E21rocsparse_complex_numIfEEEviiiPT1_PKS3_S6_.kd
    .uniform_work_group_size: 1
    .uses_dynamic_stack: false
    .vgpr_count:     0
    .vgpr_spill_count: 0
    .wavefront_size: 64
  - .agpr_count:     0
    .args:
      - .offset:         0
        .size:           4
        .value_kind:     by_value
      - .offset:         4
        .size:           4
        .value_kind:     by_value
      - .offset:         8
        .size:           4
        .value_kind:     by_value
      - .actual_access:  read_only
        .address_space:  global
        .offset:         16
        .size:           8
        .value_kind:     global_buffer
      - .actual_access:  write_only
        .address_space:  global
        .offset:         24
        .size:           8
        .value_kind:     global_buffer
    .group_segment_fixed_size: 0
    .kernarg_segment_align: 8
    .kernarg_segment_size: 32
    .language:       OpenCL C
    .language_version:
      - 2
      - 0
    .max_flat_workgroup_size: 256
    .name:           _ZN9rocsparseL32gtsv_transpose_back_array_kernelILj256ELj2E21rocsparse_complex_numIfEEEviiiPKT1_PS3_
    .private_segment_fixed_size: 0
    .sgpr_count:     18
    .sgpr_spill_count: 0
    .symbol:         _ZN9rocsparseL32gtsv_transpose_back_array_kernelILj256ELj2E21rocsparse_complex_numIfEEEviiiPKT1_PS3_.kd
    .uniform_work_group_size: 1
    .uses_dynamic_stack: false
    .vgpr_count:     5
    .vgpr_spill_count: 0
    .wavefront_size: 64
  - .agpr_count:     0
    .args:
      - .offset:         0
        .size:           4
        .value_kind:     by_value
      - .offset:         4
        .size:           4
        .value_kind:     by_value
      - .offset:         8
        .size:           4
        .value_kind:     by_value
      - .actual_access:  read_only
        .address_space:  global
        .offset:         16
        .size:           8
        .value_kind:     global_buffer
      - .actual_access:  write_only
        .address_space:  global
        .offset:         24
        .size:           8
        .value_kind:     global_buffer
      - .offset:         32
        .size:           8
        .value_kind:     by_value
    .group_segment_fixed_size: 2048
    .kernarg_segment_align: 8
    .kernarg_segment_size: 40
    .language:       OpenCL C
    .language_version:
      - 2
      - 0
    .max_flat_workgroup_size: 256
    .name:           _ZN9rocsparseL42gtsv_transpose_and_pad_array_shared_kernelILj256ELj4E21rocsparse_complex_numIfEEEviiiPKT1_PS3_S3_
    .private_segment_fixed_size: 0
    .sgpr_count:     18
    .sgpr_spill_count: 0
    .symbol:         _ZN9rocsparseL42gtsv_transpose_and_pad_array_shared_kernelILj256ELj4E21rocsparse_complex_numIfEEEviiiPKT1_PS3_S3_.kd
    .uniform_work_group_size: 1
    .uses_dynamic_stack: false
    .vgpr_count:     6
    .vgpr_spill_count: 0
    .wavefront_size: 64
  - .agpr_count:     0
    .args:
      - .offset:         0
        .size:           4
        .value_kind:     by_value
      - .offset:         4
        .size:           4
        .value_kind:     by_value
      - .offset:         8
        .size:           4
        .value_kind:     by_value
      - .actual_access:  read_only
        .address_space:  global
        .offset:         16
        .size:           8
        .value_kind:     global_buffer
      - .actual_access:  read_only
        .address_space:  global
        .offset:         24
        .size:           8
        .value_kind:     global_buffer
      - .actual_access:  read_only
        .address_space:  global
        .offset:         32
        .size:           8
        .value_kind:     global_buffer
      - .address_space:  global
        .offset:         40
        .size:           8
        .value_kind:     global_buffer
      - .address_space:  global
        .offset:         48
        .size:           8
        .value_kind:     global_buffer
      - .address_space:  global
        .offset:         56
        .size:           8
        .value_kind:     global_buffer
      - .address_space:  global
        .offset:         64
        .size:           8
        .value_kind:     global_buffer
    .group_segment_fixed_size: 0
    .kernarg_segment_align: 8
    .kernarg_segment_size: 72
    .language:       OpenCL C
    .language_version:
      - 2
      - 0
    .max_flat_workgroup_size: 256
    .name:           _ZN9rocsparseL18gtsv_LBM_wv_kernelILj256ELj4E21rocsparse_complex_numIfEEEviiiPKT1_S5_S5_PS3_S6_S6_Pi
    .private_segment_fixed_size: 0
    .sgpr_count:     40
    .sgpr_spill_count: 0
    .symbol:         _ZN9rocsparseL18gtsv_LBM_wv_kernelILj256ELj4E21rocsparse_complex_numIfEEEviiiPKT1_S5_S5_PS3_S6_S6_Pi.kd
    .uniform_work_group_size: 1
    .uses_dynamic_stack: false
    .vgpr_count:     68
    .vgpr_spill_count: 0
    .wavefront_size: 64
  - .agpr_count:     0
    .args:
      - .offset:         0
        .size:           4
        .value_kind:     by_value
      - .offset:         4
        .size:           4
        .value_kind:     by_value
      - .offset:         8
        .size:           4
        .value_kind:     by_value
      - .actual_access:  read_only
        .address_space:  global
        .offset:         16
        .size:           8
        .value_kind:     global_buffer
      - .actual_access:  read_only
        .address_space:  global
        .offset:         24
        .size:           8
        .value_kind:     global_buffer
      - .actual_access:  read_only
        .address_space:  global
        .offset:         32
        .size:           8
        .value_kind:     global_buffer
      - .address_space:  global
        .offset:         40
        .size:           8
        .value_kind:     global_buffer
      - .actual_access:  read_only
        .address_space:  global
        .offset:         48
        .size:           8
        .value_kind:     global_buffer
      - .actual_access:  read_only
        .address_space:  global
        .offset:         56
        .size:           8
        .value_kind:     global_buffer
    .group_segment_fixed_size: 0
    .kernarg_segment_align: 8
    .kernarg_segment_size: 64
    .language:       OpenCL C
    .language_version:
      - 2
      - 0
    .max_flat_workgroup_size: 256
    .name:           _ZN9rocsparseL19gtsv_LBM_rhs_kernelILj256ELj4ELj8E21rocsparse_complex_numIfEEEviiiPKT2_S5_S5_PS3_S5_PKi
    .private_segment_fixed_size: 0
    .sgpr_count:     42
    .sgpr_spill_count: 0
    .symbol:         _ZN9rocsparseL19gtsv_LBM_rhs_kernelILj256ELj4ELj8E21rocsparse_complex_numIfEEEviiiPKT2_S5_S5_PS3_S5_PKi.kd
    .uniform_work_group_size: 1
    .uses_dynamic_stack: false
    .vgpr_count:     120
    .vgpr_spill_count: 0
    .wavefront_size: 64
  - .agpr_count:     0
    .args:
      - .offset:         0
        .size:           4
        .value_kind:     by_value
      - .offset:         4
        .size:           4
        .value_kind:     by_value
      - .offset:         8
        .size:           4
        .value_kind:     by_value
      - .actual_access:  read_only
        .address_space:  global
        .offset:         16
        .size:           8
        .value_kind:     global_buffer
      - .actual_access:  read_only
        .address_space:  global
        .offset:         24
        .size:           8
        .value_kind:     global_buffer
      - .actual_access:  read_only
        .address_space:  global
        .offset:         32
        .size:           8
        .value_kind:     global_buffer
      - .address_space:  global
        .offset:         40
        .size:           8
        .value_kind:     global_buffer
      - .actual_access:  read_only
        .address_space:  global
        .offset:         48
        .size:           8
        .value_kind:     global_buffer
      - .actual_access:  read_only
        .address_space:  global
        .offset:         56
        .size:           8
        .value_kind:     global_buffer
    .group_segment_fixed_size: 0
    .kernarg_segment_align: 8
    .kernarg_segment_size: 64
    .language:       OpenCL C
    .language_version:
      - 2
      - 0
    .max_flat_workgroup_size: 256
    .name:           _ZN9rocsparseL19gtsv_LBM_rhs_kernelILj256ELj4ELj4E21rocsparse_complex_numIfEEEviiiPKT2_S5_S5_PS3_S5_PKi
    .private_segment_fixed_size: 0
    .sgpr_count:     37
    .sgpr_spill_count: 0
    .symbol:         _ZN9rocsparseL19gtsv_LBM_rhs_kernelILj256ELj4ELj4E21rocsparse_complex_numIfEEEviiiPKT2_S5_S5_PS3_S5_PKi.kd
    .uniform_work_group_size: 1
    .uses_dynamic_stack: false
    .vgpr_count:     76
    .vgpr_spill_count: 0
    .wavefront_size: 64
  - .agpr_count:     0
    .args:
      - .offset:         0
        .size:           4
        .value_kind:     by_value
      - .offset:         4
        .size:           4
        .value_kind:     by_value
      - .offset:         8
        .size:           4
        .value_kind:     by_value
      - .actual_access:  read_only
        .address_space:  global
        .offset:         16
        .size:           8
        .value_kind:     global_buffer
      - .actual_access:  read_only
        .address_space:  global
        .offset:         24
        .size:           8
        .value_kind:     global_buffer
      - .actual_access:  read_only
        .address_space:  global
        .offset:         32
        .size:           8
        .value_kind:     global_buffer
      - .address_space:  global
        .offset:         40
        .size:           8
        .value_kind:     global_buffer
      - .actual_access:  read_only
        .address_space:  global
        .offset:         48
        .size:           8
        .value_kind:     global_buffer
      - .actual_access:  read_only
        .address_space:  global
        .offset:         56
        .size:           8
        .value_kind:     global_buffer
    .group_segment_fixed_size: 0
    .kernarg_segment_align: 8
    .kernarg_segment_size: 64
    .language:       OpenCL C
    .language_version:
      - 2
      - 0
    .max_flat_workgroup_size: 256
    .name:           _ZN9rocsparseL19gtsv_LBM_rhs_kernelILj256ELj4ELj2E21rocsparse_complex_numIfEEEviiiPKT2_S5_S5_PS3_S5_PKi
    .private_segment_fixed_size: 0
    .sgpr_count:     35
    .sgpr_spill_count: 0
    .symbol:         _ZN9rocsparseL19gtsv_LBM_rhs_kernelILj256ELj4ELj2E21rocsparse_complex_numIfEEEviiiPKT2_S5_S5_PS3_S5_PKi.kd
    .uniform_work_group_size: 1
    .uses_dynamic_stack: false
    .vgpr_count:     66
    .vgpr_spill_count: 0
    .wavefront_size: 64
  - .agpr_count:     0
    .args:
      - .offset:         0
        .size:           4
        .value_kind:     by_value
      - .offset:         4
        .size:           4
        .value_kind:     by_value
      - .offset:         8
        .size:           4
        .value_kind:     by_value
      - .actual_access:  read_only
        .address_space:  global
        .offset:         16
        .size:           8
        .value_kind:     global_buffer
      - .actual_access:  read_only
        .address_space:  global
        .offset:         24
        .size:           8
        .value_kind:     global_buffer
      - .actual_access:  read_only
        .address_space:  global
        .offset:         32
        .size:           8
        .value_kind:     global_buffer
      - .address_space:  global
        .offset:         40
        .size:           8
        .value_kind:     global_buffer
      - .actual_access:  read_only
        .address_space:  global
        .offset:         48
        .size:           8
        .value_kind:     global_buffer
      - .actual_access:  read_only
        .address_space:  global
        .offset:         56
        .size:           8
        .value_kind:     global_buffer
    .group_segment_fixed_size: 0
    .kernarg_segment_align: 8
    .kernarg_segment_size: 64
    .language:       OpenCL C
    .language_version:
      - 2
      - 0
    .max_flat_workgroup_size: 256
    .name:           _ZN9rocsparseL19gtsv_LBM_rhs_kernelILj256ELj4ELj1E21rocsparse_complex_numIfEEEviiiPKT2_S5_S5_PS3_S5_PKi
    .private_segment_fixed_size: 0
    .sgpr_count:     33
    .sgpr_spill_count: 0
    .symbol:         _ZN9rocsparseL19gtsv_LBM_rhs_kernelILj256ELj4ELj1E21rocsparse_complex_numIfEEEviiiPKT2_S5_S5_PS3_S5_PKi.kd
    .uniform_work_group_size: 1
    .uses_dynamic_stack: false
    .vgpr_count:     46
    .vgpr_spill_count: 0
    .wavefront_size: 64
  - .agpr_count:     0
    .args:
      - .offset:         0
        .size:           4
        .value_kind:     by_value
      - .offset:         4
        .size:           4
        .value_kind:     by_value
      - .offset:         8
        .size:           4
        .value_kind:     by_value
      - .address_space:  global
        .offset:         16
        .size:           8
        .value_kind:     global_buffer
      - .actual_access:  read_only
        .address_space:  global
        .offset:         24
        .size:           8
        .value_kind:     global_buffer
      - .actual_access:  read_only
        .address_space:  global
        .offset:         32
        .size:           8
        .value_kind:     global_buffer
      - .actual_access:  write_only
        .address_space:  global
        .offset:         40
        .size:           8
        .value_kind:     global_buffer
      - .actual_access:  write_only
        .address_space:  global
        .offset:         48
        .size:           8
        .value_kind:     global_buffer
      - .actual_access:  write_only
        .address_space:  global
        .offset:         56
        .size:           8
        .value_kind:     global_buffer
      - .actual_access:  write_only
        .address_space:  global
        .offset:         64
        .size:           8
        .value_kind:     global_buffer
      - .actual_access:  write_only
        .address_space:  global
        .offset:         72
        .size:           8
        .value_kind:     global_buffer
      - .offset:         80
        .size:           4
        .value_kind:     hidden_block_count_x
      - .offset:         84
        .size:           4
        .value_kind:     hidden_block_count_y
      - .offset:         88
        .size:           4
        .value_kind:     hidden_block_count_z
      - .offset:         92
        .size:           2
        .value_kind:     hidden_group_size_x
      - .offset:         94
        .size:           2
        .value_kind:     hidden_group_size_y
      - .offset:         96
        .size:           2
        .value_kind:     hidden_group_size_z
      - .offset:         98
        .size:           2
        .value_kind:     hidden_remainder_x
      - .offset:         100
        .size:           2
        .value_kind:     hidden_remainder_y
      - .offset:         102
        .size:           2
        .value_kind:     hidden_remainder_z
      - .offset:         120
        .size:           8
        .value_kind:     hidden_global_offset_x
      - .offset:         128
        .size:           8
        .value_kind:     hidden_global_offset_y
      - .offset:         136
        .size:           8
        .value_kind:     hidden_global_offset_z
      - .offset:         144
        .size:           2
        .value_kind:     hidden_grid_dims
    .group_segment_fixed_size: 12288
    .kernarg_segment_align: 8
    .kernarg_segment_size: 336
    .language:       OpenCL C
    .language_version:
      - 2
      - 0
    .max_flat_workgroup_size: 256
    .name:           _ZN9rocsparseL29gtsv_spike_block_level_kernelILj256ELj4E21rocsparse_complex_numIfEEEviiiPT1_PKS3_S6_S4_S4_S4_S4_S4_
    .private_segment_fixed_size: 0
    .sgpr_count:     30
    .sgpr_spill_count: 0
    .symbol:         _ZN9rocsparseL29gtsv_spike_block_level_kernelILj256ELj4E21rocsparse_complex_numIfEEEviiiPT1_PKS3_S6_S4_S4_S4_S4_S4_.kd
    .uniform_work_group_size: 1
    .uses_dynamic_stack: false
    .vgpr_count:     50
    .vgpr_spill_count: 0
    .wavefront_size: 64
  - .agpr_count:     0
    .args:
      - .offset:         0
        .size:           4
        .value_kind:     by_value
      - .offset:         4
        .size:           4
        .value_kind:     by_value
      - .offset:         8
        .size:           4
        .value_kind:     by_value
      - .address_space:  global
        .offset:         16
        .size:           8
        .value_kind:     global_buffer
      - .actual_access:  read_only
        .address_space:  global
        .offset:         24
        .size:           8
        .value_kind:     global_buffer
      - .actual_access:  read_only
        .address_space:  global
        .offset:         32
        .size:           8
        .value_kind:     global_buffer
      - .actual_access:  read_only
        .address_space:  global
        .offset:         40
        .size:           8
        .value_kind:     global_buffer
      - .offset:         48
        .size:           4
        .value_kind:     hidden_block_count_x
      - .offset:         52
        .size:           4
        .value_kind:     hidden_block_count_y
      - .offset:         56
        .size:           4
        .value_kind:     hidden_block_count_z
      - .offset:         60
        .size:           2
        .value_kind:     hidden_group_size_x
      - .offset:         62
        .size:           2
        .value_kind:     hidden_group_size_y
      - .offset:         64
        .size:           2
        .value_kind:     hidden_group_size_z
      - .offset:         66
        .size:           2
        .value_kind:     hidden_remainder_x
      - .offset:         68
        .size:           2
        .value_kind:     hidden_remainder_y
      - .offset:         70
        .size:           2
        .value_kind:     hidden_remainder_z
      - .offset:         88
        .size:           8
        .value_kind:     hidden_global_offset_x
      - .offset:         96
        .size:           8
        .value_kind:     hidden_global_offset_y
      - .offset:         104
        .size:           8
        .value_kind:     hidden_global_offset_z
      - .offset:         112
        .size:           2
        .value_kind:     hidden_grid_dims
    .group_segment_fixed_size: 12304
    .kernarg_segment_align: 8
    .kernarg_segment_size: 304
    .language:       OpenCL C
    .language_version:
      - 2
      - 0
    .max_flat_workgroup_size: 256
    .name:           _ZN9rocsparseL33gtsv_solve_spike_propagate_kernelILj256ELj4E21rocsparse_complex_numIfEEEviiiPT1_PKS3_S6_S6_
    .private_segment_fixed_size: 0
    .sgpr_count:     24
    .sgpr_spill_count: 0
    .symbol:         _ZN9rocsparseL33gtsv_solve_spike_propagate_kernelILj256ELj4E21rocsparse_complex_numIfEEEviiiPT1_PKS3_S6_S6_.kd
    .uniform_work_group_size: 1
    .uses_dynamic_stack: false
    .vgpr_count:     22
    .vgpr_spill_count: 0
    .wavefront_size: 64
  - .agpr_count:     0
    .args:
      - .offset:         0
        .size:           4
        .value_kind:     by_value
      - .offset:         4
        .size:           4
        .value_kind:     by_value
      - .offset:         8
        .size:           4
        .value_kind:     by_value
      - .address_space:  global
        .offset:         16
        .size:           8
        .value_kind:     global_buffer
      - .actual_access:  read_only
        .address_space:  global
        .offset:         24
        .size:           8
        .value_kind:     global_buffer
      - .actual_access:  read_only
        .address_space:  global
        .offset:         32
        .size:           8
        .value_kind:     global_buffer
    .group_segment_fixed_size: 0
    .kernarg_segment_align: 8
    .kernarg_segment_size: 40
    .language:       OpenCL C
    .language_version:
      - 2
      - 0
    .max_flat_workgroup_size: 256
    .name:           _ZN9rocsparseL39gtsv_spike_backward_substitution_kernelILj256ELj4E21rocsparse_complex_numIfEEEviiiPT1_PKS3_S6_
    .private_segment_fixed_size: 0
    .sgpr_count:     19
    .sgpr_spill_count: 0
    .symbol:         _ZN9rocsparseL39gtsv_spike_backward_substitution_kernelILj256ELj4E21rocsparse_complex_numIfEEEviiiPT1_PKS3_S6_.kd
    .uniform_work_group_size: 1
    .uses_dynamic_stack: false
    .vgpr_count:     26
    .vgpr_spill_count: 0
    .wavefront_size: 64
  - .agpr_count:     0
    .args:
      - .offset:         0
        .size:           4
        .value_kind:     by_value
      - .offset:         4
        .size:           4
        .value_kind:     by_value
      - .offset:         8
        .size:           4
        .value_kind:     by_value
      - .actual_access:  read_only
        .address_space:  global
        .offset:         16
        .size:           8
        .value_kind:     global_buffer
      - .actual_access:  write_only
        .address_space:  global
        .offset:         24
        .size:           8
        .value_kind:     global_buffer
    .group_segment_fixed_size: 0
    .kernarg_segment_align: 8
    .kernarg_segment_size: 32
    .language:       OpenCL C
    .language_version:
      - 2
      - 0
    .max_flat_workgroup_size: 256
    .name:           _ZN9rocsparseL32gtsv_transpose_back_array_kernelILj256ELj4E21rocsparse_complex_numIfEEEviiiPKT1_PS3_
    .private_segment_fixed_size: 0
    .sgpr_count:     18
    .sgpr_spill_count: 0
    .symbol:         _ZN9rocsparseL32gtsv_transpose_back_array_kernelILj256ELj4E21rocsparse_complex_numIfEEEviiiPKT1_PS3_.kd
    .uniform_work_group_size: 1
    .uses_dynamic_stack: false
    .vgpr_count:     5
    .vgpr_spill_count: 0
    .wavefront_size: 64
  - .agpr_count:     0
    .args:
      - .offset:         0
        .size:           4
        .value_kind:     by_value
      - .offset:         4
        .size:           4
        .value_kind:     by_value
      - .offset:         8
        .size:           4
        .value_kind:     by_value
      - .actual_access:  read_only
        .address_space:  global
        .offset:         16
        .size:           8
        .value_kind:     global_buffer
      - .actual_access:  write_only
        .address_space:  global
        .offset:         24
        .size:           8
        .value_kind:     global_buffer
      - .offset:         32
        .size:           8
        .value_kind:     by_value
    .group_segment_fixed_size: 2048
    .kernarg_segment_align: 8
    .kernarg_segment_size: 40
    .language:       OpenCL C
    .language_version:
      - 2
      - 0
    .max_flat_workgroup_size: 256
    .name:           _ZN9rocsparseL42gtsv_transpose_and_pad_array_shared_kernelILj256ELj8E21rocsparse_complex_numIfEEEviiiPKT1_PS3_S3_
    .private_segment_fixed_size: 0
    .sgpr_count:     18
    .sgpr_spill_count: 0
    .symbol:         _ZN9rocsparseL42gtsv_transpose_and_pad_array_shared_kernelILj256ELj8E21rocsparse_complex_numIfEEEviiiPKT1_PS3_S3_.kd
    .uniform_work_group_size: 1
    .uses_dynamic_stack: false
    .vgpr_count:     6
    .vgpr_spill_count: 0
    .wavefront_size: 64
  - .agpr_count:     0
    .args:
      - .offset:         0
        .size:           4
        .value_kind:     by_value
      - .offset:         4
        .size:           4
        .value_kind:     by_value
      - .offset:         8
        .size:           4
        .value_kind:     by_value
      - .actual_access:  read_only
        .address_space:  global
        .offset:         16
        .size:           8
        .value_kind:     global_buffer
      - .actual_access:  read_only
        .address_space:  global
        .offset:         24
        .size:           8
        .value_kind:     global_buffer
      - .actual_access:  read_only
        .address_space:  global
        .offset:         32
        .size:           8
        .value_kind:     global_buffer
      - .address_space:  global
        .offset:         40
        .size:           8
        .value_kind:     global_buffer
      - .address_space:  global
        .offset:         48
        .size:           8
        .value_kind:     global_buffer
      - .address_space:  global
        .offset:         56
        .size:           8
        .value_kind:     global_buffer
      - .address_space:  global
        .offset:         64
        .size:           8
        .value_kind:     global_buffer
    .group_segment_fixed_size: 0
    .kernarg_segment_align: 8
    .kernarg_segment_size: 72
    .language:       OpenCL C
    .language_version:
      - 2
      - 0
    .max_flat_workgroup_size: 256
    .name:           _ZN9rocsparseL18gtsv_LBM_wv_kernelILj256ELj8E21rocsparse_complex_numIfEEEviiiPKT1_S5_S5_PS3_S6_S6_Pi
    .private_segment_fixed_size: 0
    .sgpr_count:     41
    .sgpr_spill_count: 0
    .symbol:         _ZN9rocsparseL18gtsv_LBM_wv_kernelILj256ELj8E21rocsparse_complex_numIfEEEviiiPKT1_S5_S5_PS3_S6_S6_Pi.kd
    .uniform_work_group_size: 1
    .uses_dynamic_stack: false
    .vgpr_count:     68
    .vgpr_spill_count: 0
    .wavefront_size: 64
  - .agpr_count:     0
    .args:
      - .offset:         0
        .size:           4
        .value_kind:     by_value
      - .offset:         4
        .size:           4
        .value_kind:     by_value
      - .offset:         8
        .size:           4
        .value_kind:     by_value
      - .actual_access:  read_only
        .address_space:  global
        .offset:         16
        .size:           8
        .value_kind:     global_buffer
      - .actual_access:  read_only
        .address_space:  global
        .offset:         24
        .size:           8
        .value_kind:     global_buffer
      - .actual_access:  read_only
        .address_space:  global
        .offset:         32
        .size:           8
        .value_kind:     global_buffer
      - .address_space:  global
        .offset:         40
        .size:           8
        .value_kind:     global_buffer
      - .actual_access:  read_only
        .address_space:  global
        .offset:         48
        .size:           8
        .value_kind:     global_buffer
      - .actual_access:  read_only
        .address_space:  global
        .offset:         56
        .size:           8
        .value_kind:     global_buffer
    .group_segment_fixed_size: 0
    .kernarg_segment_align: 8
    .kernarg_segment_size: 64
    .language:       OpenCL C
    .language_version:
      - 2
      - 0
    .max_flat_workgroup_size: 256
    .name:           _ZN9rocsparseL19gtsv_LBM_rhs_kernelILj256ELj8ELj8E21rocsparse_complex_numIfEEEviiiPKT2_S5_S5_PS3_S5_PKi
    .private_segment_fixed_size: 0
    .sgpr_count:     43
    .sgpr_spill_count: 0
    .symbol:         _ZN9rocsparseL19gtsv_LBM_rhs_kernelILj256ELj8ELj8E21rocsparse_complex_numIfEEEviiiPKT2_S5_S5_PS3_S5_PKi.kd
    .uniform_work_group_size: 1
    .uses_dynamic_stack: false
    .vgpr_count:     120
    .vgpr_spill_count: 0
    .wavefront_size: 64
  - .agpr_count:     0
    .args:
      - .offset:         0
        .size:           4
        .value_kind:     by_value
      - .offset:         4
        .size:           4
        .value_kind:     by_value
      - .offset:         8
        .size:           4
        .value_kind:     by_value
      - .actual_access:  read_only
        .address_space:  global
        .offset:         16
        .size:           8
        .value_kind:     global_buffer
      - .actual_access:  read_only
        .address_space:  global
        .offset:         24
        .size:           8
        .value_kind:     global_buffer
      - .actual_access:  read_only
        .address_space:  global
        .offset:         32
        .size:           8
        .value_kind:     global_buffer
      - .address_space:  global
        .offset:         40
        .size:           8
        .value_kind:     global_buffer
      - .actual_access:  read_only
        .address_space:  global
        .offset:         48
        .size:           8
        .value_kind:     global_buffer
      - .actual_access:  read_only
        .address_space:  global
        .offset:         56
        .size:           8
        .value_kind:     global_buffer
    .group_segment_fixed_size: 0
    .kernarg_segment_align: 8
    .kernarg_segment_size: 64
    .language:       OpenCL C
    .language_version:
      - 2
      - 0
    .max_flat_workgroup_size: 256
    .name:           _ZN9rocsparseL19gtsv_LBM_rhs_kernelILj256ELj8ELj4E21rocsparse_complex_numIfEEEviiiPKT2_S5_S5_PS3_S5_PKi
    .private_segment_fixed_size: 0
    .sgpr_count:     38
    .sgpr_spill_count: 0
    .symbol:         _ZN9rocsparseL19gtsv_LBM_rhs_kernelILj256ELj8ELj4E21rocsparse_complex_numIfEEEviiiPKT2_S5_S5_PS3_S5_PKi.kd
    .uniform_work_group_size: 1
    .uses_dynamic_stack: false
    .vgpr_count:     76
    .vgpr_spill_count: 0
    .wavefront_size: 64
  - .agpr_count:     0
    .args:
      - .offset:         0
        .size:           4
        .value_kind:     by_value
      - .offset:         4
        .size:           4
        .value_kind:     by_value
      - .offset:         8
        .size:           4
        .value_kind:     by_value
      - .actual_access:  read_only
        .address_space:  global
        .offset:         16
        .size:           8
        .value_kind:     global_buffer
      - .actual_access:  read_only
        .address_space:  global
        .offset:         24
        .size:           8
        .value_kind:     global_buffer
      - .actual_access:  read_only
        .address_space:  global
        .offset:         32
        .size:           8
        .value_kind:     global_buffer
      - .address_space:  global
        .offset:         40
        .size:           8
        .value_kind:     global_buffer
      - .actual_access:  read_only
        .address_space:  global
        .offset:         48
        .size:           8
        .value_kind:     global_buffer
      - .actual_access:  read_only
        .address_space:  global
        .offset:         56
        .size:           8
        .value_kind:     global_buffer
    .group_segment_fixed_size: 0
    .kernarg_segment_align: 8
    .kernarg_segment_size: 64
    .language:       OpenCL C
    .language_version:
      - 2
      - 0
    .max_flat_workgroup_size: 256
    .name:           _ZN9rocsparseL19gtsv_LBM_rhs_kernelILj256ELj8ELj2E21rocsparse_complex_numIfEEEviiiPKT2_S5_S5_PS3_S5_PKi
    .private_segment_fixed_size: 0
    .sgpr_count:     36
    .sgpr_spill_count: 0
    .symbol:         _ZN9rocsparseL19gtsv_LBM_rhs_kernelILj256ELj8ELj2E21rocsparse_complex_numIfEEEviiiPKT2_S5_S5_PS3_S5_PKi.kd
    .uniform_work_group_size: 1
    .uses_dynamic_stack: false
    .vgpr_count:     66
    .vgpr_spill_count: 0
    .wavefront_size: 64
  - .agpr_count:     0
    .args:
      - .offset:         0
        .size:           4
        .value_kind:     by_value
      - .offset:         4
        .size:           4
        .value_kind:     by_value
      - .offset:         8
        .size:           4
        .value_kind:     by_value
      - .actual_access:  read_only
        .address_space:  global
        .offset:         16
        .size:           8
        .value_kind:     global_buffer
      - .actual_access:  read_only
        .address_space:  global
        .offset:         24
        .size:           8
        .value_kind:     global_buffer
      - .actual_access:  read_only
        .address_space:  global
        .offset:         32
        .size:           8
        .value_kind:     global_buffer
      - .address_space:  global
        .offset:         40
        .size:           8
        .value_kind:     global_buffer
      - .actual_access:  read_only
        .address_space:  global
        .offset:         48
        .size:           8
        .value_kind:     global_buffer
      - .actual_access:  read_only
        .address_space:  global
        .offset:         56
        .size:           8
        .value_kind:     global_buffer
    .group_segment_fixed_size: 0
    .kernarg_segment_align: 8
    .kernarg_segment_size: 64
    .language:       OpenCL C
    .language_version:
      - 2
      - 0
    .max_flat_workgroup_size: 256
    .name:           _ZN9rocsparseL19gtsv_LBM_rhs_kernelILj256ELj8ELj1E21rocsparse_complex_numIfEEEviiiPKT2_S5_S5_PS3_S5_PKi
    .private_segment_fixed_size: 0
    .sgpr_count:     34
    .sgpr_spill_count: 0
    .symbol:         _ZN9rocsparseL19gtsv_LBM_rhs_kernelILj256ELj8ELj1E21rocsparse_complex_numIfEEEviiiPKT2_S5_S5_PS3_S5_PKi.kd
    .uniform_work_group_size: 1
    .uses_dynamic_stack: false
    .vgpr_count:     46
    .vgpr_spill_count: 0
    .wavefront_size: 64
  - .agpr_count:     0
    .args:
      - .offset:         0
        .size:           4
        .value_kind:     by_value
      - .offset:         4
        .size:           4
        .value_kind:     by_value
      - .offset:         8
        .size:           4
        .value_kind:     by_value
      - .address_space:  global
        .offset:         16
        .size:           8
        .value_kind:     global_buffer
      - .actual_access:  read_only
        .address_space:  global
        .offset:         24
        .size:           8
        .value_kind:     global_buffer
      - .actual_access:  read_only
        .address_space:  global
        .offset:         32
        .size:           8
        .value_kind:     global_buffer
      - .actual_access:  write_only
        .address_space:  global
        .offset:         40
        .size:           8
        .value_kind:     global_buffer
      - .actual_access:  write_only
        .address_space:  global
        .offset:         48
        .size:           8
        .value_kind:     global_buffer
      - .actual_access:  write_only
        .address_space:  global
        .offset:         56
        .size:           8
        .value_kind:     global_buffer
      - .actual_access:  write_only
        .address_space:  global
        .offset:         64
        .size:           8
        .value_kind:     global_buffer
      - .actual_access:  write_only
        .address_space:  global
        .offset:         72
        .size:           8
        .value_kind:     global_buffer
      - .offset:         80
        .size:           4
        .value_kind:     hidden_block_count_x
      - .offset:         84
        .size:           4
        .value_kind:     hidden_block_count_y
      - .offset:         88
        .size:           4
        .value_kind:     hidden_block_count_z
      - .offset:         92
        .size:           2
        .value_kind:     hidden_group_size_x
      - .offset:         94
        .size:           2
        .value_kind:     hidden_group_size_y
      - .offset:         96
        .size:           2
        .value_kind:     hidden_group_size_z
      - .offset:         98
        .size:           2
        .value_kind:     hidden_remainder_x
      - .offset:         100
        .size:           2
        .value_kind:     hidden_remainder_y
      - .offset:         102
        .size:           2
        .value_kind:     hidden_remainder_z
      - .offset:         120
        .size:           8
        .value_kind:     hidden_global_offset_x
      - .offset:         128
        .size:           8
        .value_kind:     hidden_global_offset_y
      - .offset:         136
        .size:           8
        .value_kind:     hidden_global_offset_z
      - .offset:         144
        .size:           2
        .value_kind:     hidden_grid_dims
    .group_segment_fixed_size: 12288
    .kernarg_segment_align: 8
    .kernarg_segment_size: 336
    .language:       OpenCL C
    .language_version:
      - 2
      - 0
    .max_flat_workgroup_size: 256
    .name:           _ZN9rocsparseL29gtsv_spike_block_level_kernelILj256ELj8E21rocsparse_complex_numIfEEEviiiPT1_PKS3_S6_S4_S4_S4_S4_S4_
    .private_segment_fixed_size: 0
    .sgpr_count:     30
    .sgpr_spill_count: 0
    .symbol:         _ZN9rocsparseL29gtsv_spike_block_level_kernelILj256ELj8E21rocsparse_complex_numIfEEEviiiPT1_PKS3_S6_S4_S4_S4_S4_S4_.kd
    .uniform_work_group_size: 1
    .uses_dynamic_stack: false
    .vgpr_count:     50
    .vgpr_spill_count: 0
    .wavefront_size: 64
  - .agpr_count:     0
    .args:
      - .offset:         0
        .size:           4
        .value_kind:     by_value
      - .offset:         4
        .size:           4
        .value_kind:     by_value
      - .offset:         8
        .size:           4
        .value_kind:     by_value
      - .address_space:  global
        .offset:         16
        .size:           8
        .value_kind:     global_buffer
      - .actual_access:  read_only
        .address_space:  global
        .offset:         24
        .size:           8
        .value_kind:     global_buffer
      - .actual_access:  read_only
        .address_space:  global
        .offset:         32
        .size:           8
        .value_kind:     global_buffer
      - .actual_access:  read_only
        .address_space:  global
        .offset:         40
        .size:           8
        .value_kind:     global_buffer
      - .offset:         48
        .size:           4
        .value_kind:     hidden_block_count_x
      - .offset:         52
        .size:           4
        .value_kind:     hidden_block_count_y
      - .offset:         56
        .size:           4
        .value_kind:     hidden_block_count_z
      - .offset:         60
        .size:           2
        .value_kind:     hidden_group_size_x
      - .offset:         62
        .size:           2
        .value_kind:     hidden_group_size_y
      - .offset:         64
        .size:           2
        .value_kind:     hidden_group_size_z
      - .offset:         66
        .size:           2
        .value_kind:     hidden_remainder_x
      - .offset:         68
        .size:           2
        .value_kind:     hidden_remainder_y
      - .offset:         70
        .size:           2
        .value_kind:     hidden_remainder_z
      - .offset:         88
        .size:           8
        .value_kind:     hidden_global_offset_x
      - .offset:         96
        .size:           8
        .value_kind:     hidden_global_offset_y
      - .offset:         104
        .size:           8
        .value_kind:     hidden_global_offset_z
      - .offset:         112
        .size:           2
        .value_kind:     hidden_grid_dims
    .group_segment_fixed_size: 12304
    .kernarg_segment_align: 8
    .kernarg_segment_size: 304
    .language:       OpenCL C
    .language_version:
      - 2
      - 0
    .max_flat_workgroup_size: 256
    .name:           _ZN9rocsparseL33gtsv_solve_spike_propagate_kernelILj256ELj8E21rocsparse_complex_numIfEEEviiiPT1_PKS3_S6_S6_
    .private_segment_fixed_size: 0
    .sgpr_count:     24
    .sgpr_spill_count: 0
    .symbol:         _ZN9rocsparseL33gtsv_solve_spike_propagate_kernelILj256ELj8E21rocsparse_complex_numIfEEEviiiPT1_PKS3_S6_S6_.kd
    .uniform_work_group_size: 1
    .uses_dynamic_stack: false
    .vgpr_count:     22
    .vgpr_spill_count: 0
    .wavefront_size: 64
  - .agpr_count:     0
    .args:
      - .offset:         0
        .size:           4
        .value_kind:     by_value
      - .offset:         4
        .size:           4
        .value_kind:     by_value
      - .offset:         8
        .size:           4
        .value_kind:     by_value
      - .address_space:  global
        .offset:         16
        .size:           8
        .value_kind:     global_buffer
      - .actual_access:  read_only
        .address_space:  global
        .offset:         24
        .size:           8
        .value_kind:     global_buffer
      - .actual_access:  read_only
        .address_space:  global
        .offset:         32
        .size:           8
        .value_kind:     global_buffer
    .group_segment_fixed_size: 0
    .kernarg_segment_align: 8
    .kernarg_segment_size: 40
    .language:       OpenCL C
    .language_version:
      - 2
      - 0
    .max_flat_workgroup_size: 256
    .name:           _ZN9rocsparseL39gtsv_spike_backward_substitution_kernelILj256ELj8E21rocsparse_complex_numIfEEEviiiPT1_PKS3_S6_
    .private_segment_fixed_size: 0
    .sgpr_count:     19
    .sgpr_spill_count: 0
    .symbol:         _ZN9rocsparseL39gtsv_spike_backward_substitution_kernelILj256ELj8E21rocsparse_complex_numIfEEEviiiPT1_PKS3_S6_.kd
    .uniform_work_group_size: 1
    .uses_dynamic_stack: false
    .vgpr_count:     28
    .vgpr_spill_count: 0
    .wavefront_size: 64
  - .agpr_count:     0
    .args:
      - .offset:         0
        .size:           4
        .value_kind:     by_value
      - .offset:         4
        .size:           4
        .value_kind:     by_value
      - .offset:         8
        .size:           4
        .value_kind:     by_value
      - .actual_access:  read_only
        .address_space:  global
        .offset:         16
        .size:           8
        .value_kind:     global_buffer
      - .actual_access:  write_only
        .address_space:  global
        .offset:         24
        .size:           8
        .value_kind:     global_buffer
    .group_segment_fixed_size: 0
    .kernarg_segment_align: 8
    .kernarg_segment_size: 32
    .language:       OpenCL C
    .language_version:
      - 2
      - 0
    .max_flat_workgroup_size: 256
    .name:           _ZN9rocsparseL32gtsv_transpose_back_array_kernelILj256ELj8E21rocsparse_complex_numIfEEEviiiPKT1_PS3_
    .private_segment_fixed_size: 0
    .sgpr_count:     18
    .sgpr_spill_count: 0
    .symbol:         _ZN9rocsparseL32gtsv_transpose_back_array_kernelILj256ELj8E21rocsparse_complex_numIfEEEviiiPKT1_PS3_.kd
    .uniform_work_group_size: 1
    .uses_dynamic_stack: false
    .vgpr_count:     5
    .vgpr_spill_count: 0
    .wavefront_size: 64
  - .agpr_count:     0
    .args:
      - .offset:         0
        .size:           4
        .value_kind:     by_value
      - .offset:         4
        .size:           4
        .value_kind:     by_value
      - .offset:         8
        .size:           4
        .value_kind:     by_value
      - .actual_access:  read_only
        .address_space:  global
        .offset:         16
        .size:           8
        .value_kind:     global_buffer
      - .actual_access:  write_only
        .address_space:  global
        .offset:         24
        .size:           8
        .value_kind:     global_buffer
      - .offset:         32
        .size:           8
        .value_kind:     by_value
    .group_segment_fixed_size: 2048
    .kernarg_segment_align: 8
    .kernarg_segment_size: 40
    .language:       OpenCL C
    .language_version:
      - 2
      - 0
    .max_flat_workgroup_size: 256
    .name:           _ZN9rocsparseL42gtsv_transpose_and_pad_array_shared_kernelILj256ELj16E21rocsparse_complex_numIfEEEviiiPKT1_PS3_S3_
    .private_segment_fixed_size: 0
    .sgpr_count:     18
    .sgpr_spill_count: 0
    .symbol:         _ZN9rocsparseL42gtsv_transpose_and_pad_array_shared_kernelILj256ELj16E21rocsparse_complex_numIfEEEviiiPKT1_PS3_S3_.kd
    .uniform_work_group_size: 1
    .uses_dynamic_stack: false
    .vgpr_count:     6
    .vgpr_spill_count: 0
    .wavefront_size: 64
  - .agpr_count:     0
    .args:
      - .offset:         0
        .size:           4
        .value_kind:     by_value
      - .offset:         4
        .size:           4
        .value_kind:     by_value
      - .offset:         8
        .size:           4
        .value_kind:     by_value
      - .actual_access:  read_only
        .address_space:  global
        .offset:         16
        .size:           8
        .value_kind:     global_buffer
      - .actual_access:  read_only
        .address_space:  global
        .offset:         24
        .size:           8
        .value_kind:     global_buffer
      - .actual_access:  read_only
        .address_space:  global
        .offset:         32
        .size:           8
        .value_kind:     global_buffer
      - .address_space:  global
        .offset:         40
        .size:           8
        .value_kind:     global_buffer
      - .address_space:  global
        .offset:         48
        .size:           8
        .value_kind:     global_buffer
      - .address_space:  global
        .offset:         56
        .size:           8
        .value_kind:     global_buffer
      - .address_space:  global
        .offset:         64
        .size:           8
        .value_kind:     global_buffer
    .group_segment_fixed_size: 0
    .kernarg_segment_align: 8
    .kernarg_segment_size: 72
    .language:       OpenCL C
    .language_version:
      - 2
      - 0
    .max_flat_workgroup_size: 256
    .name:           _ZN9rocsparseL18gtsv_LBM_wv_kernelILj256ELj16E21rocsparse_complex_numIfEEEviiiPKT1_S5_S5_PS3_S6_S6_Pi
    .private_segment_fixed_size: 0
    .sgpr_count:     41
    .sgpr_spill_count: 0
    .symbol:         _ZN9rocsparseL18gtsv_LBM_wv_kernelILj256ELj16E21rocsparse_complex_numIfEEEviiiPKT1_S5_S5_PS3_S6_S6_Pi.kd
    .uniform_work_group_size: 1
    .uses_dynamic_stack: false
    .vgpr_count:     68
    .vgpr_spill_count: 0
    .wavefront_size: 64
  - .agpr_count:     0
    .args:
      - .offset:         0
        .size:           4
        .value_kind:     by_value
      - .offset:         4
        .size:           4
        .value_kind:     by_value
      - .offset:         8
        .size:           4
        .value_kind:     by_value
      - .actual_access:  read_only
        .address_space:  global
        .offset:         16
        .size:           8
        .value_kind:     global_buffer
      - .actual_access:  read_only
        .address_space:  global
        .offset:         24
        .size:           8
        .value_kind:     global_buffer
      - .actual_access:  read_only
        .address_space:  global
        .offset:         32
        .size:           8
        .value_kind:     global_buffer
      - .address_space:  global
        .offset:         40
        .size:           8
        .value_kind:     global_buffer
      - .actual_access:  read_only
        .address_space:  global
        .offset:         48
        .size:           8
        .value_kind:     global_buffer
      - .actual_access:  read_only
        .address_space:  global
        .offset:         56
        .size:           8
        .value_kind:     global_buffer
    .group_segment_fixed_size: 0
    .kernarg_segment_align: 8
    .kernarg_segment_size: 64
    .language:       OpenCL C
    .language_version:
      - 2
      - 0
    .max_flat_workgroup_size: 256
    .name:           _ZN9rocsparseL19gtsv_LBM_rhs_kernelILj256ELj16ELj8E21rocsparse_complex_numIfEEEviiiPKT2_S5_S5_PS3_S5_PKi
    .private_segment_fixed_size: 0
    .sgpr_count:     43
    .sgpr_spill_count: 0
    .symbol:         _ZN9rocsparseL19gtsv_LBM_rhs_kernelILj256ELj16ELj8E21rocsparse_complex_numIfEEEviiiPKT2_S5_S5_PS3_S5_PKi.kd
    .uniform_work_group_size: 1
    .uses_dynamic_stack: false
    .vgpr_count:     120
    .vgpr_spill_count: 0
    .wavefront_size: 64
  - .agpr_count:     0
    .args:
      - .offset:         0
        .size:           4
        .value_kind:     by_value
      - .offset:         4
        .size:           4
        .value_kind:     by_value
      - .offset:         8
        .size:           4
        .value_kind:     by_value
      - .actual_access:  read_only
        .address_space:  global
        .offset:         16
        .size:           8
        .value_kind:     global_buffer
      - .actual_access:  read_only
        .address_space:  global
        .offset:         24
        .size:           8
        .value_kind:     global_buffer
      - .actual_access:  read_only
        .address_space:  global
        .offset:         32
        .size:           8
        .value_kind:     global_buffer
      - .address_space:  global
        .offset:         40
        .size:           8
        .value_kind:     global_buffer
      - .actual_access:  read_only
        .address_space:  global
        .offset:         48
        .size:           8
        .value_kind:     global_buffer
      - .actual_access:  read_only
        .address_space:  global
        .offset:         56
        .size:           8
        .value_kind:     global_buffer
    .group_segment_fixed_size: 0
    .kernarg_segment_align: 8
    .kernarg_segment_size: 64
    .language:       OpenCL C
    .language_version:
      - 2
      - 0
    .max_flat_workgroup_size: 256
    .name:           _ZN9rocsparseL19gtsv_LBM_rhs_kernelILj256ELj16ELj4E21rocsparse_complex_numIfEEEviiiPKT2_S5_S5_PS3_S5_PKi
    .private_segment_fixed_size: 0
    .sgpr_count:     38
    .sgpr_spill_count: 0
    .symbol:         _ZN9rocsparseL19gtsv_LBM_rhs_kernelILj256ELj16ELj4E21rocsparse_complex_numIfEEEviiiPKT2_S5_S5_PS3_S5_PKi.kd
    .uniform_work_group_size: 1
    .uses_dynamic_stack: false
    .vgpr_count:     76
    .vgpr_spill_count: 0
    .wavefront_size: 64
  - .agpr_count:     0
    .args:
      - .offset:         0
        .size:           4
        .value_kind:     by_value
      - .offset:         4
        .size:           4
        .value_kind:     by_value
      - .offset:         8
        .size:           4
        .value_kind:     by_value
      - .actual_access:  read_only
        .address_space:  global
        .offset:         16
        .size:           8
        .value_kind:     global_buffer
      - .actual_access:  read_only
        .address_space:  global
        .offset:         24
        .size:           8
        .value_kind:     global_buffer
      - .actual_access:  read_only
        .address_space:  global
        .offset:         32
        .size:           8
        .value_kind:     global_buffer
      - .address_space:  global
        .offset:         40
        .size:           8
        .value_kind:     global_buffer
      - .actual_access:  read_only
        .address_space:  global
        .offset:         48
        .size:           8
        .value_kind:     global_buffer
      - .actual_access:  read_only
        .address_space:  global
        .offset:         56
        .size:           8
        .value_kind:     global_buffer
    .group_segment_fixed_size: 0
    .kernarg_segment_align: 8
    .kernarg_segment_size: 64
    .language:       OpenCL C
    .language_version:
      - 2
      - 0
    .max_flat_workgroup_size: 256
    .name:           _ZN9rocsparseL19gtsv_LBM_rhs_kernelILj256ELj16ELj2E21rocsparse_complex_numIfEEEviiiPKT2_S5_S5_PS3_S5_PKi
    .private_segment_fixed_size: 0
    .sgpr_count:     36
    .sgpr_spill_count: 0
    .symbol:         _ZN9rocsparseL19gtsv_LBM_rhs_kernelILj256ELj16ELj2E21rocsparse_complex_numIfEEEviiiPKT2_S5_S5_PS3_S5_PKi.kd
    .uniform_work_group_size: 1
    .uses_dynamic_stack: false
    .vgpr_count:     66
    .vgpr_spill_count: 0
    .wavefront_size: 64
  - .agpr_count:     0
    .args:
      - .offset:         0
        .size:           4
        .value_kind:     by_value
      - .offset:         4
        .size:           4
        .value_kind:     by_value
      - .offset:         8
        .size:           4
        .value_kind:     by_value
      - .actual_access:  read_only
        .address_space:  global
        .offset:         16
        .size:           8
        .value_kind:     global_buffer
      - .actual_access:  read_only
        .address_space:  global
        .offset:         24
        .size:           8
        .value_kind:     global_buffer
      - .actual_access:  read_only
        .address_space:  global
        .offset:         32
        .size:           8
        .value_kind:     global_buffer
      - .address_space:  global
        .offset:         40
        .size:           8
        .value_kind:     global_buffer
      - .actual_access:  read_only
        .address_space:  global
        .offset:         48
        .size:           8
        .value_kind:     global_buffer
      - .actual_access:  read_only
        .address_space:  global
        .offset:         56
        .size:           8
        .value_kind:     global_buffer
    .group_segment_fixed_size: 0
    .kernarg_segment_align: 8
    .kernarg_segment_size: 64
    .language:       OpenCL C
    .language_version:
      - 2
      - 0
    .max_flat_workgroup_size: 256
    .name:           _ZN9rocsparseL19gtsv_LBM_rhs_kernelILj256ELj16ELj1E21rocsparse_complex_numIfEEEviiiPKT2_S5_S5_PS3_S5_PKi
    .private_segment_fixed_size: 0
    .sgpr_count:     34
    .sgpr_spill_count: 0
    .symbol:         _ZN9rocsparseL19gtsv_LBM_rhs_kernelILj256ELj16ELj1E21rocsparse_complex_numIfEEEviiiPKT2_S5_S5_PS3_S5_PKi.kd
    .uniform_work_group_size: 1
    .uses_dynamic_stack: false
    .vgpr_count:     46
    .vgpr_spill_count: 0
    .wavefront_size: 64
  - .agpr_count:     0
    .args:
      - .offset:         0
        .size:           4
        .value_kind:     by_value
      - .offset:         4
        .size:           4
        .value_kind:     by_value
      - .offset:         8
        .size:           4
        .value_kind:     by_value
      - .address_space:  global
        .offset:         16
        .size:           8
        .value_kind:     global_buffer
      - .actual_access:  read_only
        .address_space:  global
        .offset:         24
        .size:           8
        .value_kind:     global_buffer
      - .actual_access:  read_only
        .address_space:  global
        .offset:         32
        .size:           8
        .value_kind:     global_buffer
      - .actual_access:  write_only
        .address_space:  global
        .offset:         40
        .size:           8
        .value_kind:     global_buffer
      - .actual_access:  write_only
        .address_space:  global
        .offset:         48
        .size:           8
        .value_kind:     global_buffer
      - .actual_access:  write_only
        .address_space:  global
        .offset:         56
        .size:           8
        .value_kind:     global_buffer
      - .actual_access:  write_only
        .address_space:  global
        .offset:         64
        .size:           8
        .value_kind:     global_buffer
      - .actual_access:  write_only
        .address_space:  global
        .offset:         72
        .size:           8
        .value_kind:     global_buffer
      - .offset:         80
        .size:           4
        .value_kind:     hidden_block_count_x
      - .offset:         84
        .size:           4
        .value_kind:     hidden_block_count_y
      - .offset:         88
        .size:           4
        .value_kind:     hidden_block_count_z
      - .offset:         92
        .size:           2
        .value_kind:     hidden_group_size_x
      - .offset:         94
        .size:           2
        .value_kind:     hidden_group_size_y
      - .offset:         96
        .size:           2
        .value_kind:     hidden_group_size_z
      - .offset:         98
        .size:           2
        .value_kind:     hidden_remainder_x
      - .offset:         100
        .size:           2
        .value_kind:     hidden_remainder_y
      - .offset:         102
        .size:           2
        .value_kind:     hidden_remainder_z
      - .offset:         120
        .size:           8
        .value_kind:     hidden_global_offset_x
      - .offset:         128
        .size:           8
        .value_kind:     hidden_global_offset_y
      - .offset:         136
        .size:           8
        .value_kind:     hidden_global_offset_z
      - .offset:         144
        .size:           2
        .value_kind:     hidden_grid_dims
    .group_segment_fixed_size: 12288
    .kernarg_segment_align: 8
    .kernarg_segment_size: 336
    .language:       OpenCL C
    .language_version:
      - 2
      - 0
    .max_flat_workgroup_size: 256
    .name:           _ZN9rocsparseL29gtsv_spike_block_level_kernelILj256ELj16E21rocsparse_complex_numIfEEEviiiPT1_PKS3_S6_S4_S4_S4_S4_S4_
    .private_segment_fixed_size: 0
    .sgpr_count:     30
    .sgpr_spill_count: 0
    .symbol:         _ZN9rocsparseL29gtsv_spike_block_level_kernelILj256ELj16E21rocsparse_complex_numIfEEEviiiPT1_PKS3_S6_S4_S4_S4_S4_S4_.kd
    .uniform_work_group_size: 1
    .uses_dynamic_stack: false
    .vgpr_count:     50
    .vgpr_spill_count: 0
    .wavefront_size: 64
  - .agpr_count:     0
    .args:
      - .offset:         0
        .size:           4
        .value_kind:     by_value
      - .offset:         4
        .size:           4
        .value_kind:     by_value
      - .offset:         8
        .size:           4
        .value_kind:     by_value
      - .address_space:  global
        .offset:         16
        .size:           8
        .value_kind:     global_buffer
      - .actual_access:  read_only
        .address_space:  global
        .offset:         24
        .size:           8
        .value_kind:     global_buffer
      - .actual_access:  read_only
        .address_space:  global
        .offset:         32
        .size:           8
        .value_kind:     global_buffer
      - .actual_access:  read_only
        .address_space:  global
        .offset:         40
        .size:           8
        .value_kind:     global_buffer
      - .offset:         48
        .size:           4
        .value_kind:     hidden_block_count_x
      - .offset:         52
        .size:           4
        .value_kind:     hidden_block_count_y
      - .offset:         56
        .size:           4
        .value_kind:     hidden_block_count_z
      - .offset:         60
        .size:           2
        .value_kind:     hidden_group_size_x
      - .offset:         62
        .size:           2
        .value_kind:     hidden_group_size_y
      - .offset:         64
        .size:           2
        .value_kind:     hidden_group_size_z
      - .offset:         66
        .size:           2
        .value_kind:     hidden_remainder_x
      - .offset:         68
        .size:           2
        .value_kind:     hidden_remainder_y
      - .offset:         70
        .size:           2
        .value_kind:     hidden_remainder_z
      - .offset:         88
        .size:           8
        .value_kind:     hidden_global_offset_x
      - .offset:         96
        .size:           8
        .value_kind:     hidden_global_offset_y
      - .offset:         104
        .size:           8
        .value_kind:     hidden_global_offset_z
      - .offset:         112
        .size:           2
        .value_kind:     hidden_grid_dims
    .group_segment_fixed_size: 12304
    .kernarg_segment_align: 8
    .kernarg_segment_size: 304
    .language:       OpenCL C
    .language_version:
      - 2
      - 0
    .max_flat_workgroup_size: 256
    .name:           _ZN9rocsparseL33gtsv_solve_spike_propagate_kernelILj256ELj16E21rocsparse_complex_numIfEEEviiiPT1_PKS3_S6_S6_
    .private_segment_fixed_size: 0
    .sgpr_count:     24
    .sgpr_spill_count: 0
    .symbol:         _ZN9rocsparseL33gtsv_solve_spike_propagate_kernelILj256ELj16E21rocsparse_complex_numIfEEEviiiPT1_PKS3_S6_S6_.kd
    .uniform_work_group_size: 1
    .uses_dynamic_stack: false
    .vgpr_count:     22
    .vgpr_spill_count: 0
    .wavefront_size: 64
  - .agpr_count:     0
    .args:
      - .offset:         0
        .size:           4
        .value_kind:     by_value
      - .offset:         4
        .size:           4
        .value_kind:     by_value
      - .offset:         8
        .size:           4
        .value_kind:     by_value
      - .address_space:  global
        .offset:         16
        .size:           8
        .value_kind:     global_buffer
      - .actual_access:  read_only
        .address_space:  global
        .offset:         24
        .size:           8
        .value_kind:     global_buffer
      - .actual_access:  read_only
        .address_space:  global
        .offset:         32
        .size:           8
        .value_kind:     global_buffer
    .group_segment_fixed_size: 0
    .kernarg_segment_align: 8
    .kernarg_segment_size: 40
    .language:       OpenCL C
    .language_version:
      - 2
      - 0
    .max_flat_workgroup_size: 256
    .name:           _ZN9rocsparseL39gtsv_spike_backward_substitution_kernelILj256ELj16E21rocsparse_complex_numIfEEEviiiPT1_PKS3_S6_
    .private_segment_fixed_size: 0
    .sgpr_count:     18
    .sgpr_spill_count: 0
    .symbol:         _ZN9rocsparseL39gtsv_spike_backward_substitution_kernelILj256ELj16E21rocsparse_complex_numIfEEEviiiPT1_PKS3_S6_.kd
    .uniform_work_group_size: 1
    .uses_dynamic_stack: false
    .vgpr_count:     32
    .vgpr_spill_count: 0
    .wavefront_size: 64
  - .agpr_count:     0
    .args:
      - .offset:         0
        .size:           4
        .value_kind:     by_value
      - .offset:         4
        .size:           4
        .value_kind:     by_value
      - .offset:         8
        .size:           4
        .value_kind:     by_value
      - .actual_access:  read_only
        .address_space:  global
        .offset:         16
        .size:           8
        .value_kind:     global_buffer
      - .actual_access:  write_only
        .address_space:  global
        .offset:         24
        .size:           8
        .value_kind:     global_buffer
    .group_segment_fixed_size: 0
    .kernarg_segment_align: 8
    .kernarg_segment_size: 32
    .language:       OpenCL C
    .language_version:
      - 2
      - 0
    .max_flat_workgroup_size: 256
    .name:           _ZN9rocsparseL32gtsv_transpose_back_array_kernelILj256ELj16E21rocsparse_complex_numIfEEEviiiPKT1_PS3_
    .private_segment_fixed_size: 0
    .sgpr_count:     18
    .sgpr_spill_count: 0
    .symbol:         _ZN9rocsparseL32gtsv_transpose_back_array_kernelILj256ELj16E21rocsparse_complex_numIfEEEviiiPKT1_PS3_.kd
    .uniform_work_group_size: 1
    .uses_dynamic_stack: false
    .vgpr_count:     5
    .vgpr_spill_count: 0
    .wavefront_size: 64
  - .agpr_count:     0
    .args:
      - .offset:         0
        .size:           4
        .value_kind:     by_value
      - .offset:         4
        .size:           4
        .value_kind:     by_value
      - .offset:         8
        .size:           4
        .value_kind:     by_value
      - .actual_access:  read_only
        .address_space:  global
        .offset:         16
        .size:           8
        .value_kind:     global_buffer
      - .actual_access:  write_only
        .address_space:  global
        .offset:         24
        .size:           8
        .value_kind:     global_buffer
      - .offset:         32
        .size:           8
        .value_kind:     by_value
    .group_segment_fixed_size: 2048
    .kernarg_segment_align: 8
    .kernarg_segment_size: 40
    .language:       OpenCL C
    .language_version:
      - 2
      - 0
    .max_flat_workgroup_size: 256
    .name:           _ZN9rocsparseL42gtsv_transpose_and_pad_array_shared_kernelILj256ELj32E21rocsparse_complex_numIfEEEviiiPKT1_PS3_S3_
    .private_segment_fixed_size: 0
    .sgpr_count:     18
    .sgpr_spill_count: 0
    .symbol:         _ZN9rocsparseL42gtsv_transpose_and_pad_array_shared_kernelILj256ELj32E21rocsparse_complex_numIfEEEviiiPKT1_PS3_S3_.kd
    .uniform_work_group_size: 1
    .uses_dynamic_stack: false
    .vgpr_count:     6
    .vgpr_spill_count: 0
    .wavefront_size: 64
  - .agpr_count:     0
    .args:
      - .offset:         0
        .size:           4
        .value_kind:     by_value
      - .offset:         4
        .size:           4
        .value_kind:     by_value
      - .offset:         8
        .size:           4
        .value_kind:     by_value
      - .actual_access:  read_only
        .address_space:  global
        .offset:         16
        .size:           8
        .value_kind:     global_buffer
      - .actual_access:  read_only
        .address_space:  global
        .offset:         24
        .size:           8
        .value_kind:     global_buffer
      - .actual_access:  read_only
        .address_space:  global
        .offset:         32
        .size:           8
        .value_kind:     global_buffer
      - .address_space:  global
        .offset:         40
        .size:           8
        .value_kind:     global_buffer
      - .address_space:  global
        .offset:         48
        .size:           8
        .value_kind:     global_buffer
      - .address_space:  global
        .offset:         56
        .size:           8
        .value_kind:     global_buffer
      - .address_space:  global
        .offset:         64
        .size:           8
        .value_kind:     global_buffer
    .group_segment_fixed_size: 0
    .kernarg_segment_align: 8
    .kernarg_segment_size: 72
    .language:       OpenCL C
    .language_version:
      - 2
      - 0
    .max_flat_workgroup_size: 256
    .name:           _ZN9rocsparseL18gtsv_LBM_wv_kernelILj256ELj32E21rocsparse_complex_numIfEEEviiiPKT1_S5_S5_PS3_S6_S6_Pi
    .private_segment_fixed_size: 0
    .sgpr_count:     41
    .sgpr_spill_count: 0
    .symbol:         _ZN9rocsparseL18gtsv_LBM_wv_kernelILj256ELj32E21rocsparse_complex_numIfEEEviiiPKT1_S5_S5_PS3_S6_S6_Pi.kd
    .uniform_work_group_size: 1
    .uses_dynamic_stack: false
    .vgpr_count:     68
    .vgpr_spill_count: 0
    .wavefront_size: 64
  - .agpr_count:     0
    .args:
      - .offset:         0
        .size:           4
        .value_kind:     by_value
      - .offset:         4
        .size:           4
        .value_kind:     by_value
      - .offset:         8
        .size:           4
        .value_kind:     by_value
      - .actual_access:  read_only
        .address_space:  global
        .offset:         16
        .size:           8
        .value_kind:     global_buffer
      - .actual_access:  read_only
        .address_space:  global
        .offset:         24
        .size:           8
        .value_kind:     global_buffer
      - .actual_access:  read_only
        .address_space:  global
        .offset:         32
        .size:           8
        .value_kind:     global_buffer
      - .address_space:  global
        .offset:         40
        .size:           8
        .value_kind:     global_buffer
      - .actual_access:  read_only
        .address_space:  global
        .offset:         48
        .size:           8
        .value_kind:     global_buffer
      - .actual_access:  read_only
        .address_space:  global
        .offset:         56
        .size:           8
        .value_kind:     global_buffer
    .group_segment_fixed_size: 0
    .kernarg_segment_align: 8
    .kernarg_segment_size: 64
    .language:       OpenCL C
    .language_version:
      - 2
      - 0
    .max_flat_workgroup_size: 256
    .name:           _ZN9rocsparseL19gtsv_LBM_rhs_kernelILj256ELj32ELj8E21rocsparse_complex_numIfEEEviiiPKT2_S5_S5_PS3_S5_PKi
    .private_segment_fixed_size: 0
    .sgpr_count:     43
    .sgpr_spill_count: 0
    .symbol:         _ZN9rocsparseL19gtsv_LBM_rhs_kernelILj256ELj32ELj8E21rocsparse_complex_numIfEEEviiiPKT2_S5_S5_PS3_S5_PKi.kd
    .uniform_work_group_size: 1
    .uses_dynamic_stack: false
    .vgpr_count:     120
    .vgpr_spill_count: 0
    .wavefront_size: 64
  - .agpr_count:     0
    .args:
      - .offset:         0
        .size:           4
        .value_kind:     by_value
      - .offset:         4
        .size:           4
        .value_kind:     by_value
      - .offset:         8
        .size:           4
        .value_kind:     by_value
      - .actual_access:  read_only
        .address_space:  global
        .offset:         16
        .size:           8
        .value_kind:     global_buffer
      - .actual_access:  read_only
        .address_space:  global
        .offset:         24
        .size:           8
        .value_kind:     global_buffer
      - .actual_access:  read_only
        .address_space:  global
        .offset:         32
        .size:           8
        .value_kind:     global_buffer
      - .address_space:  global
        .offset:         40
        .size:           8
        .value_kind:     global_buffer
      - .actual_access:  read_only
        .address_space:  global
        .offset:         48
        .size:           8
        .value_kind:     global_buffer
      - .actual_access:  read_only
        .address_space:  global
        .offset:         56
        .size:           8
        .value_kind:     global_buffer
    .group_segment_fixed_size: 0
    .kernarg_segment_align: 8
    .kernarg_segment_size: 64
    .language:       OpenCL C
    .language_version:
      - 2
      - 0
    .max_flat_workgroup_size: 256
    .name:           _ZN9rocsparseL19gtsv_LBM_rhs_kernelILj256ELj32ELj4E21rocsparse_complex_numIfEEEviiiPKT2_S5_S5_PS3_S5_PKi
    .private_segment_fixed_size: 0
    .sgpr_count:     38
    .sgpr_spill_count: 0
    .symbol:         _ZN9rocsparseL19gtsv_LBM_rhs_kernelILj256ELj32ELj4E21rocsparse_complex_numIfEEEviiiPKT2_S5_S5_PS3_S5_PKi.kd
    .uniform_work_group_size: 1
    .uses_dynamic_stack: false
    .vgpr_count:     76
    .vgpr_spill_count: 0
    .wavefront_size: 64
  - .agpr_count:     0
    .args:
      - .offset:         0
        .size:           4
        .value_kind:     by_value
      - .offset:         4
        .size:           4
        .value_kind:     by_value
      - .offset:         8
        .size:           4
        .value_kind:     by_value
      - .actual_access:  read_only
        .address_space:  global
        .offset:         16
        .size:           8
        .value_kind:     global_buffer
      - .actual_access:  read_only
        .address_space:  global
        .offset:         24
        .size:           8
        .value_kind:     global_buffer
      - .actual_access:  read_only
        .address_space:  global
        .offset:         32
        .size:           8
        .value_kind:     global_buffer
      - .address_space:  global
        .offset:         40
        .size:           8
        .value_kind:     global_buffer
      - .actual_access:  read_only
        .address_space:  global
        .offset:         48
        .size:           8
        .value_kind:     global_buffer
      - .actual_access:  read_only
        .address_space:  global
        .offset:         56
        .size:           8
        .value_kind:     global_buffer
    .group_segment_fixed_size: 0
    .kernarg_segment_align: 8
    .kernarg_segment_size: 64
    .language:       OpenCL C
    .language_version:
      - 2
      - 0
    .max_flat_workgroup_size: 256
    .name:           _ZN9rocsparseL19gtsv_LBM_rhs_kernelILj256ELj32ELj2E21rocsparse_complex_numIfEEEviiiPKT2_S5_S5_PS3_S5_PKi
    .private_segment_fixed_size: 0
    .sgpr_count:     36
    .sgpr_spill_count: 0
    .symbol:         _ZN9rocsparseL19gtsv_LBM_rhs_kernelILj256ELj32ELj2E21rocsparse_complex_numIfEEEviiiPKT2_S5_S5_PS3_S5_PKi.kd
    .uniform_work_group_size: 1
    .uses_dynamic_stack: false
    .vgpr_count:     66
    .vgpr_spill_count: 0
    .wavefront_size: 64
  - .agpr_count:     0
    .args:
      - .offset:         0
        .size:           4
        .value_kind:     by_value
      - .offset:         4
        .size:           4
        .value_kind:     by_value
      - .offset:         8
        .size:           4
        .value_kind:     by_value
      - .actual_access:  read_only
        .address_space:  global
        .offset:         16
        .size:           8
        .value_kind:     global_buffer
      - .actual_access:  read_only
        .address_space:  global
        .offset:         24
        .size:           8
        .value_kind:     global_buffer
      - .actual_access:  read_only
        .address_space:  global
        .offset:         32
        .size:           8
        .value_kind:     global_buffer
      - .address_space:  global
        .offset:         40
        .size:           8
        .value_kind:     global_buffer
      - .actual_access:  read_only
        .address_space:  global
        .offset:         48
        .size:           8
        .value_kind:     global_buffer
      - .actual_access:  read_only
        .address_space:  global
        .offset:         56
        .size:           8
        .value_kind:     global_buffer
    .group_segment_fixed_size: 0
    .kernarg_segment_align: 8
    .kernarg_segment_size: 64
    .language:       OpenCL C
    .language_version:
      - 2
      - 0
    .max_flat_workgroup_size: 256
    .name:           _ZN9rocsparseL19gtsv_LBM_rhs_kernelILj256ELj32ELj1E21rocsparse_complex_numIfEEEviiiPKT2_S5_S5_PS3_S5_PKi
    .private_segment_fixed_size: 0
    .sgpr_count:     34
    .sgpr_spill_count: 0
    .symbol:         _ZN9rocsparseL19gtsv_LBM_rhs_kernelILj256ELj32ELj1E21rocsparse_complex_numIfEEEviiiPKT2_S5_S5_PS3_S5_PKi.kd
    .uniform_work_group_size: 1
    .uses_dynamic_stack: false
    .vgpr_count:     46
    .vgpr_spill_count: 0
    .wavefront_size: 64
  - .agpr_count:     0
    .args:
      - .offset:         0
        .size:           4
        .value_kind:     by_value
      - .offset:         4
        .size:           4
        .value_kind:     by_value
      - .offset:         8
        .size:           4
        .value_kind:     by_value
      - .address_space:  global
        .offset:         16
        .size:           8
        .value_kind:     global_buffer
      - .actual_access:  read_only
        .address_space:  global
        .offset:         24
        .size:           8
        .value_kind:     global_buffer
      - .actual_access:  read_only
        .address_space:  global
        .offset:         32
        .size:           8
        .value_kind:     global_buffer
      - .actual_access:  write_only
        .address_space:  global
        .offset:         40
        .size:           8
        .value_kind:     global_buffer
      - .actual_access:  write_only
        .address_space:  global
        .offset:         48
        .size:           8
        .value_kind:     global_buffer
      - .actual_access:  write_only
        .address_space:  global
        .offset:         56
        .size:           8
        .value_kind:     global_buffer
      - .actual_access:  write_only
        .address_space:  global
        .offset:         64
        .size:           8
        .value_kind:     global_buffer
      - .actual_access:  write_only
        .address_space:  global
        .offset:         72
        .size:           8
        .value_kind:     global_buffer
      - .offset:         80
        .size:           4
        .value_kind:     hidden_block_count_x
      - .offset:         84
        .size:           4
        .value_kind:     hidden_block_count_y
      - .offset:         88
        .size:           4
        .value_kind:     hidden_block_count_z
      - .offset:         92
        .size:           2
        .value_kind:     hidden_group_size_x
      - .offset:         94
        .size:           2
        .value_kind:     hidden_group_size_y
      - .offset:         96
        .size:           2
        .value_kind:     hidden_group_size_z
      - .offset:         98
        .size:           2
        .value_kind:     hidden_remainder_x
      - .offset:         100
        .size:           2
        .value_kind:     hidden_remainder_y
      - .offset:         102
        .size:           2
        .value_kind:     hidden_remainder_z
      - .offset:         120
        .size:           8
        .value_kind:     hidden_global_offset_x
      - .offset:         128
        .size:           8
        .value_kind:     hidden_global_offset_y
      - .offset:         136
        .size:           8
        .value_kind:     hidden_global_offset_z
      - .offset:         144
        .size:           2
        .value_kind:     hidden_grid_dims
    .group_segment_fixed_size: 12288
    .kernarg_segment_align: 8
    .kernarg_segment_size: 336
    .language:       OpenCL C
    .language_version:
      - 2
      - 0
    .max_flat_workgroup_size: 256
    .name:           _ZN9rocsparseL29gtsv_spike_block_level_kernelILj256ELj32E21rocsparse_complex_numIfEEEviiiPT1_PKS3_S6_S4_S4_S4_S4_S4_
    .private_segment_fixed_size: 0
    .sgpr_count:     30
    .sgpr_spill_count: 0
    .symbol:         _ZN9rocsparseL29gtsv_spike_block_level_kernelILj256ELj32E21rocsparse_complex_numIfEEEviiiPT1_PKS3_S6_S4_S4_S4_S4_S4_.kd
    .uniform_work_group_size: 1
    .uses_dynamic_stack: false
    .vgpr_count:     50
    .vgpr_spill_count: 0
    .wavefront_size: 64
  - .agpr_count:     0
    .args:
      - .offset:         0
        .size:           4
        .value_kind:     by_value
      - .offset:         4
        .size:           4
        .value_kind:     by_value
      - .offset:         8
        .size:           4
        .value_kind:     by_value
      - .address_space:  global
        .offset:         16
        .size:           8
        .value_kind:     global_buffer
      - .actual_access:  read_only
        .address_space:  global
        .offset:         24
        .size:           8
        .value_kind:     global_buffer
      - .actual_access:  read_only
        .address_space:  global
        .offset:         32
        .size:           8
        .value_kind:     global_buffer
      - .actual_access:  read_only
        .address_space:  global
        .offset:         40
        .size:           8
        .value_kind:     global_buffer
      - .offset:         48
        .size:           4
        .value_kind:     hidden_block_count_x
      - .offset:         52
        .size:           4
        .value_kind:     hidden_block_count_y
      - .offset:         56
        .size:           4
        .value_kind:     hidden_block_count_z
      - .offset:         60
        .size:           2
        .value_kind:     hidden_group_size_x
      - .offset:         62
        .size:           2
        .value_kind:     hidden_group_size_y
      - .offset:         64
        .size:           2
        .value_kind:     hidden_group_size_z
      - .offset:         66
        .size:           2
        .value_kind:     hidden_remainder_x
      - .offset:         68
        .size:           2
        .value_kind:     hidden_remainder_y
      - .offset:         70
        .size:           2
        .value_kind:     hidden_remainder_z
      - .offset:         88
        .size:           8
        .value_kind:     hidden_global_offset_x
      - .offset:         96
        .size:           8
        .value_kind:     hidden_global_offset_y
      - .offset:         104
        .size:           8
        .value_kind:     hidden_global_offset_z
      - .offset:         112
        .size:           2
        .value_kind:     hidden_grid_dims
    .group_segment_fixed_size: 12304
    .kernarg_segment_align: 8
    .kernarg_segment_size: 304
    .language:       OpenCL C
    .language_version:
      - 2
      - 0
    .max_flat_workgroup_size: 256
    .name:           _ZN9rocsparseL33gtsv_solve_spike_propagate_kernelILj256ELj32E21rocsparse_complex_numIfEEEviiiPT1_PKS3_S6_S6_
    .private_segment_fixed_size: 0
    .sgpr_count:     24
    .sgpr_spill_count: 0
    .symbol:         _ZN9rocsparseL33gtsv_solve_spike_propagate_kernelILj256ELj32E21rocsparse_complex_numIfEEEviiiPT1_PKS3_S6_S6_.kd
    .uniform_work_group_size: 1
    .uses_dynamic_stack: false
    .vgpr_count:     22
    .vgpr_spill_count: 0
    .wavefront_size: 64
  - .agpr_count:     0
    .args:
      - .offset:         0
        .size:           4
        .value_kind:     by_value
      - .offset:         4
        .size:           4
        .value_kind:     by_value
      - .offset:         8
        .size:           4
        .value_kind:     by_value
      - .address_space:  global
        .offset:         16
        .size:           8
        .value_kind:     global_buffer
      - .actual_access:  read_only
        .address_space:  global
        .offset:         24
        .size:           8
        .value_kind:     global_buffer
      - .actual_access:  read_only
        .address_space:  global
        .offset:         32
        .size:           8
        .value_kind:     global_buffer
    .group_segment_fixed_size: 0
    .kernarg_segment_align: 8
    .kernarg_segment_size: 40
    .language:       OpenCL C
    .language_version:
      - 2
      - 0
    .max_flat_workgroup_size: 256
    .name:           _ZN9rocsparseL39gtsv_spike_backward_substitution_kernelILj256ELj32E21rocsparse_complex_numIfEEEviiiPT1_PKS3_S6_
    .private_segment_fixed_size: 0
    .sgpr_count:     18
    .sgpr_spill_count: 0
    .symbol:         _ZN9rocsparseL39gtsv_spike_backward_substitution_kernelILj256ELj32E21rocsparse_complex_numIfEEEviiiPT1_PKS3_S6_.kd
    .uniform_work_group_size: 1
    .uses_dynamic_stack: false
    .vgpr_count:     38
    .vgpr_spill_count: 0
    .wavefront_size: 64
  - .agpr_count:     0
    .args:
      - .offset:         0
        .size:           4
        .value_kind:     by_value
      - .offset:         4
        .size:           4
        .value_kind:     by_value
      - .offset:         8
        .size:           4
        .value_kind:     by_value
      - .actual_access:  read_only
        .address_space:  global
        .offset:         16
        .size:           8
        .value_kind:     global_buffer
      - .actual_access:  write_only
        .address_space:  global
        .offset:         24
        .size:           8
        .value_kind:     global_buffer
    .group_segment_fixed_size: 0
    .kernarg_segment_align: 8
    .kernarg_segment_size: 32
    .language:       OpenCL C
    .language_version:
      - 2
      - 0
    .max_flat_workgroup_size: 256
    .name:           _ZN9rocsparseL32gtsv_transpose_back_array_kernelILj256ELj32E21rocsparse_complex_numIfEEEviiiPKT1_PS3_
    .private_segment_fixed_size: 0
    .sgpr_count:     18
    .sgpr_spill_count: 0
    .symbol:         _ZN9rocsparseL32gtsv_transpose_back_array_kernelILj256ELj32E21rocsparse_complex_numIfEEEviiiPKT1_PS3_.kd
    .uniform_work_group_size: 1
    .uses_dynamic_stack: false
    .vgpr_count:     5
    .vgpr_spill_count: 0
    .wavefront_size: 64
  - .agpr_count:     0
    .args:
      - .offset:         0
        .size:           4
        .value_kind:     by_value
      - .offset:         4
        .size:           4
        .value_kind:     by_value
      - .offset:         8
        .size:           4
        .value_kind:     by_value
      - .actual_access:  read_only
        .address_space:  global
        .offset:         16
        .size:           8
        .value_kind:     global_buffer
      - .actual_access:  write_only
        .address_space:  global
        .offset:         24
        .size:           8
        .value_kind:     global_buffer
      - .offset:         32
        .size:           8
        .value_kind:     by_value
    .group_segment_fixed_size: 2048
    .kernarg_segment_align: 8
    .kernarg_segment_size: 40
    .language:       OpenCL C
    .language_version:
      - 2
      - 0
    .max_flat_workgroup_size: 256
    .name:           _ZN9rocsparseL42gtsv_transpose_and_pad_array_shared_kernelILj256ELj64E21rocsparse_complex_numIfEEEviiiPKT1_PS3_S3_
    .private_segment_fixed_size: 0
    .sgpr_count:     18
    .sgpr_spill_count: 0
    .symbol:         _ZN9rocsparseL42gtsv_transpose_and_pad_array_shared_kernelILj256ELj64E21rocsparse_complex_numIfEEEviiiPKT1_PS3_S3_.kd
    .uniform_work_group_size: 1
    .uses_dynamic_stack: false
    .vgpr_count:     6
    .vgpr_spill_count: 0
    .wavefront_size: 64
  - .agpr_count:     0
    .args:
      - .offset:         0
        .size:           4
        .value_kind:     by_value
      - .offset:         4
        .size:           4
        .value_kind:     by_value
      - .offset:         8
        .size:           4
        .value_kind:     by_value
      - .actual_access:  read_only
        .address_space:  global
        .offset:         16
        .size:           8
        .value_kind:     global_buffer
      - .actual_access:  read_only
        .address_space:  global
        .offset:         24
        .size:           8
        .value_kind:     global_buffer
      - .actual_access:  read_only
        .address_space:  global
        .offset:         32
        .size:           8
        .value_kind:     global_buffer
      - .address_space:  global
        .offset:         40
        .size:           8
        .value_kind:     global_buffer
      - .address_space:  global
        .offset:         48
        .size:           8
        .value_kind:     global_buffer
      - .address_space:  global
        .offset:         56
        .size:           8
        .value_kind:     global_buffer
      - .address_space:  global
        .offset:         64
        .size:           8
        .value_kind:     global_buffer
    .group_segment_fixed_size: 0
    .kernarg_segment_align: 8
    .kernarg_segment_size: 72
    .language:       OpenCL C
    .language_version:
      - 2
      - 0
    .max_flat_workgroup_size: 256
    .name:           _ZN9rocsparseL18gtsv_LBM_wv_kernelILj256ELj64E21rocsparse_complex_numIfEEEviiiPKT1_S5_S5_PS3_S6_S6_Pi
    .private_segment_fixed_size: 0
    .sgpr_count:     41
    .sgpr_spill_count: 0
    .symbol:         _ZN9rocsparseL18gtsv_LBM_wv_kernelILj256ELj64E21rocsparse_complex_numIfEEEviiiPKT1_S5_S5_PS3_S6_S6_Pi.kd
    .uniform_work_group_size: 1
    .uses_dynamic_stack: false
    .vgpr_count:     68
    .vgpr_spill_count: 0
    .wavefront_size: 64
  - .agpr_count:     0
    .args:
      - .offset:         0
        .size:           4
        .value_kind:     by_value
      - .offset:         4
        .size:           4
        .value_kind:     by_value
      - .offset:         8
        .size:           4
        .value_kind:     by_value
      - .actual_access:  read_only
        .address_space:  global
        .offset:         16
        .size:           8
        .value_kind:     global_buffer
      - .actual_access:  read_only
        .address_space:  global
        .offset:         24
        .size:           8
        .value_kind:     global_buffer
      - .actual_access:  read_only
        .address_space:  global
        .offset:         32
        .size:           8
        .value_kind:     global_buffer
      - .address_space:  global
        .offset:         40
        .size:           8
        .value_kind:     global_buffer
      - .actual_access:  read_only
        .address_space:  global
        .offset:         48
        .size:           8
        .value_kind:     global_buffer
      - .actual_access:  read_only
        .address_space:  global
        .offset:         56
        .size:           8
        .value_kind:     global_buffer
    .group_segment_fixed_size: 0
    .kernarg_segment_align: 8
    .kernarg_segment_size: 64
    .language:       OpenCL C
    .language_version:
      - 2
      - 0
    .max_flat_workgroup_size: 256
    .name:           _ZN9rocsparseL19gtsv_LBM_rhs_kernelILj256ELj64ELj8E21rocsparse_complex_numIfEEEviiiPKT2_S5_S5_PS3_S5_PKi
    .private_segment_fixed_size: 0
    .sgpr_count:     43
    .sgpr_spill_count: 0
    .symbol:         _ZN9rocsparseL19gtsv_LBM_rhs_kernelILj256ELj64ELj8E21rocsparse_complex_numIfEEEviiiPKT2_S5_S5_PS3_S5_PKi.kd
    .uniform_work_group_size: 1
    .uses_dynamic_stack: false
    .vgpr_count:     120
    .vgpr_spill_count: 0
    .wavefront_size: 64
  - .agpr_count:     0
    .args:
      - .offset:         0
        .size:           4
        .value_kind:     by_value
      - .offset:         4
        .size:           4
        .value_kind:     by_value
      - .offset:         8
        .size:           4
        .value_kind:     by_value
      - .actual_access:  read_only
        .address_space:  global
        .offset:         16
        .size:           8
        .value_kind:     global_buffer
      - .actual_access:  read_only
        .address_space:  global
        .offset:         24
        .size:           8
        .value_kind:     global_buffer
      - .actual_access:  read_only
        .address_space:  global
        .offset:         32
        .size:           8
        .value_kind:     global_buffer
      - .address_space:  global
        .offset:         40
        .size:           8
        .value_kind:     global_buffer
      - .actual_access:  read_only
        .address_space:  global
        .offset:         48
        .size:           8
        .value_kind:     global_buffer
      - .actual_access:  read_only
        .address_space:  global
        .offset:         56
        .size:           8
        .value_kind:     global_buffer
    .group_segment_fixed_size: 0
    .kernarg_segment_align: 8
    .kernarg_segment_size: 64
    .language:       OpenCL C
    .language_version:
      - 2
      - 0
    .max_flat_workgroup_size: 256
    .name:           _ZN9rocsparseL19gtsv_LBM_rhs_kernelILj256ELj64ELj4E21rocsparse_complex_numIfEEEviiiPKT2_S5_S5_PS3_S5_PKi
    .private_segment_fixed_size: 0
    .sgpr_count:     38
    .sgpr_spill_count: 0
    .symbol:         _ZN9rocsparseL19gtsv_LBM_rhs_kernelILj256ELj64ELj4E21rocsparse_complex_numIfEEEviiiPKT2_S5_S5_PS3_S5_PKi.kd
    .uniform_work_group_size: 1
    .uses_dynamic_stack: false
    .vgpr_count:     76
    .vgpr_spill_count: 0
    .wavefront_size: 64
  - .agpr_count:     0
    .args:
      - .offset:         0
        .size:           4
        .value_kind:     by_value
      - .offset:         4
        .size:           4
        .value_kind:     by_value
      - .offset:         8
        .size:           4
        .value_kind:     by_value
      - .actual_access:  read_only
        .address_space:  global
        .offset:         16
        .size:           8
        .value_kind:     global_buffer
      - .actual_access:  read_only
        .address_space:  global
        .offset:         24
        .size:           8
        .value_kind:     global_buffer
      - .actual_access:  read_only
        .address_space:  global
        .offset:         32
        .size:           8
        .value_kind:     global_buffer
      - .address_space:  global
        .offset:         40
        .size:           8
        .value_kind:     global_buffer
      - .actual_access:  read_only
        .address_space:  global
        .offset:         48
        .size:           8
        .value_kind:     global_buffer
      - .actual_access:  read_only
        .address_space:  global
        .offset:         56
        .size:           8
        .value_kind:     global_buffer
    .group_segment_fixed_size: 0
    .kernarg_segment_align: 8
    .kernarg_segment_size: 64
    .language:       OpenCL C
    .language_version:
      - 2
      - 0
    .max_flat_workgroup_size: 256
    .name:           _ZN9rocsparseL19gtsv_LBM_rhs_kernelILj256ELj64ELj2E21rocsparse_complex_numIfEEEviiiPKT2_S5_S5_PS3_S5_PKi
    .private_segment_fixed_size: 0
    .sgpr_count:     36
    .sgpr_spill_count: 0
    .symbol:         _ZN9rocsparseL19gtsv_LBM_rhs_kernelILj256ELj64ELj2E21rocsparse_complex_numIfEEEviiiPKT2_S5_S5_PS3_S5_PKi.kd
    .uniform_work_group_size: 1
    .uses_dynamic_stack: false
    .vgpr_count:     66
    .vgpr_spill_count: 0
    .wavefront_size: 64
  - .agpr_count:     0
    .args:
      - .offset:         0
        .size:           4
        .value_kind:     by_value
      - .offset:         4
        .size:           4
        .value_kind:     by_value
      - .offset:         8
        .size:           4
        .value_kind:     by_value
      - .actual_access:  read_only
        .address_space:  global
        .offset:         16
        .size:           8
        .value_kind:     global_buffer
      - .actual_access:  read_only
        .address_space:  global
        .offset:         24
        .size:           8
        .value_kind:     global_buffer
      - .actual_access:  read_only
        .address_space:  global
        .offset:         32
        .size:           8
        .value_kind:     global_buffer
      - .address_space:  global
        .offset:         40
        .size:           8
        .value_kind:     global_buffer
      - .actual_access:  read_only
        .address_space:  global
        .offset:         48
        .size:           8
        .value_kind:     global_buffer
      - .actual_access:  read_only
        .address_space:  global
        .offset:         56
        .size:           8
        .value_kind:     global_buffer
    .group_segment_fixed_size: 0
    .kernarg_segment_align: 8
    .kernarg_segment_size: 64
    .language:       OpenCL C
    .language_version:
      - 2
      - 0
    .max_flat_workgroup_size: 256
    .name:           _ZN9rocsparseL19gtsv_LBM_rhs_kernelILj256ELj64ELj1E21rocsparse_complex_numIfEEEviiiPKT2_S5_S5_PS3_S5_PKi
    .private_segment_fixed_size: 0
    .sgpr_count:     34
    .sgpr_spill_count: 0
    .symbol:         _ZN9rocsparseL19gtsv_LBM_rhs_kernelILj256ELj64ELj1E21rocsparse_complex_numIfEEEviiiPKT2_S5_S5_PS3_S5_PKi.kd
    .uniform_work_group_size: 1
    .uses_dynamic_stack: false
    .vgpr_count:     46
    .vgpr_spill_count: 0
    .wavefront_size: 64
  - .agpr_count:     0
    .args:
      - .offset:         0
        .size:           4
        .value_kind:     by_value
      - .offset:         4
        .size:           4
        .value_kind:     by_value
      - .offset:         8
        .size:           4
        .value_kind:     by_value
      - .address_space:  global
        .offset:         16
        .size:           8
        .value_kind:     global_buffer
      - .actual_access:  read_only
        .address_space:  global
        .offset:         24
        .size:           8
        .value_kind:     global_buffer
      - .actual_access:  read_only
        .address_space:  global
        .offset:         32
        .size:           8
        .value_kind:     global_buffer
      - .actual_access:  write_only
        .address_space:  global
        .offset:         40
        .size:           8
        .value_kind:     global_buffer
      - .actual_access:  write_only
        .address_space:  global
        .offset:         48
        .size:           8
        .value_kind:     global_buffer
      - .actual_access:  write_only
        .address_space:  global
        .offset:         56
        .size:           8
        .value_kind:     global_buffer
      - .actual_access:  write_only
        .address_space:  global
        .offset:         64
        .size:           8
        .value_kind:     global_buffer
      - .actual_access:  write_only
        .address_space:  global
        .offset:         72
        .size:           8
        .value_kind:     global_buffer
      - .offset:         80
        .size:           4
        .value_kind:     hidden_block_count_x
      - .offset:         84
        .size:           4
        .value_kind:     hidden_block_count_y
      - .offset:         88
        .size:           4
        .value_kind:     hidden_block_count_z
      - .offset:         92
        .size:           2
        .value_kind:     hidden_group_size_x
      - .offset:         94
        .size:           2
        .value_kind:     hidden_group_size_y
      - .offset:         96
        .size:           2
        .value_kind:     hidden_group_size_z
      - .offset:         98
        .size:           2
        .value_kind:     hidden_remainder_x
      - .offset:         100
        .size:           2
        .value_kind:     hidden_remainder_y
      - .offset:         102
        .size:           2
        .value_kind:     hidden_remainder_z
      - .offset:         120
        .size:           8
        .value_kind:     hidden_global_offset_x
      - .offset:         128
        .size:           8
        .value_kind:     hidden_global_offset_y
      - .offset:         136
        .size:           8
        .value_kind:     hidden_global_offset_z
      - .offset:         144
        .size:           2
        .value_kind:     hidden_grid_dims
    .group_segment_fixed_size: 12288
    .kernarg_segment_align: 8
    .kernarg_segment_size: 336
    .language:       OpenCL C
    .language_version:
      - 2
      - 0
    .max_flat_workgroup_size: 256
    .name:           _ZN9rocsparseL29gtsv_spike_block_level_kernelILj256ELj64E21rocsparse_complex_numIfEEEviiiPT1_PKS3_S6_S4_S4_S4_S4_S4_
    .private_segment_fixed_size: 0
    .sgpr_count:     30
    .sgpr_spill_count: 0
    .symbol:         _ZN9rocsparseL29gtsv_spike_block_level_kernelILj256ELj64E21rocsparse_complex_numIfEEEviiiPT1_PKS3_S6_S4_S4_S4_S4_S4_.kd
    .uniform_work_group_size: 1
    .uses_dynamic_stack: false
    .vgpr_count:     50
    .vgpr_spill_count: 0
    .wavefront_size: 64
  - .agpr_count:     0
    .args:
      - .offset:         0
        .size:           4
        .value_kind:     by_value
      - .offset:         4
        .size:           4
        .value_kind:     by_value
      - .offset:         8
        .size:           4
        .value_kind:     by_value
      - .address_space:  global
        .offset:         16
        .size:           8
        .value_kind:     global_buffer
      - .actual_access:  read_only
        .address_space:  global
        .offset:         24
        .size:           8
        .value_kind:     global_buffer
      - .actual_access:  read_only
        .address_space:  global
        .offset:         32
        .size:           8
        .value_kind:     global_buffer
      - .actual_access:  read_only
        .address_space:  global
        .offset:         40
        .size:           8
        .value_kind:     global_buffer
      - .offset:         48
        .size:           4
        .value_kind:     hidden_block_count_x
      - .offset:         52
        .size:           4
        .value_kind:     hidden_block_count_y
      - .offset:         56
        .size:           4
        .value_kind:     hidden_block_count_z
      - .offset:         60
        .size:           2
        .value_kind:     hidden_group_size_x
      - .offset:         62
        .size:           2
        .value_kind:     hidden_group_size_y
      - .offset:         64
        .size:           2
        .value_kind:     hidden_group_size_z
      - .offset:         66
        .size:           2
        .value_kind:     hidden_remainder_x
      - .offset:         68
        .size:           2
        .value_kind:     hidden_remainder_y
      - .offset:         70
        .size:           2
        .value_kind:     hidden_remainder_z
      - .offset:         88
        .size:           8
        .value_kind:     hidden_global_offset_x
      - .offset:         96
        .size:           8
        .value_kind:     hidden_global_offset_y
      - .offset:         104
        .size:           8
        .value_kind:     hidden_global_offset_z
      - .offset:         112
        .size:           2
        .value_kind:     hidden_grid_dims
    .group_segment_fixed_size: 12304
    .kernarg_segment_align: 8
    .kernarg_segment_size: 304
    .language:       OpenCL C
    .language_version:
      - 2
      - 0
    .max_flat_workgroup_size: 256
    .name:           _ZN9rocsparseL33gtsv_solve_spike_propagate_kernelILj256ELj64E21rocsparse_complex_numIfEEEviiiPT1_PKS3_S6_S6_
    .private_segment_fixed_size: 0
    .sgpr_count:     24
    .sgpr_spill_count: 0
    .symbol:         _ZN9rocsparseL33gtsv_solve_spike_propagate_kernelILj256ELj64E21rocsparse_complex_numIfEEEviiiPT1_PKS3_S6_S6_.kd
    .uniform_work_group_size: 1
    .uses_dynamic_stack: false
    .vgpr_count:     22
    .vgpr_spill_count: 0
    .wavefront_size: 64
  - .agpr_count:     0
    .args:
      - .offset:         0
        .size:           4
        .value_kind:     by_value
      - .offset:         4
        .size:           4
        .value_kind:     by_value
      - .offset:         8
        .size:           4
        .value_kind:     by_value
      - .address_space:  global
        .offset:         16
        .size:           8
        .value_kind:     global_buffer
      - .actual_access:  read_only
        .address_space:  global
        .offset:         24
        .size:           8
        .value_kind:     global_buffer
      - .actual_access:  read_only
        .address_space:  global
        .offset:         32
        .size:           8
        .value_kind:     global_buffer
    .group_segment_fixed_size: 0
    .kernarg_segment_align: 8
    .kernarg_segment_size: 40
    .language:       OpenCL C
    .language_version:
      - 2
      - 0
    .max_flat_workgroup_size: 256
    .name:           _ZN9rocsparseL39gtsv_spike_backward_substitution_kernelILj256ELj64E21rocsparse_complex_numIfEEEviiiPT1_PKS3_S6_
    .private_segment_fixed_size: 0
    .sgpr_count:     18
    .sgpr_spill_count: 0
    .symbol:         _ZN9rocsparseL39gtsv_spike_backward_substitution_kernelILj256ELj64E21rocsparse_complex_numIfEEEviiiPT1_PKS3_S6_.kd
    .uniform_work_group_size: 1
    .uses_dynamic_stack: false
    .vgpr_count:     32
    .vgpr_spill_count: 0
    .wavefront_size: 64
  - .agpr_count:     0
    .args:
      - .offset:         0
        .size:           4
        .value_kind:     by_value
      - .offset:         4
        .size:           4
        .value_kind:     by_value
      - .offset:         8
        .size:           4
        .value_kind:     by_value
      - .actual_access:  read_only
        .address_space:  global
        .offset:         16
        .size:           8
        .value_kind:     global_buffer
      - .actual_access:  write_only
        .address_space:  global
        .offset:         24
        .size:           8
        .value_kind:     global_buffer
    .group_segment_fixed_size: 0
    .kernarg_segment_align: 8
    .kernarg_segment_size: 32
    .language:       OpenCL C
    .language_version:
      - 2
      - 0
    .max_flat_workgroup_size: 256
    .name:           _ZN9rocsparseL32gtsv_transpose_back_array_kernelILj256ELj64E21rocsparse_complex_numIfEEEviiiPKT1_PS3_
    .private_segment_fixed_size: 0
    .sgpr_count:     18
    .sgpr_spill_count: 0
    .symbol:         _ZN9rocsparseL32gtsv_transpose_back_array_kernelILj256ELj64E21rocsparse_complex_numIfEEEviiiPKT1_PS3_.kd
    .uniform_work_group_size: 1
    .uses_dynamic_stack: false
    .vgpr_count:     5
    .vgpr_spill_count: 0
    .wavefront_size: 64
  - .agpr_count:     0
    .args:
      - .offset:         0
        .size:           4
        .value_kind:     by_value
      - .offset:         4
        .size:           4
        .value_kind:     by_value
      - .offset:         8
        .size:           4
        .value_kind:     by_value
      - .actual_access:  read_only
        .address_space:  global
        .offset:         16
        .size:           8
        .value_kind:     global_buffer
      - .actual_access:  write_only
        .address_space:  global
        .offset:         24
        .size:           8
        .value_kind:     global_buffer
      - .offset:         32
        .size:           8
        .value_kind:     by_value
    .group_segment_fixed_size: 2048
    .kernarg_segment_align: 8
    .kernarg_segment_size: 40
    .language:       OpenCL C
    .language_version:
      - 2
      - 0
    .max_flat_workgroup_size: 256
    .name:           _ZN9rocsparseL42gtsv_transpose_and_pad_array_shared_kernelILj256ELj128E21rocsparse_complex_numIfEEEviiiPKT1_PS3_S3_
    .private_segment_fixed_size: 0
    .sgpr_count:     18
    .sgpr_spill_count: 0
    .symbol:         _ZN9rocsparseL42gtsv_transpose_and_pad_array_shared_kernelILj256ELj128E21rocsparse_complex_numIfEEEviiiPKT1_PS3_S3_.kd
    .uniform_work_group_size: 1
    .uses_dynamic_stack: false
    .vgpr_count:     6
    .vgpr_spill_count: 0
    .wavefront_size: 64
  - .agpr_count:     0
    .args:
      - .offset:         0
        .size:           4
        .value_kind:     by_value
      - .offset:         4
        .size:           4
        .value_kind:     by_value
      - .offset:         8
        .size:           4
        .value_kind:     by_value
      - .actual_access:  read_only
        .address_space:  global
        .offset:         16
        .size:           8
        .value_kind:     global_buffer
      - .actual_access:  read_only
        .address_space:  global
        .offset:         24
        .size:           8
        .value_kind:     global_buffer
      - .actual_access:  read_only
        .address_space:  global
        .offset:         32
        .size:           8
        .value_kind:     global_buffer
      - .address_space:  global
        .offset:         40
        .size:           8
        .value_kind:     global_buffer
      - .address_space:  global
        .offset:         48
        .size:           8
        .value_kind:     global_buffer
      - .address_space:  global
        .offset:         56
        .size:           8
        .value_kind:     global_buffer
      - .address_space:  global
        .offset:         64
        .size:           8
        .value_kind:     global_buffer
    .group_segment_fixed_size: 0
    .kernarg_segment_align: 8
    .kernarg_segment_size: 72
    .language:       OpenCL C
    .language_version:
      - 2
      - 0
    .max_flat_workgroup_size: 256
    .name:           _ZN9rocsparseL18gtsv_LBM_wv_kernelILj256ELj128E21rocsparse_complex_numIfEEEviiiPKT1_S5_S5_PS3_S6_S6_Pi
    .private_segment_fixed_size: 0
    .sgpr_count:     41
    .sgpr_spill_count: 0
    .symbol:         _ZN9rocsparseL18gtsv_LBM_wv_kernelILj256ELj128E21rocsparse_complex_numIfEEEviiiPKT1_S5_S5_PS3_S6_S6_Pi.kd
    .uniform_work_group_size: 1
    .uses_dynamic_stack: false
    .vgpr_count:     68
    .vgpr_spill_count: 0
    .wavefront_size: 64
  - .agpr_count:     0
    .args:
      - .offset:         0
        .size:           4
        .value_kind:     by_value
      - .offset:         4
        .size:           4
        .value_kind:     by_value
      - .offset:         8
        .size:           4
        .value_kind:     by_value
      - .actual_access:  read_only
        .address_space:  global
        .offset:         16
        .size:           8
        .value_kind:     global_buffer
      - .actual_access:  read_only
        .address_space:  global
        .offset:         24
        .size:           8
        .value_kind:     global_buffer
      - .actual_access:  read_only
        .address_space:  global
        .offset:         32
        .size:           8
        .value_kind:     global_buffer
      - .address_space:  global
        .offset:         40
        .size:           8
        .value_kind:     global_buffer
      - .actual_access:  read_only
        .address_space:  global
        .offset:         48
        .size:           8
        .value_kind:     global_buffer
      - .actual_access:  read_only
        .address_space:  global
        .offset:         56
        .size:           8
        .value_kind:     global_buffer
    .group_segment_fixed_size: 0
    .kernarg_segment_align: 8
    .kernarg_segment_size: 64
    .language:       OpenCL C
    .language_version:
      - 2
      - 0
    .max_flat_workgroup_size: 256
    .name:           _ZN9rocsparseL19gtsv_LBM_rhs_kernelILj256ELj128ELj8E21rocsparse_complex_numIfEEEviiiPKT2_S5_S5_PS3_S5_PKi
    .private_segment_fixed_size: 0
    .sgpr_count:     43
    .sgpr_spill_count: 0
    .symbol:         _ZN9rocsparseL19gtsv_LBM_rhs_kernelILj256ELj128ELj8E21rocsparse_complex_numIfEEEviiiPKT2_S5_S5_PS3_S5_PKi.kd
    .uniform_work_group_size: 1
    .uses_dynamic_stack: false
    .vgpr_count:     120
    .vgpr_spill_count: 0
    .wavefront_size: 64
  - .agpr_count:     0
    .args:
      - .offset:         0
        .size:           4
        .value_kind:     by_value
      - .offset:         4
        .size:           4
        .value_kind:     by_value
      - .offset:         8
        .size:           4
        .value_kind:     by_value
      - .actual_access:  read_only
        .address_space:  global
        .offset:         16
        .size:           8
        .value_kind:     global_buffer
      - .actual_access:  read_only
        .address_space:  global
        .offset:         24
        .size:           8
        .value_kind:     global_buffer
      - .actual_access:  read_only
        .address_space:  global
        .offset:         32
        .size:           8
        .value_kind:     global_buffer
      - .address_space:  global
        .offset:         40
        .size:           8
        .value_kind:     global_buffer
      - .actual_access:  read_only
        .address_space:  global
        .offset:         48
        .size:           8
        .value_kind:     global_buffer
      - .actual_access:  read_only
        .address_space:  global
        .offset:         56
        .size:           8
        .value_kind:     global_buffer
    .group_segment_fixed_size: 0
    .kernarg_segment_align: 8
    .kernarg_segment_size: 64
    .language:       OpenCL C
    .language_version:
      - 2
      - 0
    .max_flat_workgroup_size: 256
    .name:           _ZN9rocsparseL19gtsv_LBM_rhs_kernelILj256ELj128ELj4E21rocsparse_complex_numIfEEEviiiPKT2_S5_S5_PS3_S5_PKi
    .private_segment_fixed_size: 0
    .sgpr_count:     38
    .sgpr_spill_count: 0
    .symbol:         _ZN9rocsparseL19gtsv_LBM_rhs_kernelILj256ELj128ELj4E21rocsparse_complex_numIfEEEviiiPKT2_S5_S5_PS3_S5_PKi.kd
    .uniform_work_group_size: 1
    .uses_dynamic_stack: false
    .vgpr_count:     76
    .vgpr_spill_count: 0
    .wavefront_size: 64
  - .agpr_count:     0
    .args:
      - .offset:         0
        .size:           4
        .value_kind:     by_value
      - .offset:         4
        .size:           4
        .value_kind:     by_value
      - .offset:         8
        .size:           4
        .value_kind:     by_value
      - .actual_access:  read_only
        .address_space:  global
        .offset:         16
        .size:           8
        .value_kind:     global_buffer
      - .actual_access:  read_only
        .address_space:  global
        .offset:         24
        .size:           8
        .value_kind:     global_buffer
      - .actual_access:  read_only
        .address_space:  global
        .offset:         32
        .size:           8
        .value_kind:     global_buffer
      - .address_space:  global
        .offset:         40
        .size:           8
        .value_kind:     global_buffer
      - .actual_access:  read_only
        .address_space:  global
        .offset:         48
        .size:           8
        .value_kind:     global_buffer
      - .actual_access:  read_only
        .address_space:  global
        .offset:         56
        .size:           8
        .value_kind:     global_buffer
    .group_segment_fixed_size: 0
    .kernarg_segment_align: 8
    .kernarg_segment_size: 64
    .language:       OpenCL C
    .language_version:
      - 2
      - 0
    .max_flat_workgroup_size: 256
    .name:           _ZN9rocsparseL19gtsv_LBM_rhs_kernelILj256ELj128ELj2E21rocsparse_complex_numIfEEEviiiPKT2_S5_S5_PS3_S5_PKi
    .private_segment_fixed_size: 0
    .sgpr_count:     36
    .sgpr_spill_count: 0
    .symbol:         _ZN9rocsparseL19gtsv_LBM_rhs_kernelILj256ELj128ELj2E21rocsparse_complex_numIfEEEviiiPKT2_S5_S5_PS3_S5_PKi.kd
    .uniform_work_group_size: 1
    .uses_dynamic_stack: false
    .vgpr_count:     66
    .vgpr_spill_count: 0
    .wavefront_size: 64
  - .agpr_count:     0
    .args:
      - .offset:         0
        .size:           4
        .value_kind:     by_value
      - .offset:         4
        .size:           4
        .value_kind:     by_value
      - .offset:         8
        .size:           4
        .value_kind:     by_value
      - .actual_access:  read_only
        .address_space:  global
        .offset:         16
        .size:           8
        .value_kind:     global_buffer
      - .actual_access:  read_only
        .address_space:  global
        .offset:         24
        .size:           8
        .value_kind:     global_buffer
      - .actual_access:  read_only
        .address_space:  global
        .offset:         32
        .size:           8
        .value_kind:     global_buffer
      - .address_space:  global
        .offset:         40
        .size:           8
        .value_kind:     global_buffer
      - .actual_access:  read_only
        .address_space:  global
        .offset:         48
        .size:           8
        .value_kind:     global_buffer
      - .actual_access:  read_only
        .address_space:  global
        .offset:         56
        .size:           8
        .value_kind:     global_buffer
    .group_segment_fixed_size: 0
    .kernarg_segment_align: 8
    .kernarg_segment_size: 64
    .language:       OpenCL C
    .language_version:
      - 2
      - 0
    .max_flat_workgroup_size: 256
    .name:           _ZN9rocsparseL19gtsv_LBM_rhs_kernelILj256ELj128ELj1E21rocsparse_complex_numIfEEEviiiPKT2_S5_S5_PS3_S5_PKi
    .private_segment_fixed_size: 0
    .sgpr_count:     34
    .sgpr_spill_count: 0
    .symbol:         _ZN9rocsparseL19gtsv_LBM_rhs_kernelILj256ELj128ELj1E21rocsparse_complex_numIfEEEviiiPKT2_S5_S5_PS3_S5_PKi.kd
    .uniform_work_group_size: 1
    .uses_dynamic_stack: false
    .vgpr_count:     46
    .vgpr_spill_count: 0
    .wavefront_size: 64
  - .agpr_count:     0
    .args:
      - .offset:         0
        .size:           4
        .value_kind:     by_value
      - .offset:         4
        .size:           4
        .value_kind:     by_value
      - .offset:         8
        .size:           4
        .value_kind:     by_value
      - .address_space:  global
        .offset:         16
        .size:           8
        .value_kind:     global_buffer
      - .actual_access:  read_only
        .address_space:  global
        .offset:         24
        .size:           8
        .value_kind:     global_buffer
      - .actual_access:  read_only
        .address_space:  global
        .offset:         32
        .size:           8
        .value_kind:     global_buffer
      - .actual_access:  write_only
        .address_space:  global
        .offset:         40
        .size:           8
        .value_kind:     global_buffer
      - .actual_access:  write_only
        .address_space:  global
        .offset:         48
        .size:           8
        .value_kind:     global_buffer
      - .actual_access:  write_only
        .address_space:  global
        .offset:         56
        .size:           8
        .value_kind:     global_buffer
      - .actual_access:  write_only
        .address_space:  global
        .offset:         64
        .size:           8
        .value_kind:     global_buffer
      - .actual_access:  write_only
        .address_space:  global
        .offset:         72
        .size:           8
        .value_kind:     global_buffer
      - .offset:         80
        .size:           4
        .value_kind:     hidden_block_count_x
      - .offset:         84
        .size:           4
        .value_kind:     hidden_block_count_y
      - .offset:         88
        .size:           4
        .value_kind:     hidden_block_count_z
      - .offset:         92
        .size:           2
        .value_kind:     hidden_group_size_x
      - .offset:         94
        .size:           2
        .value_kind:     hidden_group_size_y
      - .offset:         96
        .size:           2
        .value_kind:     hidden_group_size_z
      - .offset:         98
        .size:           2
        .value_kind:     hidden_remainder_x
      - .offset:         100
        .size:           2
        .value_kind:     hidden_remainder_y
      - .offset:         102
        .size:           2
        .value_kind:     hidden_remainder_z
      - .offset:         120
        .size:           8
        .value_kind:     hidden_global_offset_x
      - .offset:         128
        .size:           8
        .value_kind:     hidden_global_offset_y
      - .offset:         136
        .size:           8
        .value_kind:     hidden_global_offset_z
      - .offset:         144
        .size:           2
        .value_kind:     hidden_grid_dims
    .group_segment_fixed_size: 12288
    .kernarg_segment_align: 8
    .kernarg_segment_size: 336
    .language:       OpenCL C
    .language_version:
      - 2
      - 0
    .max_flat_workgroup_size: 256
    .name:           _ZN9rocsparseL29gtsv_spike_block_level_kernelILj256ELj128E21rocsparse_complex_numIfEEEviiiPT1_PKS3_S6_S4_S4_S4_S4_S4_
    .private_segment_fixed_size: 0
    .sgpr_count:     30
    .sgpr_spill_count: 0
    .symbol:         _ZN9rocsparseL29gtsv_spike_block_level_kernelILj256ELj128E21rocsparse_complex_numIfEEEviiiPT1_PKS3_S6_S4_S4_S4_S4_S4_.kd
    .uniform_work_group_size: 1
    .uses_dynamic_stack: false
    .vgpr_count:     50
    .vgpr_spill_count: 0
    .wavefront_size: 64
  - .agpr_count:     0
    .args:
      - .offset:         0
        .size:           4
        .value_kind:     by_value
      - .offset:         4
        .size:           4
        .value_kind:     by_value
      - .offset:         8
        .size:           4
        .value_kind:     by_value
      - .address_space:  global
        .offset:         16
        .size:           8
        .value_kind:     global_buffer
      - .actual_access:  read_only
        .address_space:  global
        .offset:         24
        .size:           8
        .value_kind:     global_buffer
      - .actual_access:  read_only
        .address_space:  global
        .offset:         32
        .size:           8
        .value_kind:     global_buffer
      - .actual_access:  read_only
        .address_space:  global
        .offset:         40
        .size:           8
        .value_kind:     global_buffer
      - .offset:         48
        .size:           4
        .value_kind:     hidden_block_count_x
      - .offset:         52
        .size:           4
        .value_kind:     hidden_block_count_y
      - .offset:         56
        .size:           4
        .value_kind:     hidden_block_count_z
      - .offset:         60
        .size:           2
        .value_kind:     hidden_group_size_x
      - .offset:         62
        .size:           2
        .value_kind:     hidden_group_size_y
      - .offset:         64
        .size:           2
        .value_kind:     hidden_group_size_z
      - .offset:         66
        .size:           2
        .value_kind:     hidden_remainder_x
      - .offset:         68
        .size:           2
        .value_kind:     hidden_remainder_y
      - .offset:         70
        .size:           2
        .value_kind:     hidden_remainder_z
      - .offset:         88
        .size:           8
        .value_kind:     hidden_global_offset_x
      - .offset:         96
        .size:           8
        .value_kind:     hidden_global_offset_y
      - .offset:         104
        .size:           8
        .value_kind:     hidden_global_offset_z
      - .offset:         112
        .size:           2
        .value_kind:     hidden_grid_dims
    .group_segment_fixed_size: 12304
    .kernarg_segment_align: 8
    .kernarg_segment_size: 304
    .language:       OpenCL C
    .language_version:
      - 2
      - 0
    .max_flat_workgroup_size: 256
    .name:           _ZN9rocsparseL33gtsv_solve_spike_propagate_kernelILj256ELj128E21rocsparse_complex_numIfEEEviiiPT1_PKS3_S6_S6_
    .private_segment_fixed_size: 0
    .sgpr_count:     24
    .sgpr_spill_count: 0
    .symbol:         _ZN9rocsparseL33gtsv_solve_spike_propagate_kernelILj256ELj128E21rocsparse_complex_numIfEEEviiiPT1_PKS3_S6_S6_.kd
    .uniform_work_group_size: 1
    .uses_dynamic_stack: false
    .vgpr_count:     22
    .vgpr_spill_count: 0
    .wavefront_size: 64
  - .agpr_count:     0
    .args:
      - .offset:         0
        .size:           4
        .value_kind:     by_value
      - .offset:         4
        .size:           4
        .value_kind:     by_value
      - .offset:         8
        .size:           4
        .value_kind:     by_value
      - .address_space:  global
        .offset:         16
        .size:           8
        .value_kind:     global_buffer
      - .actual_access:  read_only
        .address_space:  global
        .offset:         24
        .size:           8
        .value_kind:     global_buffer
      - .actual_access:  read_only
        .address_space:  global
        .offset:         32
        .size:           8
        .value_kind:     global_buffer
    .group_segment_fixed_size: 0
    .kernarg_segment_align: 8
    .kernarg_segment_size: 40
    .language:       OpenCL C
    .language_version:
      - 2
      - 0
    .max_flat_workgroup_size: 256
    .name:           _ZN9rocsparseL39gtsv_spike_backward_substitution_kernelILj256ELj128E21rocsparse_complex_numIfEEEviiiPT1_PKS3_S6_
    .private_segment_fixed_size: 0
    .sgpr_count:     18
    .sgpr_spill_count: 0
    .symbol:         _ZN9rocsparseL39gtsv_spike_backward_substitution_kernelILj256ELj128E21rocsparse_complex_numIfEEEviiiPT1_PKS3_S6_.kd
    .uniform_work_group_size: 1
    .uses_dynamic_stack: false
    .vgpr_count:     38
    .vgpr_spill_count: 0
    .wavefront_size: 64
  - .agpr_count:     0
    .args:
      - .offset:         0
        .size:           4
        .value_kind:     by_value
      - .offset:         4
        .size:           4
        .value_kind:     by_value
      - .offset:         8
        .size:           4
        .value_kind:     by_value
      - .actual_access:  read_only
        .address_space:  global
        .offset:         16
        .size:           8
        .value_kind:     global_buffer
      - .actual_access:  write_only
        .address_space:  global
        .offset:         24
        .size:           8
        .value_kind:     global_buffer
    .group_segment_fixed_size: 0
    .kernarg_segment_align: 8
    .kernarg_segment_size: 32
    .language:       OpenCL C
    .language_version:
      - 2
      - 0
    .max_flat_workgroup_size: 256
    .name:           _ZN9rocsparseL32gtsv_transpose_back_array_kernelILj256ELj128E21rocsparse_complex_numIfEEEviiiPKT1_PS3_
    .private_segment_fixed_size: 0
    .sgpr_count:     18
    .sgpr_spill_count: 0
    .symbol:         _ZN9rocsparseL32gtsv_transpose_back_array_kernelILj256ELj128E21rocsparse_complex_numIfEEEviiiPKT1_PS3_.kd
    .uniform_work_group_size: 1
    .uses_dynamic_stack: false
    .vgpr_count:     5
    .vgpr_spill_count: 0
    .wavefront_size: 64
  - .agpr_count:     0
    .args:
      - .offset:         0
        .size:           4
        .value_kind:     by_value
      - .offset:         4
        .size:           4
        .value_kind:     by_value
      - .offset:         8
        .size:           4
        .value_kind:     by_value
      - .actual_access:  read_only
        .address_space:  global
        .offset:         16
        .size:           8
        .value_kind:     global_buffer
      - .actual_access:  write_only
        .address_space:  global
        .offset:         24
        .size:           8
        .value_kind:     global_buffer
      - .offset:         32
        .size:           8
        .value_kind:     by_value
    .group_segment_fixed_size: 2048
    .kernarg_segment_align: 8
    .kernarg_segment_size: 40
    .language:       OpenCL C
    .language_version:
      - 2
      - 0
    .max_flat_workgroup_size: 256
    .name:           _ZN9rocsparseL42gtsv_transpose_and_pad_array_shared_kernelILj256ELj256E21rocsparse_complex_numIfEEEviiiPKT1_PS3_S3_
    .private_segment_fixed_size: 0
    .sgpr_count:     18
    .sgpr_spill_count: 0
    .symbol:         _ZN9rocsparseL42gtsv_transpose_and_pad_array_shared_kernelILj256ELj256E21rocsparse_complex_numIfEEEviiiPKT1_PS3_S3_.kd
    .uniform_work_group_size: 1
    .uses_dynamic_stack: false
    .vgpr_count:     4
    .vgpr_spill_count: 0
    .wavefront_size: 64
  - .agpr_count:     0
    .args:
      - .offset:         0
        .size:           4
        .value_kind:     by_value
      - .offset:         4
        .size:           4
        .value_kind:     by_value
      - .offset:         8
        .size:           4
        .value_kind:     by_value
      - .actual_access:  read_only
        .address_space:  global
        .offset:         16
        .size:           8
        .value_kind:     global_buffer
      - .actual_access:  read_only
        .address_space:  global
        .offset:         24
        .size:           8
        .value_kind:     global_buffer
      - .actual_access:  read_only
        .address_space:  global
        .offset:         32
        .size:           8
        .value_kind:     global_buffer
      - .address_space:  global
        .offset:         40
        .size:           8
        .value_kind:     global_buffer
      - .address_space:  global
        .offset:         48
        .size:           8
        .value_kind:     global_buffer
      - .address_space:  global
        .offset:         56
        .size:           8
        .value_kind:     global_buffer
      - .address_space:  global
        .offset:         64
        .size:           8
        .value_kind:     global_buffer
    .group_segment_fixed_size: 0
    .kernarg_segment_align: 8
    .kernarg_segment_size: 72
    .language:       OpenCL C
    .language_version:
      - 2
      - 0
    .max_flat_workgroup_size: 256
    .name:           _ZN9rocsparseL18gtsv_LBM_wv_kernelILj256ELj256E21rocsparse_complex_numIfEEEviiiPKT1_S5_S5_PS3_S6_S6_Pi
    .private_segment_fixed_size: 0
    .sgpr_count:     41
    .sgpr_spill_count: 0
    .symbol:         _ZN9rocsparseL18gtsv_LBM_wv_kernelILj256ELj256E21rocsparse_complex_numIfEEEviiiPKT1_S5_S5_PS3_S6_S6_Pi.kd
    .uniform_work_group_size: 1
    .uses_dynamic_stack: false
    .vgpr_count:     68
    .vgpr_spill_count: 0
    .wavefront_size: 64
  - .agpr_count:     0
    .args:
      - .offset:         0
        .size:           4
        .value_kind:     by_value
      - .offset:         4
        .size:           4
        .value_kind:     by_value
      - .offset:         8
        .size:           4
        .value_kind:     by_value
      - .actual_access:  read_only
        .address_space:  global
        .offset:         16
        .size:           8
        .value_kind:     global_buffer
      - .actual_access:  read_only
        .address_space:  global
        .offset:         24
        .size:           8
        .value_kind:     global_buffer
      - .actual_access:  read_only
        .address_space:  global
        .offset:         32
        .size:           8
        .value_kind:     global_buffer
      - .address_space:  global
        .offset:         40
        .size:           8
        .value_kind:     global_buffer
      - .actual_access:  read_only
        .address_space:  global
        .offset:         48
        .size:           8
        .value_kind:     global_buffer
      - .actual_access:  read_only
        .address_space:  global
        .offset:         56
        .size:           8
        .value_kind:     global_buffer
    .group_segment_fixed_size: 0
    .kernarg_segment_align: 8
    .kernarg_segment_size: 64
    .language:       OpenCL C
    .language_version:
      - 2
      - 0
    .max_flat_workgroup_size: 256
    .name:           _ZN9rocsparseL19gtsv_LBM_rhs_kernelILj256ELj256ELj8E21rocsparse_complex_numIfEEEviiiPKT2_S5_S5_PS3_S5_PKi
    .private_segment_fixed_size: 0
    .sgpr_count:     43
    .sgpr_spill_count: 0
    .symbol:         _ZN9rocsparseL19gtsv_LBM_rhs_kernelILj256ELj256ELj8E21rocsparse_complex_numIfEEEviiiPKT2_S5_S5_PS3_S5_PKi.kd
    .uniform_work_group_size: 1
    .uses_dynamic_stack: false
    .vgpr_count:     120
    .vgpr_spill_count: 0
    .wavefront_size: 64
  - .agpr_count:     0
    .args:
      - .offset:         0
        .size:           4
        .value_kind:     by_value
      - .offset:         4
        .size:           4
        .value_kind:     by_value
      - .offset:         8
        .size:           4
        .value_kind:     by_value
      - .actual_access:  read_only
        .address_space:  global
        .offset:         16
        .size:           8
        .value_kind:     global_buffer
      - .actual_access:  read_only
        .address_space:  global
        .offset:         24
        .size:           8
        .value_kind:     global_buffer
      - .actual_access:  read_only
        .address_space:  global
        .offset:         32
        .size:           8
        .value_kind:     global_buffer
      - .address_space:  global
        .offset:         40
        .size:           8
        .value_kind:     global_buffer
      - .actual_access:  read_only
        .address_space:  global
        .offset:         48
        .size:           8
        .value_kind:     global_buffer
      - .actual_access:  read_only
        .address_space:  global
        .offset:         56
        .size:           8
        .value_kind:     global_buffer
    .group_segment_fixed_size: 0
    .kernarg_segment_align: 8
    .kernarg_segment_size: 64
    .language:       OpenCL C
    .language_version:
      - 2
      - 0
    .max_flat_workgroup_size: 256
    .name:           _ZN9rocsparseL19gtsv_LBM_rhs_kernelILj256ELj256ELj4E21rocsparse_complex_numIfEEEviiiPKT2_S5_S5_PS3_S5_PKi
    .private_segment_fixed_size: 0
    .sgpr_count:     38
    .sgpr_spill_count: 0
    .symbol:         _ZN9rocsparseL19gtsv_LBM_rhs_kernelILj256ELj256ELj4E21rocsparse_complex_numIfEEEviiiPKT2_S5_S5_PS3_S5_PKi.kd
    .uniform_work_group_size: 1
    .uses_dynamic_stack: false
    .vgpr_count:     76
    .vgpr_spill_count: 0
    .wavefront_size: 64
  - .agpr_count:     0
    .args:
      - .offset:         0
        .size:           4
        .value_kind:     by_value
      - .offset:         4
        .size:           4
        .value_kind:     by_value
      - .offset:         8
        .size:           4
        .value_kind:     by_value
      - .actual_access:  read_only
        .address_space:  global
        .offset:         16
        .size:           8
        .value_kind:     global_buffer
      - .actual_access:  read_only
        .address_space:  global
        .offset:         24
        .size:           8
        .value_kind:     global_buffer
      - .actual_access:  read_only
        .address_space:  global
        .offset:         32
        .size:           8
        .value_kind:     global_buffer
      - .address_space:  global
        .offset:         40
        .size:           8
        .value_kind:     global_buffer
      - .actual_access:  read_only
        .address_space:  global
        .offset:         48
        .size:           8
        .value_kind:     global_buffer
      - .actual_access:  read_only
        .address_space:  global
        .offset:         56
        .size:           8
        .value_kind:     global_buffer
    .group_segment_fixed_size: 0
    .kernarg_segment_align: 8
    .kernarg_segment_size: 64
    .language:       OpenCL C
    .language_version:
      - 2
      - 0
    .max_flat_workgroup_size: 256
    .name:           _ZN9rocsparseL19gtsv_LBM_rhs_kernelILj256ELj256ELj2E21rocsparse_complex_numIfEEEviiiPKT2_S5_S5_PS3_S5_PKi
    .private_segment_fixed_size: 0
    .sgpr_count:     36
    .sgpr_spill_count: 0
    .symbol:         _ZN9rocsparseL19gtsv_LBM_rhs_kernelILj256ELj256ELj2E21rocsparse_complex_numIfEEEviiiPKT2_S5_S5_PS3_S5_PKi.kd
    .uniform_work_group_size: 1
    .uses_dynamic_stack: false
    .vgpr_count:     66
    .vgpr_spill_count: 0
    .wavefront_size: 64
  - .agpr_count:     0
    .args:
      - .offset:         0
        .size:           4
        .value_kind:     by_value
      - .offset:         4
        .size:           4
        .value_kind:     by_value
      - .offset:         8
        .size:           4
        .value_kind:     by_value
      - .actual_access:  read_only
        .address_space:  global
        .offset:         16
        .size:           8
        .value_kind:     global_buffer
      - .actual_access:  read_only
        .address_space:  global
        .offset:         24
        .size:           8
        .value_kind:     global_buffer
      - .actual_access:  read_only
        .address_space:  global
        .offset:         32
        .size:           8
        .value_kind:     global_buffer
      - .address_space:  global
        .offset:         40
        .size:           8
        .value_kind:     global_buffer
      - .actual_access:  read_only
        .address_space:  global
        .offset:         48
        .size:           8
        .value_kind:     global_buffer
      - .actual_access:  read_only
        .address_space:  global
        .offset:         56
        .size:           8
        .value_kind:     global_buffer
    .group_segment_fixed_size: 0
    .kernarg_segment_align: 8
    .kernarg_segment_size: 64
    .language:       OpenCL C
    .language_version:
      - 2
      - 0
    .max_flat_workgroup_size: 256
    .name:           _ZN9rocsparseL19gtsv_LBM_rhs_kernelILj256ELj256ELj1E21rocsparse_complex_numIfEEEviiiPKT2_S5_S5_PS3_S5_PKi
    .private_segment_fixed_size: 0
    .sgpr_count:     34
    .sgpr_spill_count: 0
    .symbol:         _ZN9rocsparseL19gtsv_LBM_rhs_kernelILj256ELj256ELj1E21rocsparse_complex_numIfEEEviiiPKT2_S5_S5_PS3_S5_PKi.kd
    .uniform_work_group_size: 1
    .uses_dynamic_stack: false
    .vgpr_count:     46
    .vgpr_spill_count: 0
    .wavefront_size: 64
  - .agpr_count:     0
    .args:
      - .offset:         0
        .size:           4
        .value_kind:     by_value
      - .offset:         4
        .size:           4
        .value_kind:     by_value
      - .offset:         8
        .size:           4
        .value_kind:     by_value
      - .address_space:  global
        .offset:         16
        .size:           8
        .value_kind:     global_buffer
      - .actual_access:  read_only
        .address_space:  global
        .offset:         24
        .size:           8
        .value_kind:     global_buffer
      - .actual_access:  read_only
        .address_space:  global
        .offset:         32
        .size:           8
        .value_kind:     global_buffer
      - .actual_access:  write_only
        .address_space:  global
        .offset:         40
        .size:           8
        .value_kind:     global_buffer
      - .actual_access:  write_only
        .address_space:  global
        .offset:         48
        .size:           8
        .value_kind:     global_buffer
      - .actual_access:  write_only
        .address_space:  global
        .offset:         56
        .size:           8
        .value_kind:     global_buffer
      - .actual_access:  write_only
        .address_space:  global
        .offset:         64
        .size:           8
        .value_kind:     global_buffer
      - .actual_access:  write_only
        .address_space:  global
        .offset:         72
        .size:           8
        .value_kind:     global_buffer
      - .offset:         80
        .size:           4
        .value_kind:     hidden_block_count_x
      - .offset:         84
        .size:           4
        .value_kind:     hidden_block_count_y
      - .offset:         88
        .size:           4
        .value_kind:     hidden_block_count_z
      - .offset:         92
        .size:           2
        .value_kind:     hidden_group_size_x
      - .offset:         94
        .size:           2
        .value_kind:     hidden_group_size_y
      - .offset:         96
        .size:           2
        .value_kind:     hidden_group_size_z
      - .offset:         98
        .size:           2
        .value_kind:     hidden_remainder_x
      - .offset:         100
        .size:           2
        .value_kind:     hidden_remainder_y
      - .offset:         102
        .size:           2
        .value_kind:     hidden_remainder_z
      - .offset:         120
        .size:           8
        .value_kind:     hidden_global_offset_x
      - .offset:         128
        .size:           8
        .value_kind:     hidden_global_offset_y
      - .offset:         136
        .size:           8
        .value_kind:     hidden_global_offset_z
      - .offset:         144
        .size:           2
        .value_kind:     hidden_grid_dims
    .group_segment_fixed_size: 12288
    .kernarg_segment_align: 8
    .kernarg_segment_size: 336
    .language:       OpenCL C
    .language_version:
      - 2
      - 0
    .max_flat_workgroup_size: 256
    .name:           _ZN9rocsparseL29gtsv_spike_block_level_kernelILj256ELj256E21rocsparse_complex_numIfEEEviiiPT1_PKS3_S6_S4_S4_S4_S4_S4_
    .private_segment_fixed_size: 0
    .sgpr_count:     30
    .sgpr_spill_count: 0
    .symbol:         _ZN9rocsparseL29gtsv_spike_block_level_kernelILj256ELj256E21rocsparse_complex_numIfEEEviiiPT1_PKS3_S6_S4_S4_S4_S4_S4_.kd
    .uniform_work_group_size: 1
    .uses_dynamic_stack: false
    .vgpr_count:     50
    .vgpr_spill_count: 0
    .wavefront_size: 64
  - .agpr_count:     0
    .args:
      - .offset:         0
        .size:           4
        .value_kind:     by_value
      - .offset:         4
        .size:           4
        .value_kind:     by_value
      - .offset:         8
        .size:           4
        .value_kind:     by_value
      - .address_space:  global
        .offset:         16
        .size:           8
        .value_kind:     global_buffer
      - .actual_access:  read_only
        .address_space:  global
        .offset:         24
        .size:           8
        .value_kind:     global_buffer
      - .actual_access:  read_only
        .address_space:  global
        .offset:         32
        .size:           8
        .value_kind:     global_buffer
      - .actual_access:  read_only
        .address_space:  global
        .offset:         40
        .size:           8
        .value_kind:     global_buffer
      - .offset:         48
        .size:           4
        .value_kind:     hidden_block_count_x
      - .offset:         52
        .size:           4
        .value_kind:     hidden_block_count_y
      - .offset:         56
        .size:           4
        .value_kind:     hidden_block_count_z
      - .offset:         60
        .size:           2
        .value_kind:     hidden_group_size_x
      - .offset:         62
        .size:           2
        .value_kind:     hidden_group_size_y
      - .offset:         64
        .size:           2
        .value_kind:     hidden_group_size_z
      - .offset:         66
        .size:           2
        .value_kind:     hidden_remainder_x
      - .offset:         68
        .size:           2
        .value_kind:     hidden_remainder_y
      - .offset:         70
        .size:           2
        .value_kind:     hidden_remainder_z
      - .offset:         88
        .size:           8
        .value_kind:     hidden_global_offset_x
      - .offset:         96
        .size:           8
        .value_kind:     hidden_global_offset_y
      - .offset:         104
        .size:           8
        .value_kind:     hidden_global_offset_z
      - .offset:         112
        .size:           2
        .value_kind:     hidden_grid_dims
    .group_segment_fixed_size: 12304
    .kernarg_segment_align: 8
    .kernarg_segment_size: 304
    .language:       OpenCL C
    .language_version:
      - 2
      - 0
    .max_flat_workgroup_size: 256
    .name:           _ZN9rocsparseL33gtsv_solve_spike_propagate_kernelILj256ELj256E21rocsparse_complex_numIfEEEviiiPT1_PKS3_S6_S6_
    .private_segment_fixed_size: 0
    .sgpr_count:     24
    .sgpr_spill_count: 0
    .symbol:         _ZN9rocsparseL33gtsv_solve_spike_propagate_kernelILj256ELj256E21rocsparse_complex_numIfEEEviiiPT1_PKS3_S6_S6_.kd
    .uniform_work_group_size: 1
    .uses_dynamic_stack: false
    .vgpr_count:     22
    .vgpr_spill_count: 0
    .wavefront_size: 64
  - .agpr_count:     0
    .args:
      - .offset:         0
        .size:           4
        .value_kind:     by_value
      - .offset:         4
        .size:           4
        .value_kind:     by_value
      - .offset:         8
        .size:           4
        .value_kind:     by_value
      - .address_space:  global
        .offset:         16
        .size:           8
        .value_kind:     global_buffer
      - .actual_access:  read_only
        .address_space:  global
        .offset:         24
        .size:           8
        .value_kind:     global_buffer
      - .actual_access:  read_only
        .address_space:  global
        .offset:         32
        .size:           8
        .value_kind:     global_buffer
    .group_segment_fixed_size: 0
    .kernarg_segment_align: 8
    .kernarg_segment_size: 40
    .language:       OpenCL C
    .language_version:
      - 2
      - 0
    .max_flat_workgroup_size: 256
    .name:           _ZN9rocsparseL39gtsv_spike_backward_substitution_kernelILj256ELj256E21rocsparse_complex_numIfEEEviiiPT1_PKS3_S6_
    .private_segment_fixed_size: 0
    .sgpr_count:     18
    .sgpr_spill_count: 0
    .symbol:         _ZN9rocsparseL39gtsv_spike_backward_substitution_kernelILj256ELj256E21rocsparse_complex_numIfEEEviiiPT1_PKS3_S6_.kd
    .uniform_work_group_size: 1
    .uses_dynamic_stack: false
    .vgpr_count:     32
    .vgpr_spill_count: 0
    .wavefront_size: 64
  - .agpr_count:     0
    .args:
      - .offset:         0
        .size:           4
        .value_kind:     by_value
      - .offset:         4
        .size:           4
        .value_kind:     by_value
      - .offset:         8
        .size:           4
        .value_kind:     by_value
      - .actual_access:  read_only
        .address_space:  global
        .offset:         16
        .size:           8
        .value_kind:     global_buffer
      - .actual_access:  write_only
        .address_space:  global
        .offset:         24
        .size:           8
        .value_kind:     global_buffer
    .group_segment_fixed_size: 0
    .kernarg_segment_align: 8
    .kernarg_segment_size: 32
    .language:       OpenCL C
    .language_version:
      - 2
      - 0
    .max_flat_workgroup_size: 256
    .name:           _ZN9rocsparseL32gtsv_transpose_back_array_kernelILj256ELj256E21rocsparse_complex_numIfEEEviiiPKT1_PS3_
    .private_segment_fixed_size: 0
    .sgpr_count:     18
    .sgpr_spill_count: 0
    .symbol:         _ZN9rocsparseL32gtsv_transpose_back_array_kernelILj256ELj256E21rocsparse_complex_numIfEEEviiiPKT1_PS3_.kd
    .uniform_work_group_size: 1
    .uses_dynamic_stack: false
    .vgpr_count:     5
    .vgpr_spill_count: 0
    .wavefront_size: 64
  - .agpr_count:     0
    .args:
      - .offset:         0
        .size:           4
        .value_kind:     by_value
      - .offset:         4
        .size:           4
        .value_kind:     by_value
      - .offset:         8
        .size:           4
        .value_kind:     by_value
      - .actual_access:  read_only
        .address_space:  global
        .offset:         16
        .size:           8
        .value_kind:     global_buffer
      - .actual_access:  write_only
        .address_space:  global
        .offset:         24
        .size:           8
        .value_kind:     global_buffer
      - .offset:         32
        .size:           16
        .value_kind:     by_value
    .group_segment_fixed_size: 4096
    .kernarg_segment_align: 8
    .kernarg_segment_size: 48
    .language:       OpenCL C
    .language_version:
      - 2
      - 0
    .max_flat_workgroup_size: 256
    .name:           _ZN9rocsparseL42gtsv_transpose_and_pad_array_shared_kernelILj256ELj2E21rocsparse_complex_numIdEEEviiiPKT1_PS3_S3_
    .private_segment_fixed_size: 0
    .sgpr_count:     22
    .sgpr_spill_count: 0
    .symbol:         _ZN9rocsparseL42gtsv_transpose_and_pad_array_shared_kernelILj256ELj2E21rocsparse_complex_numIdEEEviiiPKT1_PS3_S3_.kd
    .uniform_work_group_size: 1
    .uses_dynamic_stack: false
    .vgpr_count:     6
    .vgpr_spill_count: 0
    .wavefront_size: 64
  - .agpr_count:     0
    .args:
      - .offset:         0
        .size:           4
        .value_kind:     by_value
      - .offset:         4
        .size:           4
        .value_kind:     by_value
      - .offset:         8
        .size:           4
        .value_kind:     by_value
      - .actual_access:  read_only
        .address_space:  global
        .offset:         16
        .size:           8
        .value_kind:     global_buffer
      - .actual_access:  read_only
        .address_space:  global
        .offset:         24
        .size:           8
        .value_kind:     global_buffer
      - .actual_access:  read_only
        .address_space:  global
        .offset:         32
        .size:           8
        .value_kind:     global_buffer
      - .address_space:  global
        .offset:         40
        .size:           8
        .value_kind:     global_buffer
      - .address_space:  global
        .offset:         48
        .size:           8
        .value_kind:     global_buffer
      - .address_space:  global
        .offset:         56
        .size:           8
        .value_kind:     global_buffer
      - .address_space:  global
        .offset:         64
        .size:           8
        .value_kind:     global_buffer
    .group_segment_fixed_size: 0
    .kernarg_segment_align: 8
    .kernarg_segment_size: 72
    .language:       OpenCL C
    .language_version:
      - 2
      - 0
    .max_flat_workgroup_size: 256
    .name:           _ZN9rocsparseL18gtsv_LBM_wv_kernelILj256ELj2E21rocsparse_complex_numIdEEEviiiPKT1_S5_S5_PS3_S6_S6_Pi
    .private_segment_fixed_size: 0
    .sgpr_count:     38
    .sgpr_spill_count: 0
    .symbol:         _ZN9rocsparseL18gtsv_LBM_wv_kernelILj256ELj2E21rocsparse_complex_numIdEEEviiiPKT1_S5_S5_PS3_S6_S6_Pi.kd
    .uniform_work_group_size: 1
    .uses_dynamic_stack: false
    .vgpr_count:     80
    .vgpr_spill_count: 0
    .wavefront_size: 64
  - .agpr_count:     0
    .args:
      - .offset:         0
        .size:           4
        .value_kind:     by_value
      - .offset:         4
        .size:           4
        .value_kind:     by_value
      - .offset:         8
        .size:           4
        .value_kind:     by_value
      - .actual_access:  read_only
        .address_space:  global
        .offset:         16
        .size:           8
        .value_kind:     global_buffer
      - .actual_access:  read_only
        .address_space:  global
        .offset:         24
        .size:           8
        .value_kind:     global_buffer
      - .actual_access:  read_only
        .address_space:  global
        .offset:         32
        .size:           8
        .value_kind:     global_buffer
      - .address_space:  global
        .offset:         40
        .size:           8
        .value_kind:     global_buffer
      - .actual_access:  read_only
        .address_space:  global
        .offset:         48
        .size:           8
        .value_kind:     global_buffer
      - .actual_access:  read_only
        .address_space:  global
        .offset:         56
        .size:           8
        .value_kind:     global_buffer
    .group_segment_fixed_size: 0
    .kernarg_segment_align: 8
    .kernarg_segment_size: 64
    .language:       OpenCL C
    .language_version:
      - 2
      - 0
    .max_flat_workgroup_size: 256
    .name:           _ZN9rocsparseL19gtsv_LBM_rhs_kernelILj256ELj2ELj8E21rocsparse_complex_numIdEEEviiiPKT2_S5_S5_PS3_S5_PKi
    .private_segment_fixed_size: 0
    .sgpr_count:     38
    .sgpr_spill_count: 0
    .symbol:         _ZN9rocsparseL19gtsv_LBM_rhs_kernelILj256ELj2ELj8E21rocsparse_complex_numIdEEEviiiPKT2_S5_S5_PS3_S5_PKi.kd
    .uniform_work_group_size: 1
    .uses_dynamic_stack: false
    .vgpr_count:     140
    .vgpr_spill_count: 0
    .wavefront_size: 64
  - .agpr_count:     0
    .args:
      - .offset:         0
        .size:           4
        .value_kind:     by_value
      - .offset:         4
        .size:           4
        .value_kind:     by_value
      - .offset:         8
        .size:           4
        .value_kind:     by_value
      - .actual_access:  read_only
        .address_space:  global
        .offset:         16
        .size:           8
        .value_kind:     global_buffer
      - .actual_access:  read_only
        .address_space:  global
        .offset:         24
        .size:           8
        .value_kind:     global_buffer
      - .actual_access:  read_only
        .address_space:  global
        .offset:         32
        .size:           8
        .value_kind:     global_buffer
      - .address_space:  global
        .offset:         40
        .size:           8
        .value_kind:     global_buffer
      - .actual_access:  read_only
        .address_space:  global
        .offset:         48
        .size:           8
        .value_kind:     global_buffer
      - .actual_access:  read_only
        .address_space:  global
        .offset:         56
        .size:           8
        .value_kind:     global_buffer
    .group_segment_fixed_size: 0
    .kernarg_segment_align: 8
    .kernarg_segment_size: 64
    .language:       OpenCL C
    .language_version:
      - 2
      - 0
    .max_flat_workgroup_size: 256
    .name:           _ZN9rocsparseL19gtsv_LBM_rhs_kernelILj256ELj2ELj4E21rocsparse_complex_numIdEEEviiiPKT2_S5_S5_PS3_S5_PKi
    .private_segment_fixed_size: 0
    .sgpr_count:     34
    .sgpr_spill_count: 0
    .symbol:         _ZN9rocsparseL19gtsv_LBM_rhs_kernelILj256ELj2ELj4E21rocsparse_complex_numIdEEEviiiPKT2_S5_S5_PS3_S5_PKi.kd
    .uniform_work_group_size: 1
    .uses_dynamic_stack: false
    .vgpr_count:     82
    .vgpr_spill_count: 0
    .wavefront_size: 64
  - .agpr_count:     0
    .args:
      - .offset:         0
        .size:           4
        .value_kind:     by_value
      - .offset:         4
        .size:           4
        .value_kind:     by_value
      - .offset:         8
        .size:           4
        .value_kind:     by_value
      - .actual_access:  read_only
        .address_space:  global
        .offset:         16
        .size:           8
        .value_kind:     global_buffer
      - .actual_access:  read_only
        .address_space:  global
        .offset:         24
        .size:           8
        .value_kind:     global_buffer
      - .actual_access:  read_only
        .address_space:  global
        .offset:         32
        .size:           8
        .value_kind:     global_buffer
      - .address_space:  global
        .offset:         40
        .size:           8
        .value_kind:     global_buffer
      - .actual_access:  read_only
        .address_space:  global
        .offset:         48
        .size:           8
        .value_kind:     global_buffer
      - .actual_access:  read_only
        .address_space:  global
        .offset:         56
        .size:           8
        .value_kind:     global_buffer
    .group_segment_fixed_size: 0
    .kernarg_segment_align: 8
    .kernarg_segment_size: 64
    .language:       OpenCL C
    .language_version:
      - 2
      - 0
    .max_flat_workgroup_size: 256
    .name:           _ZN9rocsparseL19gtsv_LBM_rhs_kernelILj256ELj2ELj2E21rocsparse_complex_numIdEEEviiiPKT2_S5_S5_PS3_S5_PKi
    .private_segment_fixed_size: 0
    .sgpr_count:     32
    .sgpr_spill_count: 0
    .symbol:         _ZN9rocsparseL19gtsv_LBM_rhs_kernelILj256ELj2ELj2E21rocsparse_complex_numIdEEEviiiPKT2_S5_S5_PS3_S5_PKi.kd
    .uniform_work_group_size: 1
    .uses_dynamic_stack: false
    .vgpr_count:     66
    .vgpr_spill_count: 0
    .wavefront_size: 64
  - .agpr_count:     0
    .args:
      - .offset:         0
        .size:           4
        .value_kind:     by_value
      - .offset:         4
        .size:           4
        .value_kind:     by_value
      - .offset:         8
        .size:           4
        .value_kind:     by_value
      - .actual_access:  read_only
        .address_space:  global
        .offset:         16
        .size:           8
        .value_kind:     global_buffer
      - .actual_access:  read_only
        .address_space:  global
        .offset:         24
        .size:           8
        .value_kind:     global_buffer
      - .actual_access:  read_only
        .address_space:  global
        .offset:         32
        .size:           8
        .value_kind:     global_buffer
      - .address_space:  global
        .offset:         40
        .size:           8
        .value_kind:     global_buffer
      - .actual_access:  read_only
        .address_space:  global
        .offset:         48
        .size:           8
        .value_kind:     global_buffer
      - .actual_access:  read_only
        .address_space:  global
        .offset:         56
        .size:           8
        .value_kind:     global_buffer
    .group_segment_fixed_size: 0
    .kernarg_segment_align: 8
    .kernarg_segment_size: 64
    .language:       OpenCL C
    .language_version:
      - 2
      - 0
    .max_flat_workgroup_size: 256
    .name:           _ZN9rocsparseL19gtsv_LBM_rhs_kernelILj256ELj2ELj1E21rocsparse_complex_numIdEEEviiiPKT2_S5_S5_PS3_S5_PKi
    .private_segment_fixed_size: 0
    .sgpr_count:     30
    .sgpr_spill_count: 0
    .symbol:         _ZN9rocsparseL19gtsv_LBM_rhs_kernelILj256ELj2ELj1E21rocsparse_complex_numIdEEEviiiPKT2_S5_S5_PS3_S5_PKi.kd
    .uniform_work_group_size: 1
    .uses_dynamic_stack: false
    .vgpr_count:     48
    .vgpr_spill_count: 0
    .wavefront_size: 64
  - .agpr_count:     0
    .args:
      - .offset:         0
        .size:           4
        .value_kind:     by_value
      - .offset:         4
        .size:           4
        .value_kind:     by_value
      - .offset:         8
        .size:           4
        .value_kind:     by_value
      - .address_space:  global
        .offset:         16
        .size:           8
        .value_kind:     global_buffer
      - .actual_access:  read_only
        .address_space:  global
        .offset:         24
        .size:           8
        .value_kind:     global_buffer
      - .actual_access:  read_only
        .address_space:  global
        .offset:         32
        .size:           8
        .value_kind:     global_buffer
      - .actual_access:  write_only
        .address_space:  global
        .offset:         40
        .size:           8
        .value_kind:     global_buffer
      - .actual_access:  write_only
        .address_space:  global
        .offset:         48
        .size:           8
        .value_kind:     global_buffer
      - .actual_access:  write_only
        .address_space:  global
        .offset:         56
        .size:           8
        .value_kind:     global_buffer
      - .actual_access:  write_only
        .address_space:  global
        .offset:         64
        .size:           8
        .value_kind:     global_buffer
      - .actual_access:  write_only
        .address_space:  global
        .offset:         72
        .size:           8
        .value_kind:     global_buffer
      - .offset:         80
        .size:           4
        .value_kind:     hidden_block_count_x
      - .offset:         84
        .size:           4
        .value_kind:     hidden_block_count_y
      - .offset:         88
        .size:           4
        .value_kind:     hidden_block_count_z
      - .offset:         92
        .size:           2
        .value_kind:     hidden_group_size_x
      - .offset:         94
        .size:           2
        .value_kind:     hidden_group_size_y
      - .offset:         96
        .size:           2
        .value_kind:     hidden_group_size_z
      - .offset:         98
        .size:           2
        .value_kind:     hidden_remainder_x
      - .offset:         100
        .size:           2
        .value_kind:     hidden_remainder_y
      - .offset:         102
        .size:           2
        .value_kind:     hidden_remainder_z
      - .offset:         120
        .size:           8
        .value_kind:     hidden_global_offset_x
      - .offset:         128
        .size:           8
        .value_kind:     hidden_global_offset_y
      - .offset:         136
        .size:           8
        .value_kind:     hidden_global_offset_z
      - .offset:         144
        .size:           2
        .value_kind:     hidden_grid_dims
    .group_segment_fixed_size: 24576
    .kernarg_segment_align: 8
    .kernarg_segment_size: 336
    .language:       OpenCL C
    .language_version:
      - 2
      - 0
    .max_flat_workgroup_size: 256
    .name:           _ZN9rocsparseL29gtsv_spike_block_level_kernelILj256ELj2E21rocsparse_complex_numIdEEEviiiPT1_PKS3_S6_S4_S4_S4_S4_S4_
    .private_segment_fixed_size: 0
    .sgpr_count:     32
    .sgpr_spill_count: 0
    .symbol:         _ZN9rocsparseL29gtsv_spike_block_level_kernelILj256ELj2E21rocsparse_complex_numIdEEEviiiPT1_PKS3_S6_S4_S4_S4_S4_S4_.kd
    .uniform_work_group_size: 1
    .uses_dynamic_stack: false
    .vgpr_count:     49
    .vgpr_spill_count: 0
    .wavefront_size: 64
  - .agpr_count:     0
    .args:
      - .offset:         0
        .size:           4
        .value_kind:     by_value
      - .offset:         4
        .size:           4
        .value_kind:     by_value
      - .offset:         8
        .size:           4
        .value_kind:     by_value
      - .address_space:  global
        .offset:         16
        .size:           8
        .value_kind:     global_buffer
      - .actual_access:  read_only
        .address_space:  global
        .offset:         24
        .size:           8
        .value_kind:     global_buffer
      - .actual_access:  read_only
        .address_space:  global
        .offset:         32
        .size:           8
        .value_kind:     global_buffer
    .group_segment_fixed_size: 192
    .kernarg_segment_align: 8
    .kernarg_segment_size: 40
    .language:       OpenCL C
    .language_version:
      - 2
      - 0
    .max_flat_workgroup_size: 2
    .name:           _ZN9rocsparseL34gtsv_solve_spike_grid_level_kernelILj2E21rocsparse_complex_numIdEEEviiiPT0_PKS3_S6_
    .private_segment_fixed_size: 0
    .sgpr_count:     16
    .sgpr_spill_count: 0
    .symbol:         _ZN9rocsparseL34gtsv_solve_spike_grid_level_kernelILj2E21rocsparse_complex_numIdEEEviiiPT0_PKS3_S6_.kd
    .uniform_work_group_size: 1
    .uses_dynamic_stack: false
    .vgpr_count:     60
    .vgpr_spill_count: 0
    .wavefront_size: 64
  - .agpr_count:     0
    .args:
      - .offset:         0
        .size:           4
        .value_kind:     by_value
      - .offset:         4
        .size:           4
        .value_kind:     by_value
      - .offset:         8
        .size:           4
        .value_kind:     by_value
      - .address_space:  global
        .offset:         16
        .size:           8
        .value_kind:     global_buffer
      - .actual_access:  read_only
        .address_space:  global
        .offset:         24
        .size:           8
        .value_kind:     global_buffer
      - .actual_access:  read_only
        .address_space:  global
        .offset:         32
        .size:           8
        .value_kind:     global_buffer
    .group_segment_fixed_size: 384
    .kernarg_segment_align: 8
    .kernarg_segment_size: 40
    .language:       OpenCL C
    .language_version:
      - 2
      - 0
    .max_flat_workgroup_size: 4
    .name:           _ZN9rocsparseL34gtsv_solve_spike_grid_level_kernelILj4E21rocsparse_complex_numIdEEEviiiPT0_PKS3_S6_
    .private_segment_fixed_size: 0
    .sgpr_count:     16
    .sgpr_spill_count: 0
    .symbol:         _ZN9rocsparseL34gtsv_solve_spike_grid_level_kernelILj4E21rocsparse_complex_numIdEEEviiiPT0_PKS3_S6_.kd
    .uniform_work_group_size: 1
    .uses_dynamic_stack: false
    .vgpr_count:     62
    .vgpr_spill_count: 0
    .wavefront_size: 64
  - .agpr_count:     0
    .args:
      - .offset:         0
        .size:           4
        .value_kind:     by_value
      - .offset:         4
        .size:           4
        .value_kind:     by_value
      - .offset:         8
        .size:           4
        .value_kind:     by_value
      - .address_space:  global
        .offset:         16
        .size:           8
        .value_kind:     global_buffer
      - .actual_access:  read_only
        .address_space:  global
        .offset:         24
        .size:           8
        .value_kind:     global_buffer
      - .actual_access:  read_only
        .address_space:  global
        .offset:         32
        .size:           8
        .value_kind:     global_buffer
    .group_segment_fixed_size: 768
    .kernarg_segment_align: 8
    .kernarg_segment_size: 40
    .language:       OpenCL C
    .language_version:
      - 2
      - 0
    .max_flat_workgroup_size: 8
    .name:           _ZN9rocsparseL34gtsv_solve_spike_grid_level_kernelILj8E21rocsparse_complex_numIdEEEviiiPT0_PKS3_S6_
    .private_segment_fixed_size: 0
    .sgpr_count:     16
    .sgpr_spill_count: 0
    .symbol:         _ZN9rocsparseL34gtsv_solve_spike_grid_level_kernelILj8E21rocsparse_complex_numIdEEEviiiPT0_PKS3_S6_.kd
    .uniform_work_group_size: 1
    .uses_dynamic_stack: false
    .vgpr_count:     58
    .vgpr_spill_count: 0
    .wavefront_size: 64
  - .agpr_count:     0
    .args:
      - .offset:         0
        .size:           4
        .value_kind:     by_value
      - .offset:         4
        .size:           4
        .value_kind:     by_value
      - .offset:         8
        .size:           4
        .value_kind:     by_value
      - .address_space:  global
        .offset:         16
        .size:           8
        .value_kind:     global_buffer
      - .actual_access:  read_only
        .address_space:  global
        .offset:         24
        .size:           8
        .value_kind:     global_buffer
      - .actual_access:  read_only
        .address_space:  global
        .offset:         32
        .size:           8
        .value_kind:     global_buffer
    .group_segment_fixed_size: 1536
    .kernarg_segment_align: 8
    .kernarg_segment_size: 40
    .language:       OpenCL C
    .language_version:
      - 2
      - 0
    .max_flat_workgroup_size: 16
    .name:           _ZN9rocsparseL34gtsv_solve_spike_grid_level_kernelILj16E21rocsparse_complex_numIdEEEviiiPT0_PKS3_S6_
    .private_segment_fixed_size: 0
    .sgpr_count:     16
    .sgpr_spill_count: 0
    .symbol:         _ZN9rocsparseL34gtsv_solve_spike_grid_level_kernelILj16E21rocsparse_complex_numIdEEEviiiPT0_PKS3_S6_.kd
    .uniform_work_group_size: 1
    .uses_dynamic_stack: false
    .vgpr_count:     58
    .vgpr_spill_count: 0
    .wavefront_size: 64
  - .agpr_count:     0
    .args:
      - .offset:         0
        .size:           4
        .value_kind:     by_value
      - .offset:         4
        .size:           4
        .value_kind:     by_value
      - .offset:         8
        .size:           4
        .value_kind:     by_value
      - .address_space:  global
        .offset:         16
        .size:           8
        .value_kind:     global_buffer
      - .actual_access:  read_only
        .address_space:  global
        .offset:         24
        .size:           8
        .value_kind:     global_buffer
      - .actual_access:  read_only
        .address_space:  global
        .offset:         32
        .size:           8
        .value_kind:     global_buffer
    .group_segment_fixed_size: 3072
    .kernarg_segment_align: 8
    .kernarg_segment_size: 40
    .language:       OpenCL C
    .language_version:
      - 2
      - 0
    .max_flat_workgroup_size: 32
    .name:           _ZN9rocsparseL34gtsv_solve_spike_grid_level_kernelILj32E21rocsparse_complex_numIdEEEviiiPT0_PKS3_S6_
    .private_segment_fixed_size: 0
    .sgpr_count:     18
    .sgpr_spill_count: 0
    .symbol:         _ZN9rocsparseL34gtsv_solve_spike_grid_level_kernelILj32E21rocsparse_complex_numIdEEEviiiPT0_PKS3_S6_.kd
    .uniform_work_group_size: 1
    .uses_dynamic_stack: false
    .vgpr_count:     60
    .vgpr_spill_count: 0
    .wavefront_size: 64
  - .agpr_count:     0
    .args:
      - .offset:         0
        .size:           4
        .value_kind:     by_value
      - .offset:         4
        .size:           4
        .value_kind:     by_value
      - .offset:         8
        .size:           4
        .value_kind:     by_value
      - .address_space:  global
        .offset:         16
        .size:           8
        .value_kind:     global_buffer
      - .actual_access:  read_only
        .address_space:  global
        .offset:         24
        .size:           8
        .value_kind:     global_buffer
      - .actual_access:  read_only
        .address_space:  global
        .offset:         32
        .size:           8
        .value_kind:     global_buffer
    .group_segment_fixed_size: 6144
    .kernarg_segment_align: 8
    .kernarg_segment_size: 40
    .language:       OpenCL C
    .language_version:
      - 2
      - 0
    .max_flat_workgroup_size: 64
    .name:           _ZN9rocsparseL34gtsv_solve_spike_grid_level_kernelILj64E21rocsparse_complex_numIdEEEviiiPT0_PKS3_S6_
    .private_segment_fixed_size: 0
    .sgpr_count:     20
    .sgpr_spill_count: 0
    .symbol:         _ZN9rocsparseL34gtsv_solve_spike_grid_level_kernelILj64E21rocsparse_complex_numIdEEEviiiPT0_PKS3_S6_.kd
    .uniform_work_group_size: 1
    .uses_dynamic_stack: false
    .vgpr_count:     61
    .vgpr_spill_count: 0
    .wavefront_size: 64
  - .agpr_count:     0
    .args:
      - .offset:         0
        .size:           4
        .value_kind:     by_value
      - .offset:         4
        .size:           4
        .value_kind:     by_value
      - .offset:         8
        .size:           4
        .value_kind:     by_value
      - .address_space:  global
        .offset:         16
        .size:           8
        .value_kind:     global_buffer
      - .actual_access:  read_only
        .address_space:  global
        .offset:         24
        .size:           8
        .value_kind:     global_buffer
      - .actual_access:  read_only
        .address_space:  global
        .offset:         32
        .size:           8
        .value_kind:     global_buffer
    .group_segment_fixed_size: 12288
    .kernarg_segment_align: 8
    .kernarg_segment_size: 40
    .language:       OpenCL C
    .language_version:
      - 2
      - 0
    .max_flat_workgroup_size: 128
    .name:           _ZN9rocsparseL34gtsv_solve_spike_grid_level_kernelILj128E21rocsparse_complex_numIdEEEviiiPT0_PKS3_S6_
    .private_segment_fixed_size: 0
    .sgpr_count:     16
    .sgpr_spill_count: 0
    .symbol:         _ZN9rocsparseL34gtsv_solve_spike_grid_level_kernelILj128E21rocsparse_complex_numIdEEEviiiPT0_PKS3_S6_.kd
    .uniform_work_group_size: 1
    .uses_dynamic_stack: false
    .vgpr_count:     47
    .vgpr_spill_count: 0
    .wavefront_size: 64
  - .agpr_count:     0
    .args:
      - .offset:         0
        .size:           4
        .value_kind:     by_value
      - .offset:         4
        .size:           4
        .value_kind:     by_value
      - .offset:         8
        .size:           4
        .value_kind:     by_value
      - .address_space:  global
        .offset:         16
        .size:           8
        .value_kind:     global_buffer
      - .actual_access:  read_only
        .address_space:  global
        .offset:         24
        .size:           8
        .value_kind:     global_buffer
      - .actual_access:  read_only
        .address_space:  global
        .offset:         32
        .size:           8
        .value_kind:     global_buffer
    .group_segment_fixed_size: 24576
    .kernarg_segment_align: 8
    .kernarg_segment_size: 40
    .language:       OpenCL C
    .language_version:
      - 2
      - 0
    .max_flat_workgroup_size: 256
    .name:           _ZN9rocsparseL34gtsv_solve_spike_grid_level_kernelILj256E21rocsparse_complex_numIdEEEviiiPT0_PKS3_S6_
    .private_segment_fixed_size: 0
    .sgpr_count:     16
    .sgpr_spill_count: 0
    .symbol:         _ZN9rocsparseL34gtsv_solve_spike_grid_level_kernelILj256E21rocsparse_complex_numIdEEEviiiPT0_PKS3_S6_.kd
    .uniform_work_group_size: 1
    .uses_dynamic_stack: false
    .vgpr_count:     47
    .vgpr_spill_count: 0
    .wavefront_size: 64
  - .agpr_count:     0
    .args:
      - .offset:         0
        .size:           4
        .value_kind:     by_value
      - .offset:         4
        .size:           4
        .value_kind:     by_value
      - .offset:         8
        .size:           4
        .value_kind:     by_value
      - .address_space:  global
        .offset:         16
        .size:           8
        .value_kind:     global_buffer
      - .actual_access:  read_only
        .address_space:  global
        .offset:         24
        .size:           8
        .value_kind:     global_buffer
      - .actual_access:  read_only
        .address_space:  global
        .offset:         32
        .size:           8
        .value_kind:     global_buffer
    .group_segment_fixed_size: 49152
    .kernarg_segment_align: 8
    .kernarg_segment_size: 40
    .language:       OpenCL C
    .language_version:
      - 2
      - 0
    .max_flat_workgroup_size: 512
    .name:           _ZN9rocsparseL34gtsv_solve_spike_grid_level_kernelILj512E21rocsparse_complex_numIdEEEviiiPT0_PKS3_S6_
    .private_segment_fixed_size: 0
    .sgpr_count:     16
    .sgpr_spill_count: 0
    .symbol:         _ZN9rocsparseL34gtsv_solve_spike_grid_level_kernelILj512E21rocsparse_complex_numIdEEEviiiPT0_PKS3_S6_.kd
    .uniform_work_group_size: 1
    .uses_dynamic_stack: false
    .vgpr_count:     43
    .vgpr_spill_count: 0
    .wavefront_size: 64
  - .agpr_count:     0
    .args:
      - .offset:         0
        .size:           4
        .value_kind:     by_value
      - .offset:         4
        .size:           4
        .value_kind:     by_value
      - .offset:         8
        .size:           4
        .value_kind:     by_value
      - .address_space:  global
        .offset:         16
        .size:           8
        .value_kind:     global_buffer
      - .actual_access:  read_only
        .address_space:  global
        .offset:         24
        .size:           8
        .value_kind:     global_buffer
      - .actual_access:  read_only
        .address_space:  global
        .offset:         32
        .size:           8
        .value_kind:     global_buffer
      - .actual_access:  read_only
        .address_space:  global
        .offset:         40
        .size:           8
        .value_kind:     global_buffer
      - .offset:         48
        .size:           4
        .value_kind:     hidden_block_count_x
      - .offset:         52
        .size:           4
        .value_kind:     hidden_block_count_y
      - .offset:         56
        .size:           4
        .value_kind:     hidden_block_count_z
      - .offset:         60
        .size:           2
        .value_kind:     hidden_group_size_x
      - .offset:         62
        .size:           2
        .value_kind:     hidden_group_size_y
      - .offset:         64
        .size:           2
        .value_kind:     hidden_group_size_z
      - .offset:         66
        .size:           2
        .value_kind:     hidden_remainder_x
      - .offset:         68
        .size:           2
        .value_kind:     hidden_remainder_y
      - .offset:         70
        .size:           2
        .value_kind:     hidden_remainder_z
      - .offset:         88
        .size:           8
        .value_kind:     hidden_global_offset_x
      - .offset:         96
        .size:           8
        .value_kind:     hidden_global_offset_y
      - .offset:         104
        .size:           8
        .value_kind:     hidden_global_offset_z
      - .offset:         112
        .size:           2
        .value_kind:     hidden_grid_dims
    .group_segment_fixed_size: 24608
    .kernarg_segment_align: 8
    .kernarg_segment_size: 304
    .language:       OpenCL C
    .language_version:
      - 2
      - 0
    .max_flat_workgroup_size: 256
    .name:           _ZN9rocsparseL33gtsv_solve_spike_propagate_kernelILj256ELj2E21rocsparse_complex_numIdEEEviiiPT1_PKS3_S6_S6_
    .private_segment_fixed_size: 0
    .sgpr_count:     28
    .sgpr_spill_count: 0
    .symbol:         _ZN9rocsparseL33gtsv_solve_spike_propagate_kernelILj256ELj2E21rocsparse_complex_numIdEEEviiiPT1_PKS3_S6_S6_.kd
    .uniform_work_group_size: 1
    .uses_dynamic_stack: false
    .vgpr_count:     35
    .vgpr_spill_count: 0
    .wavefront_size: 64
  - .agpr_count:     0
    .args:
      - .offset:         0
        .size:           4
        .value_kind:     by_value
      - .offset:         4
        .size:           4
        .value_kind:     by_value
      - .offset:         8
        .size:           4
        .value_kind:     by_value
      - .actual_access:  read_only
        .address_space:  global
        .offset:         16
        .size:           8
        .value_kind:     global_buffer
      - .actual_access:  read_only
        .address_space:  global
        .offset:         24
        .size:           8
        .value_kind:     global_buffer
      - .actual_access:  read_only
        .address_space:  global
        .offset:         32
        .size:           8
        .value_kind:     global_buffer
    .group_segment_fixed_size: 0
    .kernarg_segment_align: 8
    .kernarg_segment_size: 40
    .language:       OpenCL C
    .language_version:
      - 2
      - 0
    .max_flat_workgroup_size: 256
    .name:           _ZN9rocsparseL39gtsv_spike_backward_substitution_kernelILj256ELj2E21rocsparse_complex_numIdEEEviiiPT1_PKS3_S6_
    .private_segment_fixed_size: 0
    .sgpr_count:     6
    .sgpr_spill_count: 0
    .symbol:         _ZN9rocsparseL39gtsv_spike_backward_substitution_kernelILj256ELj2E21rocsparse_complex_numIdEEEviiiPT1_PKS3_S6_.kd
    .uniform_work_group_size: 1
    .uses_dynamic_stack: false
    .vgpr_count:     0
    .vgpr_spill_count: 0
    .wavefront_size: 64
  - .agpr_count:     0
    .args:
      - .offset:         0
        .size:           4
        .value_kind:     by_value
      - .offset:         4
        .size:           4
        .value_kind:     by_value
      - .offset:         8
        .size:           4
        .value_kind:     by_value
      - .actual_access:  read_only
        .address_space:  global
        .offset:         16
        .size:           8
        .value_kind:     global_buffer
      - .actual_access:  write_only
        .address_space:  global
        .offset:         24
        .size:           8
        .value_kind:     global_buffer
    .group_segment_fixed_size: 0
    .kernarg_segment_align: 8
    .kernarg_segment_size: 32
    .language:       OpenCL C
    .language_version:
      - 2
      - 0
    .max_flat_workgroup_size: 256
    .name:           _ZN9rocsparseL32gtsv_transpose_back_array_kernelILj256ELj2E21rocsparse_complex_numIdEEEviiiPKT1_PS3_
    .private_segment_fixed_size: 0
    .sgpr_count:     18
    .sgpr_spill_count: 0
    .symbol:         _ZN9rocsparseL32gtsv_transpose_back_array_kernelILj256ELj2E21rocsparse_complex_numIdEEEviiiPKT1_PS3_.kd
    .uniform_work_group_size: 1
    .uses_dynamic_stack: false
    .vgpr_count:     6
    .vgpr_spill_count: 0
    .wavefront_size: 64
  - .agpr_count:     0
    .args:
      - .offset:         0
        .size:           4
        .value_kind:     by_value
      - .offset:         4
        .size:           4
        .value_kind:     by_value
      - .offset:         8
        .size:           4
        .value_kind:     by_value
      - .actual_access:  read_only
        .address_space:  global
        .offset:         16
        .size:           8
        .value_kind:     global_buffer
      - .actual_access:  write_only
        .address_space:  global
        .offset:         24
        .size:           8
        .value_kind:     global_buffer
      - .offset:         32
        .size:           16
        .value_kind:     by_value
    .group_segment_fixed_size: 4096
    .kernarg_segment_align: 8
    .kernarg_segment_size: 48
    .language:       OpenCL C
    .language_version:
      - 2
      - 0
    .max_flat_workgroup_size: 256
    .name:           _ZN9rocsparseL42gtsv_transpose_and_pad_array_shared_kernelILj256ELj4E21rocsparse_complex_numIdEEEviiiPKT1_PS3_S3_
    .private_segment_fixed_size: 0
    .sgpr_count:     22
    .sgpr_spill_count: 0
    .symbol:         _ZN9rocsparseL42gtsv_transpose_and_pad_array_shared_kernelILj256ELj4E21rocsparse_complex_numIdEEEviiiPKT1_PS3_S3_.kd
    .uniform_work_group_size: 1
    .uses_dynamic_stack: false
    .vgpr_count:     6
    .vgpr_spill_count: 0
    .wavefront_size: 64
  - .agpr_count:     0
    .args:
      - .offset:         0
        .size:           4
        .value_kind:     by_value
      - .offset:         4
        .size:           4
        .value_kind:     by_value
      - .offset:         8
        .size:           4
        .value_kind:     by_value
      - .actual_access:  read_only
        .address_space:  global
        .offset:         16
        .size:           8
        .value_kind:     global_buffer
      - .actual_access:  read_only
        .address_space:  global
        .offset:         24
        .size:           8
        .value_kind:     global_buffer
      - .actual_access:  read_only
        .address_space:  global
        .offset:         32
        .size:           8
        .value_kind:     global_buffer
      - .address_space:  global
        .offset:         40
        .size:           8
        .value_kind:     global_buffer
      - .address_space:  global
        .offset:         48
        .size:           8
        .value_kind:     global_buffer
      - .address_space:  global
        .offset:         56
        .size:           8
        .value_kind:     global_buffer
      - .address_space:  global
        .offset:         64
        .size:           8
        .value_kind:     global_buffer
    .group_segment_fixed_size: 0
    .kernarg_segment_align: 8
    .kernarg_segment_size: 72
    .language:       OpenCL C
    .language_version:
      - 2
      - 0
    .max_flat_workgroup_size: 256
    .name:           _ZN9rocsparseL18gtsv_LBM_wv_kernelILj256ELj4E21rocsparse_complex_numIdEEEviiiPKT1_S5_S5_PS3_S6_S6_Pi
    .private_segment_fixed_size: 0
    .sgpr_count:     42
    .sgpr_spill_count: 0
    .symbol:         _ZN9rocsparseL18gtsv_LBM_wv_kernelILj256ELj4E21rocsparse_complex_numIdEEEviiiPKT1_S5_S5_PS3_S6_S6_Pi.kd
    .uniform_work_group_size: 1
    .uses_dynamic_stack: false
    .vgpr_count:     84
    .vgpr_spill_count: 0
    .wavefront_size: 64
  - .agpr_count:     0
    .args:
      - .offset:         0
        .size:           4
        .value_kind:     by_value
      - .offset:         4
        .size:           4
        .value_kind:     by_value
      - .offset:         8
        .size:           4
        .value_kind:     by_value
      - .actual_access:  read_only
        .address_space:  global
        .offset:         16
        .size:           8
        .value_kind:     global_buffer
      - .actual_access:  read_only
        .address_space:  global
        .offset:         24
        .size:           8
        .value_kind:     global_buffer
      - .actual_access:  read_only
        .address_space:  global
        .offset:         32
        .size:           8
        .value_kind:     global_buffer
      - .address_space:  global
        .offset:         40
        .size:           8
        .value_kind:     global_buffer
      - .actual_access:  read_only
        .address_space:  global
        .offset:         48
        .size:           8
        .value_kind:     global_buffer
      - .actual_access:  read_only
        .address_space:  global
        .offset:         56
        .size:           8
        .value_kind:     global_buffer
    .group_segment_fixed_size: 0
    .kernarg_segment_align: 8
    .kernarg_segment_size: 64
    .language:       OpenCL C
    .language_version:
      - 2
      - 0
    .max_flat_workgroup_size: 256
    .name:           _ZN9rocsparseL19gtsv_LBM_rhs_kernelILj256ELj4ELj8E21rocsparse_complex_numIdEEEviiiPKT2_S5_S5_PS3_S5_PKi
    .private_segment_fixed_size: 0
    .sgpr_count:     42
    .sgpr_spill_count: 0
    .symbol:         _ZN9rocsparseL19gtsv_LBM_rhs_kernelILj256ELj4ELj8E21rocsparse_complex_numIdEEEviiiPKT2_S5_S5_PS3_S5_PKi.kd
    .uniform_work_group_size: 1
    .uses_dynamic_stack: false
    .vgpr_count:     156
    .vgpr_spill_count: 0
    .wavefront_size: 64
  - .agpr_count:     0
    .args:
      - .offset:         0
        .size:           4
        .value_kind:     by_value
      - .offset:         4
        .size:           4
        .value_kind:     by_value
      - .offset:         8
        .size:           4
        .value_kind:     by_value
      - .actual_access:  read_only
        .address_space:  global
        .offset:         16
        .size:           8
        .value_kind:     global_buffer
      - .actual_access:  read_only
        .address_space:  global
        .offset:         24
        .size:           8
        .value_kind:     global_buffer
      - .actual_access:  read_only
        .address_space:  global
        .offset:         32
        .size:           8
        .value_kind:     global_buffer
      - .address_space:  global
        .offset:         40
        .size:           8
        .value_kind:     global_buffer
      - .actual_access:  read_only
        .address_space:  global
        .offset:         48
        .size:           8
        .value_kind:     global_buffer
      - .actual_access:  read_only
        .address_space:  global
        .offset:         56
        .size:           8
        .value_kind:     global_buffer
    .group_segment_fixed_size: 0
    .kernarg_segment_align: 8
    .kernarg_segment_size: 64
    .language:       OpenCL C
    .language_version:
      - 2
      - 0
    .max_flat_workgroup_size: 256
    .name:           _ZN9rocsparseL19gtsv_LBM_rhs_kernelILj256ELj4ELj4E21rocsparse_complex_numIdEEEviiiPKT2_S5_S5_PS3_S5_PKi
    .private_segment_fixed_size: 0
    .sgpr_count:     37
    .sgpr_spill_count: 0
    .symbol:         _ZN9rocsparseL19gtsv_LBM_rhs_kernelILj256ELj4ELj4E21rocsparse_complex_numIdEEEviiiPKT2_S5_S5_PS3_S5_PKi.kd
    .uniform_work_group_size: 1
    .uses_dynamic_stack: false
    .vgpr_count:     98
    .vgpr_spill_count: 0
    .wavefront_size: 64
  - .agpr_count:     0
    .args:
      - .offset:         0
        .size:           4
        .value_kind:     by_value
      - .offset:         4
        .size:           4
        .value_kind:     by_value
      - .offset:         8
        .size:           4
        .value_kind:     by_value
      - .actual_access:  read_only
        .address_space:  global
        .offset:         16
        .size:           8
        .value_kind:     global_buffer
      - .actual_access:  read_only
        .address_space:  global
        .offset:         24
        .size:           8
        .value_kind:     global_buffer
      - .actual_access:  read_only
        .address_space:  global
        .offset:         32
        .size:           8
        .value_kind:     global_buffer
      - .address_space:  global
        .offset:         40
        .size:           8
        .value_kind:     global_buffer
      - .actual_access:  read_only
        .address_space:  global
        .offset:         48
        .size:           8
        .value_kind:     global_buffer
      - .actual_access:  read_only
        .address_space:  global
        .offset:         56
        .size:           8
        .value_kind:     global_buffer
    .group_segment_fixed_size: 0
    .kernarg_segment_align: 8
    .kernarg_segment_size: 64
    .language:       OpenCL C
    .language_version:
      - 2
      - 0
    .max_flat_workgroup_size: 256
    .name:           _ZN9rocsparseL19gtsv_LBM_rhs_kernelILj256ELj4ELj2E21rocsparse_complex_numIdEEEviiiPKT2_S5_S5_PS3_S5_PKi
    .private_segment_fixed_size: 0
    .sgpr_count:     35
    .sgpr_spill_count: 0
    .symbol:         _ZN9rocsparseL19gtsv_LBM_rhs_kernelILj256ELj4ELj2E21rocsparse_complex_numIdEEEviiiPKT2_S5_S5_PS3_S5_PKi.kd
    .uniform_work_group_size: 1
    .uses_dynamic_stack: false
    .vgpr_count:     78
    .vgpr_spill_count: 0
    .wavefront_size: 64
  - .agpr_count:     0
    .args:
      - .offset:         0
        .size:           4
        .value_kind:     by_value
      - .offset:         4
        .size:           4
        .value_kind:     by_value
      - .offset:         8
        .size:           4
        .value_kind:     by_value
      - .actual_access:  read_only
        .address_space:  global
        .offset:         16
        .size:           8
        .value_kind:     global_buffer
      - .actual_access:  read_only
        .address_space:  global
        .offset:         24
        .size:           8
        .value_kind:     global_buffer
      - .actual_access:  read_only
        .address_space:  global
        .offset:         32
        .size:           8
        .value_kind:     global_buffer
      - .address_space:  global
        .offset:         40
        .size:           8
        .value_kind:     global_buffer
      - .actual_access:  read_only
        .address_space:  global
        .offset:         48
        .size:           8
        .value_kind:     global_buffer
      - .actual_access:  read_only
        .address_space:  global
        .offset:         56
        .size:           8
        .value_kind:     global_buffer
    .group_segment_fixed_size: 0
    .kernarg_segment_align: 8
    .kernarg_segment_size: 64
    .language:       OpenCL C
    .language_version:
      - 2
      - 0
    .max_flat_workgroup_size: 256
    .name:           _ZN9rocsparseL19gtsv_LBM_rhs_kernelILj256ELj4ELj1E21rocsparse_complex_numIdEEEviiiPKT2_S5_S5_PS3_S5_PKi
    .private_segment_fixed_size: 0
    .sgpr_count:     33
    .sgpr_spill_count: 0
    .symbol:         _ZN9rocsparseL19gtsv_LBM_rhs_kernelILj256ELj4ELj1E21rocsparse_complex_numIdEEEviiiPKT2_S5_S5_PS3_S5_PKi.kd
    .uniform_work_group_size: 1
    .uses_dynamic_stack: false
    .vgpr_count:     62
    .vgpr_spill_count: 0
    .wavefront_size: 64
  - .agpr_count:     0
    .args:
      - .offset:         0
        .size:           4
        .value_kind:     by_value
      - .offset:         4
        .size:           4
        .value_kind:     by_value
      - .offset:         8
        .size:           4
        .value_kind:     by_value
      - .address_space:  global
        .offset:         16
        .size:           8
        .value_kind:     global_buffer
      - .actual_access:  read_only
        .address_space:  global
        .offset:         24
        .size:           8
        .value_kind:     global_buffer
      - .actual_access:  read_only
        .address_space:  global
        .offset:         32
        .size:           8
        .value_kind:     global_buffer
      - .actual_access:  write_only
        .address_space:  global
        .offset:         40
        .size:           8
        .value_kind:     global_buffer
      - .actual_access:  write_only
        .address_space:  global
        .offset:         48
        .size:           8
        .value_kind:     global_buffer
      - .actual_access:  write_only
        .address_space:  global
        .offset:         56
        .size:           8
        .value_kind:     global_buffer
      - .actual_access:  write_only
        .address_space:  global
        .offset:         64
        .size:           8
        .value_kind:     global_buffer
      - .actual_access:  write_only
        .address_space:  global
        .offset:         72
        .size:           8
        .value_kind:     global_buffer
      - .offset:         80
        .size:           4
        .value_kind:     hidden_block_count_x
      - .offset:         84
        .size:           4
        .value_kind:     hidden_block_count_y
      - .offset:         88
        .size:           4
        .value_kind:     hidden_block_count_z
      - .offset:         92
        .size:           2
        .value_kind:     hidden_group_size_x
      - .offset:         94
        .size:           2
        .value_kind:     hidden_group_size_y
      - .offset:         96
        .size:           2
        .value_kind:     hidden_group_size_z
      - .offset:         98
        .size:           2
        .value_kind:     hidden_remainder_x
      - .offset:         100
        .size:           2
        .value_kind:     hidden_remainder_y
      - .offset:         102
        .size:           2
        .value_kind:     hidden_remainder_z
      - .offset:         120
        .size:           8
        .value_kind:     hidden_global_offset_x
      - .offset:         128
        .size:           8
        .value_kind:     hidden_global_offset_y
      - .offset:         136
        .size:           8
        .value_kind:     hidden_global_offset_z
      - .offset:         144
        .size:           2
        .value_kind:     hidden_grid_dims
    .group_segment_fixed_size: 24576
    .kernarg_segment_align: 8
    .kernarg_segment_size: 336
    .language:       OpenCL C
    .language_version:
      - 2
      - 0
    .max_flat_workgroup_size: 256
    .name:           _ZN9rocsparseL29gtsv_spike_block_level_kernelILj256ELj4E21rocsparse_complex_numIdEEEviiiPT1_PKS3_S6_S4_S4_S4_S4_S4_
    .private_segment_fixed_size: 0
    .sgpr_count:     32
    .sgpr_spill_count: 0
    .symbol:         _ZN9rocsparseL29gtsv_spike_block_level_kernelILj256ELj4E21rocsparse_complex_numIdEEEviiiPT1_PKS3_S6_S4_S4_S4_S4_S4_.kd
    .uniform_work_group_size: 1
    .uses_dynamic_stack: false
    .vgpr_count:     48
    .vgpr_spill_count: 0
    .wavefront_size: 64
  - .agpr_count:     0
    .args:
      - .offset:         0
        .size:           4
        .value_kind:     by_value
      - .offset:         4
        .size:           4
        .value_kind:     by_value
      - .offset:         8
        .size:           4
        .value_kind:     by_value
      - .address_space:  global
        .offset:         16
        .size:           8
        .value_kind:     global_buffer
      - .actual_access:  read_only
        .address_space:  global
        .offset:         24
        .size:           8
        .value_kind:     global_buffer
      - .actual_access:  read_only
        .address_space:  global
        .offset:         32
        .size:           8
        .value_kind:     global_buffer
      - .actual_access:  read_only
        .address_space:  global
        .offset:         40
        .size:           8
        .value_kind:     global_buffer
      - .offset:         48
        .size:           4
        .value_kind:     hidden_block_count_x
      - .offset:         52
        .size:           4
        .value_kind:     hidden_block_count_y
      - .offset:         56
        .size:           4
        .value_kind:     hidden_block_count_z
      - .offset:         60
        .size:           2
        .value_kind:     hidden_group_size_x
      - .offset:         62
        .size:           2
        .value_kind:     hidden_group_size_y
      - .offset:         64
        .size:           2
        .value_kind:     hidden_group_size_z
      - .offset:         66
        .size:           2
        .value_kind:     hidden_remainder_x
      - .offset:         68
        .size:           2
        .value_kind:     hidden_remainder_y
      - .offset:         70
        .size:           2
        .value_kind:     hidden_remainder_z
      - .offset:         88
        .size:           8
        .value_kind:     hidden_global_offset_x
      - .offset:         96
        .size:           8
        .value_kind:     hidden_global_offset_y
      - .offset:         104
        .size:           8
        .value_kind:     hidden_global_offset_z
      - .offset:         112
        .size:           2
        .value_kind:     hidden_grid_dims
    .group_segment_fixed_size: 24608
    .kernarg_segment_align: 8
    .kernarg_segment_size: 304
    .language:       OpenCL C
    .language_version:
      - 2
      - 0
    .max_flat_workgroup_size: 256
    .name:           _ZN9rocsparseL33gtsv_solve_spike_propagate_kernelILj256ELj4E21rocsparse_complex_numIdEEEviiiPT1_PKS3_S6_S6_
    .private_segment_fixed_size: 0
    .sgpr_count:     28
    .sgpr_spill_count: 0
    .symbol:         _ZN9rocsparseL33gtsv_solve_spike_propagate_kernelILj256ELj4E21rocsparse_complex_numIdEEEviiiPT1_PKS3_S6_S6_.kd
    .uniform_work_group_size: 1
    .uses_dynamic_stack: false
    .vgpr_count:     35
    .vgpr_spill_count: 0
    .wavefront_size: 64
  - .agpr_count:     0
    .args:
      - .offset:         0
        .size:           4
        .value_kind:     by_value
      - .offset:         4
        .size:           4
        .value_kind:     by_value
      - .offset:         8
        .size:           4
        .value_kind:     by_value
      - .address_space:  global
        .offset:         16
        .size:           8
        .value_kind:     global_buffer
      - .actual_access:  read_only
        .address_space:  global
        .offset:         24
        .size:           8
        .value_kind:     global_buffer
      - .actual_access:  read_only
        .address_space:  global
        .offset:         32
        .size:           8
        .value_kind:     global_buffer
    .group_segment_fixed_size: 0
    .kernarg_segment_align: 8
    .kernarg_segment_size: 40
    .language:       OpenCL C
    .language_version:
      - 2
      - 0
    .max_flat_workgroup_size: 256
    .name:           _ZN9rocsparseL39gtsv_spike_backward_substitution_kernelILj256ELj4E21rocsparse_complex_numIdEEEviiiPT1_PKS3_S6_
    .private_segment_fixed_size: 0
    .sgpr_count:     19
    .sgpr_spill_count: 0
    .symbol:         _ZN9rocsparseL39gtsv_spike_backward_substitution_kernelILj256ELj4E21rocsparse_complex_numIdEEEviiiPT1_PKS3_S6_.kd
    .uniform_work_group_size: 1
    .uses_dynamic_stack: false
    .vgpr_count:     40
    .vgpr_spill_count: 0
    .wavefront_size: 64
  - .agpr_count:     0
    .args:
      - .offset:         0
        .size:           4
        .value_kind:     by_value
      - .offset:         4
        .size:           4
        .value_kind:     by_value
      - .offset:         8
        .size:           4
        .value_kind:     by_value
      - .actual_access:  read_only
        .address_space:  global
        .offset:         16
        .size:           8
        .value_kind:     global_buffer
      - .actual_access:  write_only
        .address_space:  global
        .offset:         24
        .size:           8
        .value_kind:     global_buffer
    .group_segment_fixed_size: 0
    .kernarg_segment_align: 8
    .kernarg_segment_size: 32
    .language:       OpenCL C
    .language_version:
      - 2
      - 0
    .max_flat_workgroup_size: 256
    .name:           _ZN9rocsparseL32gtsv_transpose_back_array_kernelILj256ELj4E21rocsparse_complex_numIdEEEviiiPKT1_PS3_
    .private_segment_fixed_size: 0
    .sgpr_count:     18
    .sgpr_spill_count: 0
    .symbol:         _ZN9rocsparseL32gtsv_transpose_back_array_kernelILj256ELj4E21rocsparse_complex_numIdEEEviiiPKT1_PS3_.kd
    .uniform_work_group_size: 1
    .uses_dynamic_stack: false
    .vgpr_count:     6
    .vgpr_spill_count: 0
    .wavefront_size: 64
  - .agpr_count:     0
    .args:
      - .offset:         0
        .size:           4
        .value_kind:     by_value
      - .offset:         4
        .size:           4
        .value_kind:     by_value
      - .offset:         8
        .size:           4
        .value_kind:     by_value
      - .actual_access:  read_only
        .address_space:  global
        .offset:         16
        .size:           8
        .value_kind:     global_buffer
      - .actual_access:  write_only
        .address_space:  global
        .offset:         24
        .size:           8
        .value_kind:     global_buffer
      - .offset:         32
        .size:           16
        .value_kind:     by_value
    .group_segment_fixed_size: 4096
    .kernarg_segment_align: 8
    .kernarg_segment_size: 48
    .language:       OpenCL C
    .language_version:
      - 2
      - 0
    .max_flat_workgroup_size: 256
    .name:           _ZN9rocsparseL42gtsv_transpose_and_pad_array_shared_kernelILj256ELj8E21rocsparse_complex_numIdEEEviiiPKT1_PS3_S3_
    .private_segment_fixed_size: 0
    .sgpr_count:     22
    .sgpr_spill_count: 0
    .symbol:         _ZN9rocsparseL42gtsv_transpose_and_pad_array_shared_kernelILj256ELj8E21rocsparse_complex_numIdEEEviiiPKT1_PS3_S3_.kd
    .uniform_work_group_size: 1
    .uses_dynamic_stack: false
    .vgpr_count:     6
    .vgpr_spill_count: 0
    .wavefront_size: 64
  - .agpr_count:     0
    .args:
      - .offset:         0
        .size:           4
        .value_kind:     by_value
      - .offset:         4
        .size:           4
        .value_kind:     by_value
      - .offset:         8
        .size:           4
        .value_kind:     by_value
      - .actual_access:  read_only
        .address_space:  global
        .offset:         16
        .size:           8
        .value_kind:     global_buffer
      - .actual_access:  read_only
        .address_space:  global
        .offset:         24
        .size:           8
        .value_kind:     global_buffer
      - .actual_access:  read_only
        .address_space:  global
        .offset:         32
        .size:           8
        .value_kind:     global_buffer
      - .address_space:  global
        .offset:         40
        .size:           8
        .value_kind:     global_buffer
      - .address_space:  global
        .offset:         48
        .size:           8
        .value_kind:     global_buffer
      - .address_space:  global
        .offset:         56
        .size:           8
        .value_kind:     global_buffer
      - .address_space:  global
        .offset:         64
        .size:           8
        .value_kind:     global_buffer
    .group_segment_fixed_size: 0
    .kernarg_segment_align: 8
    .kernarg_segment_size: 72
    .language:       OpenCL C
    .language_version:
      - 2
      - 0
    .max_flat_workgroup_size: 256
    .name:           _ZN9rocsparseL18gtsv_LBM_wv_kernelILj256ELj8E21rocsparse_complex_numIdEEEviiiPKT1_S5_S5_PS3_S6_S6_Pi
    .private_segment_fixed_size: 0
    .sgpr_count:     42
    .sgpr_spill_count: 0
    .symbol:         _ZN9rocsparseL18gtsv_LBM_wv_kernelILj256ELj8E21rocsparse_complex_numIdEEEviiiPKT1_S5_S5_PS3_S6_S6_Pi.kd
    .uniform_work_group_size: 1
    .uses_dynamic_stack: false
    .vgpr_count:     84
    .vgpr_spill_count: 0
    .wavefront_size: 64
  - .agpr_count:     0
    .args:
      - .offset:         0
        .size:           4
        .value_kind:     by_value
      - .offset:         4
        .size:           4
        .value_kind:     by_value
      - .offset:         8
        .size:           4
        .value_kind:     by_value
      - .actual_access:  read_only
        .address_space:  global
        .offset:         16
        .size:           8
        .value_kind:     global_buffer
      - .actual_access:  read_only
        .address_space:  global
        .offset:         24
        .size:           8
        .value_kind:     global_buffer
      - .actual_access:  read_only
        .address_space:  global
        .offset:         32
        .size:           8
        .value_kind:     global_buffer
      - .address_space:  global
        .offset:         40
        .size:           8
        .value_kind:     global_buffer
      - .actual_access:  read_only
        .address_space:  global
        .offset:         48
        .size:           8
        .value_kind:     global_buffer
      - .actual_access:  read_only
        .address_space:  global
        .offset:         56
        .size:           8
        .value_kind:     global_buffer
    .group_segment_fixed_size: 0
    .kernarg_segment_align: 8
    .kernarg_segment_size: 64
    .language:       OpenCL C
    .language_version:
      - 2
      - 0
    .max_flat_workgroup_size: 256
    .name:           _ZN9rocsparseL19gtsv_LBM_rhs_kernelILj256ELj8ELj8E21rocsparse_complex_numIdEEEviiiPKT2_S5_S5_PS3_S5_PKi
    .private_segment_fixed_size: 0
    .sgpr_count:     43
    .sgpr_spill_count: 0
    .symbol:         _ZN9rocsparseL19gtsv_LBM_rhs_kernelILj256ELj8ELj8E21rocsparse_complex_numIdEEEviiiPKT2_S5_S5_PS3_S5_PKi.kd
    .uniform_work_group_size: 1
    .uses_dynamic_stack: false
    .vgpr_count:     156
    .vgpr_spill_count: 0
    .wavefront_size: 64
  - .agpr_count:     0
    .args:
      - .offset:         0
        .size:           4
        .value_kind:     by_value
      - .offset:         4
        .size:           4
        .value_kind:     by_value
      - .offset:         8
        .size:           4
        .value_kind:     by_value
      - .actual_access:  read_only
        .address_space:  global
        .offset:         16
        .size:           8
        .value_kind:     global_buffer
      - .actual_access:  read_only
        .address_space:  global
        .offset:         24
        .size:           8
        .value_kind:     global_buffer
      - .actual_access:  read_only
        .address_space:  global
        .offset:         32
        .size:           8
        .value_kind:     global_buffer
      - .address_space:  global
        .offset:         40
        .size:           8
        .value_kind:     global_buffer
      - .actual_access:  read_only
        .address_space:  global
        .offset:         48
        .size:           8
        .value_kind:     global_buffer
      - .actual_access:  read_only
        .address_space:  global
        .offset:         56
        .size:           8
        .value_kind:     global_buffer
    .group_segment_fixed_size: 0
    .kernarg_segment_align: 8
    .kernarg_segment_size: 64
    .language:       OpenCL C
    .language_version:
      - 2
      - 0
    .max_flat_workgroup_size: 256
    .name:           _ZN9rocsparseL19gtsv_LBM_rhs_kernelILj256ELj8ELj4E21rocsparse_complex_numIdEEEviiiPKT2_S5_S5_PS3_S5_PKi
    .private_segment_fixed_size: 0
    .sgpr_count:     38
    .sgpr_spill_count: 0
    .symbol:         _ZN9rocsparseL19gtsv_LBM_rhs_kernelILj256ELj8ELj4E21rocsparse_complex_numIdEEEviiiPKT2_S5_S5_PS3_S5_PKi.kd
    .uniform_work_group_size: 1
    .uses_dynamic_stack: false
    .vgpr_count:     98
    .vgpr_spill_count: 0
    .wavefront_size: 64
  - .agpr_count:     0
    .args:
      - .offset:         0
        .size:           4
        .value_kind:     by_value
      - .offset:         4
        .size:           4
        .value_kind:     by_value
      - .offset:         8
        .size:           4
        .value_kind:     by_value
      - .actual_access:  read_only
        .address_space:  global
        .offset:         16
        .size:           8
        .value_kind:     global_buffer
      - .actual_access:  read_only
        .address_space:  global
        .offset:         24
        .size:           8
        .value_kind:     global_buffer
      - .actual_access:  read_only
        .address_space:  global
        .offset:         32
        .size:           8
        .value_kind:     global_buffer
      - .address_space:  global
        .offset:         40
        .size:           8
        .value_kind:     global_buffer
      - .actual_access:  read_only
        .address_space:  global
        .offset:         48
        .size:           8
        .value_kind:     global_buffer
      - .actual_access:  read_only
        .address_space:  global
        .offset:         56
        .size:           8
        .value_kind:     global_buffer
    .group_segment_fixed_size: 0
    .kernarg_segment_align: 8
    .kernarg_segment_size: 64
    .language:       OpenCL C
    .language_version:
      - 2
      - 0
    .max_flat_workgroup_size: 256
    .name:           _ZN9rocsparseL19gtsv_LBM_rhs_kernelILj256ELj8ELj2E21rocsparse_complex_numIdEEEviiiPKT2_S5_S5_PS3_S5_PKi
    .private_segment_fixed_size: 0
    .sgpr_count:     36
    .sgpr_spill_count: 0
    .symbol:         _ZN9rocsparseL19gtsv_LBM_rhs_kernelILj256ELj8ELj2E21rocsparse_complex_numIdEEEviiiPKT2_S5_S5_PS3_S5_PKi.kd
    .uniform_work_group_size: 1
    .uses_dynamic_stack: false
    .vgpr_count:     78
    .vgpr_spill_count: 0
    .wavefront_size: 64
  - .agpr_count:     0
    .args:
      - .offset:         0
        .size:           4
        .value_kind:     by_value
      - .offset:         4
        .size:           4
        .value_kind:     by_value
      - .offset:         8
        .size:           4
        .value_kind:     by_value
      - .actual_access:  read_only
        .address_space:  global
        .offset:         16
        .size:           8
        .value_kind:     global_buffer
      - .actual_access:  read_only
        .address_space:  global
        .offset:         24
        .size:           8
        .value_kind:     global_buffer
      - .actual_access:  read_only
        .address_space:  global
        .offset:         32
        .size:           8
        .value_kind:     global_buffer
      - .address_space:  global
        .offset:         40
        .size:           8
        .value_kind:     global_buffer
      - .actual_access:  read_only
        .address_space:  global
        .offset:         48
        .size:           8
        .value_kind:     global_buffer
      - .actual_access:  read_only
        .address_space:  global
        .offset:         56
        .size:           8
        .value_kind:     global_buffer
    .group_segment_fixed_size: 0
    .kernarg_segment_align: 8
    .kernarg_segment_size: 64
    .language:       OpenCL C
    .language_version:
      - 2
      - 0
    .max_flat_workgroup_size: 256
    .name:           _ZN9rocsparseL19gtsv_LBM_rhs_kernelILj256ELj8ELj1E21rocsparse_complex_numIdEEEviiiPKT2_S5_S5_PS3_S5_PKi
    .private_segment_fixed_size: 0
    .sgpr_count:     34
    .sgpr_spill_count: 0
    .symbol:         _ZN9rocsparseL19gtsv_LBM_rhs_kernelILj256ELj8ELj1E21rocsparse_complex_numIdEEEviiiPKT2_S5_S5_PS3_S5_PKi.kd
    .uniform_work_group_size: 1
    .uses_dynamic_stack: false
    .vgpr_count:     62
    .vgpr_spill_count: 0
    .wavefront_size: 64
  - .agpr_count:     0
    .args:
      - .offset:         0
        .size:           4
        .value_kind:     by_value
      - .offset:         4
        .size:           4
        .value_kind:     by_value
      - .offset:         8
        .size:           4
        .value_kind:     by_value
      - .address_space:  global
        .offset:         16
        .size:           8
        .value_kind:     global_buffer
      - .actual_access:  read_only
        .address_space:  global
        .offset:         24
        .size:           8
        .value_kind:     global_buffer
      - .actual_access:  read_only
        .address_space:  global
        .offset:         32
        .size:           8
        .value_kind:     global_buffer
      - .actual_access:  write_only
        .address_space:  global
        .offset:         40
        .size:           8
        .value_kind:     global_buffer
      - .actual_access:  write_only
        .address_space:  global
        .offset:         48
        .size:           8
        .value_kind:     global_buffer
      - .actual_access:  write_only
        .address_space:  global
        .offset:         56
        .size:           8
        .value_kind:     global_buffer
      - .actual_access:  write_only
        .address_space:  global
        .offset:         64
        .size:           8
        .value_kind:     global_buffer
      - .actual_access:  write_only
        .address_space:  global
        .offset:         72
        .size:           8
        .value_kind:     global_buffer
      - .offset:         80
        .size:           4
        .value_kind:     hidden_block_count_x
      - .offset:         84
        .size:           4
        .value_kind:     hidden_block_count_y
      - .offset:         88
        .size:           4
        .value_kind:     hidden_block_count_z
      - .offset:         92
        .size:           2
        .value_kind:     hidden_group_size_x
      - .offset:         94
        .size:           2
        .value_kind:     hidden_group_size_y
      - .offset:         96
        .size:           2
        .value_kind:     hidden_group_size_z
      - .offset:         98
        .size:           2
        .value_kind:     hidden_remainder_x
      - .offset:         100
        .size:           2
        .value_kind:     hidden_remainder_y
      - .offset:         102
        .size:           2
        .value_kind:     hidden_remainder_z
      - .offset:         120
        .size:           8
        .value_kind:     hidden_global_offset_x
      - .offset:         128
        .size:           8
        .value_kind:     hidden_global_offset_y
      - .offset:         136
        .size:           8
        .value_kind:     hidden_global_offset_z
      - .offset:         144
        .size:           2
        .value_kind:     hidden_grid_dims
    .group_segment_fixed_size: 24576
    .kernarg_segment_align: 8
    .kernarg_segment_size: 336
    .language:       OpenCL C
    .language_version:
      - 2
      - 0
    .max_flat_workgroup_size: 256
    .name:           _ZN9rocsparseL29gtsv_spike_block_level_kernelILj256ELj8E21rocsparse_complex_numIdEEEviiiPT1_PKS3_S6_S4_S4_S4_S4_S4_
    .private_segment_fixed_size: 0
    .sgpr_count:     32
    .sgpr_spill_count: 0
    .symbol:         _ZN9rocsparseL29gtsv_spike_block_level_kernelILj256ELj8E21rocsparse_complex_numIdEEEviiiPT1_PKS3_S6_S4_S4_S4_S4_S4_.kd
    .uniform_work_group_size: 1
    .uses_dynamic_stack: false
    .vgpr_count:     48
    .vgpr_spill_count: 0
    .wavefront_size: 64
  - .agpr_count:     0
    .args:
      - .offset:         0
        .size:           4
        .value_kind:     by_value
      - .offset:         4
        .size:           4
        .value_kind:     by_value
      - .offset:         8
        .size:           4
        .value_kind:     by_value
      - .address_space:  global
        .offset:         16
        .size:           8
        .value_kind:     global_buffer
      - .actual_access:  read_only
        .address_space:  global
        .offset:         24
        .size:           8
        .value_kind:     global_buffer
      - .actual_access:  read_only
        .address_space:  global
        .offset:         32
        .size:           8
        .value_kind:     global_buffer
      - .actual_access:  read_only
        .address_space:  global
        .offset:         40
        .size:           8
        .value_kind:     global_buffer
      - .offset:         48
        .size:           4
        .value_kind:     hidden_block_count_x
      - .offset:         52
        .size:           4
        .value_kind:     hidden_block_count_y
      - .offset:         56
        .size:           4
        .value_kind:     hidden_block_count_z
      - .offset:         60
        .size:           2
        .value_kind:     hidden_group_size_x
      - .offset:         62
        .size:           2
        .value_kind:     hidden_group_size_y
      - .offset:         64
        .size:           2
        .value_kind:     hidden_group_size_z
      - .offset:         66
        .size:           2
        .value_kind:     hidden_remainder_x
      - .offset:         68
        .size:           2
        .value_kind:     hidden_remainder_y
      - .offset:         70
        .size:           2
        .value_kind:     hidden_remainder_z
      - .offset:         88
        .size:           8
        .value_kind:     hidden_global_offset_x
      - .offset:         96
        .size:           8
        .value_kind:     hidden_global_offset_y
      - .offset:         104
        .size:           8
        .value_kind:     hidden_global_offset_z
      - .offset:         112
        .size:           2
        .value_kind:     hidden_grid_dims
    .group_segment_fixed_size: 24608
    .kernarg_segment_align: 8
    .kernarg_segment_size: 304
    .language:       OpenCL C
    .language_version:
      - 2
      - 0
    .max_flat_workgroup_size: 256
    .name:           _ZN9rocsparseL33gtsv_solve_spike_propagate_kernelILj256ELj8E21rocsparse_complex_numIdEEEviiiPT1_PKS3_S6_S6_
    .private_segment_fixed_size: 0
    .sgpr_count:     28
    .sgpr_spill_count: 0
    .symbol:         _ZN9rocsparseL33gtsv_solve_spike_propagate_kernelILj256ELj8E21rocsparse_complex_numIdEEEviiiPT1_PKS3_S6_S6_.kd
    .uniform_work_group_size: 1
    .uses_dynamic_stack: false
    .vgpr_count:     35
    .vgpr_spill_count: 0
    .wavefront_size: 64
  - .agpr_count:     0
    .args:
      - .offset:         0
        .size:           4
        .value_kind:     by_value
      - .offset:         4
        .size:           4
        .value_kind:     by_value
      - .offset:         8
        .size:           4
        .value_kind:     by_value
      - .address_space:  global
        .offset:         16
        .size:           8
        .value_kind:     global_buffer
      - .actual_access:  read_only
        .address_space:  global
        .offset:         24
        .size:           8
        .value_kind:     global_buffer
      - .actual_access:  read_only
        .address_space:  global
        .offset:         32
        .size:           8
        .value_kind:     global_buffer
    .group_segment_fixed_size: 0
    .kernarg_segment_align: 8
    .kernarg_segment_size: 40
    .language:       OpenCL C
    .language_version:
      - 2
      - 0
    .max_flat_workgroup_size: 256
    .name:           _ZN9rocsparseL39gtsv_spike_backward_substitution_kernelILj256ELj8E21rocsparse_complex_numIdEEEviiiPT1_PKS3_S6_
    .private_segment_fixed_size: 0
    .sgpr_count:     19
    .sgpr_spill_count: 0
    .symbol:         _ZN9rocsparseL39gtsv_spike_backward_substitution_kernelILj256ELj8E21rocsparse_complex_numIdEEEviiiPT1_PKS3_S6_.kd
    .uniform_work_group_size: 1
    .uses_dynamic_stack: false
    .vgpr_count:     44
    .vgpr_spill_count: 0
    .wavefront_size: 64
  - .agpr_count:     0
    .args:
      - .offset:         0
        .size:           4
        .value_kind:     by_value
      - .offset:         4
        .size:           4
        .value_kind:     by_value
      - .offset:         8
        .size:           4
        .value_kind:     by_value
      - .actual_access:  read_only
        .address_space:  global
        .offset:         16
        .size:           8
        .value_kind:     global_buffer
      - .actual_access:  write_only
        .address_space:  global
        .offset:         24
        .size:           8
        .value_kind:     global_buffer
    .group_segment_fixed_size: 0
    .kernarg_segment_align: 8
    .kernarg_segment_size: 32
    .language:       OpenCL C
    .language_version:
      - 2
      - 0
    .max_flat_workgroup_size: 256
    .name:           _ZN9rocsparseL32gtsv_transpose_back_array_kernelILj256ELj8E21rocsparse_complex_numIdEEEviiiPKT1_PS3_
    .private_segment_fixed_size: 0
    .sgpr_count:     18
    .sgpr_spill_count: 0
    .symbol:         _ZN9rocsparseL32gtsv_transpose_back_array_kernelILj256ELj8E21rocsparse_complex_numIdEEEviiiPKT1_PS3_.kd
    .uniform_work_group_size: 1
    .uses_dynamic_stack: false
    .vgpr_count:     6
    .vgpr_spill_count: 0
    .wavefront_size: 64
  - .agpr_count:     0
    .args:
      - .offset:         0
        .size:           4
        .value_kind:     by_value
      - .offset:         4
        .size:           4
        .value_kind:     by_value
      - .offset:         8
        .size:           4
        .value_kind:     by_value
      - .actual_access:  read_only
        .address_space:  global
        .offset:         16
        .size:           8
        .value_kind:     global_buffer
      - .actual_access:  write_only
        .address_space:  global
        .offset:         24
        .size:           8
        .value_kind:     global_buffer
      - .offset:         32
        .size:           16
        .value_kind:     by_value
    .group_segment_fixed_size: 4096
    .kernarg_segment_align: 8
    .kernarg_segment_size: 48
    .language:       OpenCL C
    .language_version:
      - 2
      - 0
    .max_flat_workgroup_size: 256
    .name:           _ZN9rocsparseL42gtsv_transpose_and_pad_array_shared_kernelILj256ELj16E21rocsparse_complex_numIdEEEviiiPKT1_PS3_S3_
    .private_segment_fixed_size: 0
    .sgpr_count:     22
    .sgpr_spill_count: 0
    .symbol:         _ZN9rocsparseL42gtsv_transpose_and_pad_array_shared_kernelILj256ELj16E21rocsparse_complex_numIdEEEviiiPKT1_PS3_S3_.kd
    .uniform_work_group_size: 1
    .uses_dynamic_stack: false
    .vgpr_count:     6
    .vgpr_spill_count: 0
    .wavefront_size: 64
  - .agpr_count:     0
    .args:
      - .offset:         0
        .size:           4
        .value_kind:     by_value
      - .offset:         4
        .size:           4
        .value_kind:     by_value
      - .offset:         8
        .size:           4
        .value_kind:     by_value
      - .actual_access:  read_only
        .address_space:  global
        .offset:         16
        .size:           8
        .value_kind:     global_buffer
      - .actual_access:  read_only
        .address_space:  global
        .offset:         24
        .size:           8
        .value_kind:     global_buffer
      - .actual_access:  read_only
        .address_space:  global
        .offset:         32
        .size:           8
        .value_kind:     global_buffer
      - .address_space:  global
        .offset:         40
        .size:           8
        .value_kind:     global_buffer
      - .address_space:  global
        .offset:         48
        .size:           8
        .value_kind:     global_buffer
      - .address_space:  global
        .offset:         56
        .size:           8
        .value_kind:     global_buffer
      - .address_space:  global
        .offset:         64
        .size:           8
        .value_kind:     global_buffer
    .group_segment_fixed_size: 0
    .kernarg_segment_align: 8
    .kernarg_segment_size: 72
    .language:       OpenCL C
    .language_version:
      - 2
      - 0
    .max_flat_workgroup_size: 256
    .name:           _ZN9rocsparseL18gtsv_LBM_wv_kernelILj256ELj16E21rocsparse_complex_numIdEEEviiiPKT1_S5_S5_PS3_S6_S6_Pi
    .private_segment_fixed_size: 0
    .sgpr_count:     42
    .sgpr_spill_count: 0
    .symbol:         _ZN9rocsparseL18gtsv_LBM_wv_kernelILj256ELj16E21rocsparse_complex_numIdEEEviiiPKT1_S5_S5_PS3_S6_S6_Pi.kd
    .uniform_work_group_size: 1
    .uses_dynamic_stack: false
    .vgpr_count:     84
    .vgpr_spill_count: 0
    .wavefront_size: 64
  - .agpr_count:     0
    .args:
      - .offset:         0
        .size:           4
        .value_kind:     by_value
      - .offset:         4
        .size:           4
        .value_kind:     by_value
      - .offset:         8
        .size:           4
        .value_kind:     by_value
      - .actual_access:  read_only
        .address_space:  global
        .offset:         16
        .size:           8
        .value_kind:     global_buffer
      - .actual_access:  read_only
        .address_space:  global
        .offset:         24
        .size:           8
        .value_kind:     global_buffer
      - .actual_access:  read_only
        .address_space:  global
        .offset:         32
        .size:           8
        .value_kind:     global_buffer
      - .address_space:  global
        .offset:         40
        .size:           8
        .value_kind:     global_buffer
      - .actual_access:  read_only
        .address_space:  global
        .offset:         48
        .size:           8
        .value_kind:     global_buffer
      - .actual_access:  read_only
        .address_space:  global
        .offset:         56
        .size:           8
        .value_kind:     global_buffer
    .group_segment_fixed_size: 0
    .kernarg_segment_align: 8
    .kernarg_segment_size: 64
    .language:       OpenCL C
    .language_version:
      - 2
      - 0
    .max_flat_workgroup_size: 256
    .name:           _ZN9rocsparseL19gtsv_LBM_rhs_kernelILj256ELj16ELj8E21rocsparse_complex_numIdEEEviiiPKT2_S5_S5_PS3_S5_PKi
    .private_segment_fixed_size: 0
    .sgpr_count:     43
    .sgpr_spill_count: 0
    .symbol:         _ZN9rocsparseL19gtsv_LBM_rhs_kernelILj256ELj16ELj8E21rocsparse_complex_numIdEEEviiiPKT2_S5_S5_PS3_S5_PKi.kd
    .uniform_work_group_size: 1
    .uses_dynamic_stack: false
    .vgpr_count:     156
    .vgpr_spill_count: 0
    .wavefront_size: 64
  - .agpr_count:     0
    .args:
      - .offset:         0
        .size:           4
        .value_kind:     by_value
      - .offset:         4
        .size:           4
        .value_kind:     by_value
      - .offset:         8
        .size:           4
        .value_kind:     by_value
      - .actual_access:  read_only
        .address_space:  global
        .offset:         16
        .size:           8
        .value_kind:     global_buffer
      - .actual_access:  read_only
        .address_space:  global
        .offset:         24
        .size:           8
        .value_kind:     global_buffer
      - .actual_access:  read_only
        .address_space:  global
        .offset:         32
        .size:           8
        .value_kind:     global_buffer
      - .address_space:  global
        .offset:         40
        .size:           8
        .value_kind:     global_buffer
      - .actual_access:  read_only
        .address_space:  global
        .offset:         48
        .size:           8
        .value_kind:     global_buffer
      - .actual_access:  read_only
        .address_space:  global
        .offset:         56
        .size:           8
        .value_kind:     global_buffer
    .group_segment_fixed_size: 0
    .kernarg_segment_align: 8
    .kernarg_segment_size: 64
    .language:       OpenCL C
    .language_version:
      - 2
      - 0
    .max_flat_workgroup_size: 256
    .name:           _ZN9rocsparseL19gtsv_LBM_rhs_kernelILj256ELj16ELj4E21rocsparse_complex_numIdEEEviiiPKT2_S5_S5_PS3_S5_PKi
    .private_segment_fixed_size: 0
    .sgpr_count:     38
    .sgpr_spill_count: 0
    .symbol:         _ZN9rocsparseL19gtsv_LBM_rhs_kernelILj256ELj16ELj4E21rocsparse_complex_numIdEEEviiiPKT2_S5_S5_PS3_S5_PKi.kd
    .uniform_work_group_size: 1
    .uses_dynamic_stack: false
    .vgpr_count:     98
    .vgpr_spill_count: 0
    .wavefront_size: 64
  - .agpr_count:     0
    .args:
      - .offset:         0
        .size:           4
        .value_kind:     by_value
      - .offset:         4
        .size:           4
        .value_kind:     by_value
      - .offset:         8
        .size:           4
        .value_kind:     by_value
      - .actual_access:  read_only
        .address_space:  global
        .offset:         16
        .size:           8
        .value_kind:     global_buffer
      - .actual_access:  read_only
        .address_space:  global
        .offset:         24
        .size:           8
        .value_kind:     global_buffer
      - .actual_access:  read_only
        .address_space:  global
        .offset:         32
        .size:           8
        .value_kind:     global_buffer
      - .address_space:  global
        .offset:         40
        .size:           8
        .value_kind:     global_buffer
      - .actual_access:  read_only
        .address_space:  global
        .offset:         48
        .size:           8
        .value_kind:     global_buffer
      - .actual_access:  read_only
        .address_space:  global
        .offset:         56
        .size:           8
        .value_kind:     global_buffer
    .group_segment_fixed_size: 0
    .kernarg_segment_align: 8
    .kernarg_segment_size: 64
    .language:       OpenCL C
    .language_version:
      - 2
      - 0
    .max_flat_workgroup_size: 256
    .name:           _ZN9rocsparseL19gtsv_LBM_rhs_kernelILj256ELj16ELj2E21rocsparse_complex_numIdEEEviiiPKT2_S5_S5_PS3_S5_PKi
    .private_segment_fixed_size: 0
    .sgpr_count:     36
    .sgpr_spill_count: 0
    .symbol:         _ZN9rocsparseL19gtsv_LBM_rhs_kernelILj256ELj16ELj2E21rocsparse_complex_numIdEEEviiiPKT2_S5_S5_PS3_S5_PKi.kd
    .uniform_work_group_size: 1
    .uses_dynamic_stack: false
    .vgpr_count:     78
    .vgpr_spill_count: 0
    .wavefront_size: 64
  - .agpr_count:     0
    .args:
      - .offset:         0
        .size:           4
        .value_kind:     by_value
      - .offset:         4
        .size:           4
        .value_kind:     by_value
      - .offset:         8
        .size:           4
        .value_kind:     by_value
      - .actual_access:  read_only
        .address_space:  global
        .offset:         16
        .size:           8
        .value_kind:     global_buffer
      - .actual_access:  read_only
        .address_space:  global
        .offset:         24
        .size:           8
        .value_kind:     global_buffer
      - .actual_access:  read_only
        .address_space:  global
        .offset:         32
        .size:           8
        .value_kind:     global_buffer
      - .address_space:  global
        .offset:         40
        .size:           8
        .value_kind:     global_buffer
      - .actual_access:  read_only
        .address_space:  global
        .offset:         48
        .size:           8
        .value_kind:     global_buffer
      - .actual_access:  read_only
        .address_space:  global
        .offset:         56
        .size:           8
        .value_kind:     global_buffer
    .group_segment_fixed_size: 0
    .kernarg_segment_align: 8
    .kernarg_segment_size: 64
    .language:       OpenCL C
    .language_version:
      - 2
      - 0
    .max_flat_workgroup_size: 256
    .name:           _ZN9rocsparseL19gtsv_LBM_rhs_kernelILj256ELj16ELj1E21rocsparse_complex_numIdEEEviiiPKT2_S5_S5_PS3_S5_PKi
    .private_segment_fixed_size: 0
    .sgpr_count:     34
    .sgpr_spill_count: 0
    .symbol:         _ZN9rocsparseL19gtsv_LBM_rhs_kernelILj256ELj16ELj1E21rocsparse_complex_numIdEEEviiiPKT2_S5_S5_PS3_S5_PKi.kd
    .uniform_work_group_size: 1
    .uses_dynamic_stack: false
    .vgpr_count:     62
    .vgpr_spill_count: 0
    .wavefront_size: 64
  - .agpr_count:     0
    .args:
      - .offset:         0
        .size:           4
        .value_kind:     by_value
      - .offset:         4
        .size:           4
        .value_kind:     by_value
      - .offset:         8
        .size:           4
        .value_kind:     by_value
      - .address_space:  global
        .offset:         16
        .size:           8
        .value_kind:     global_buffer
      - .actual_access:  read_only
        .address_space:  global
        .offset:         24
        .size:           8
        .value_kind:     global_buffer
      - .actual_access:  read_only
        .address_space:  global
        .offset:         32
        .size:           8
        .value_kind:     global_buffer
      - .actual_access:  write_only
        .address_space:  global
        .offset:         40
        .size:           8
        .value_kind:     global_buffer
      - .actual_access:  write_only
        .address_space:  global
        .offset:         48
        .size:           8
        .value_kind:     global_buffer
      - .actual_access:  write_only
        .address_space:  global
        .offset:         56
        .size:           8
        .value_kind:     global_buffer
      - .actual_access:  write_only
        .address_space:  global
        .offset:         64
        .size:           8
        .value_kind:     global_buffer
      - .actual_access:  write_only
        .address_space:  global
        .offset:         72
        .size:           8
        .value_kind:     global_buffer
      - .offset:         80
        .size:           4
        .value_kind:     hidden_block_count_x
      - .offset:         84
        .size:           4
        .value_kind:     hidden_block_count_y
      - .offset:         88
        .size:           4
        .value_kind:     hidden_block_count_z
      - .offset:         92
        .size:           2
        .value_kind:     hidden_group_size_x
      - .offset:         94
        .size:           2
        .value_kind:     hidden_group_size_y
      - .offset:         96
        .size:           2
        .value_kind:     hidden_group_size_z
      - .offset:         98
        .size:           2
        .value_kind:     hidden_remainder_x
      - .offset:         100
        .size:           2
        .value_kind:     hidden_remainder_y
      - .offset:         102
        .size:           2
        .value_kind:     hidden_remainder_z
      - .offset:         120
        .size:           8
        .value_kind:     hidden_global_offset_x
      - .offset:         128
        .size:           8
        .value_kind:     hidden_global_offset_y
      - .offset:         136
        .size:           8
        .value_kind:     hidden_global_offset_z
      - .offset:         144
        .size:           2
        .value_kind:     hidden_grid_dims
    .group_segment_fixed_size: 24576
    .kernarg_segment_align: 8
    .kernarg_segment_size: 336
    .language:       OpenCL C
    .language_version:
      - 2
      - 0
    .max_flat_workgroup_size: 256
    .name:           _ZN9rocsparseL29gtsv_spike_block_level_kernelILj256ELj16E21rocsparse_complex_numIdEEEviiiPT1_PKS3_S6_S4_S4_S4_S4_S4_
    .private_segment_fixed_size: 0
    .sgpr_count:     32
    .sgpr_spill_count: 0
    .symbol:         _ZN9rocsparseL29gtsv_spike_block_level_kernelILj256ELj16E21rocsparse_complex_numIdEEEviiiPT1_PKS3_S6_S4_S4_S4_S4_S4_.kd
    .uniform_work_group_size: 1
    .uses_dynamic_stack: false
    .vgpr_count:     48
    .vgpr_spill_count: 0
    .wavefront_size: 64
  - .agpr_count:     0
    .args:
      - .offset:         0
        .size:           4
        .value_kind:     by_value
      - .offset:         4
        .size:           4
        .value_kind:     by_value
      - .offset:         8
        .size:           4
        .value_kind:     by_value
      - .address_space:  global
        .offset:         16
        .size:           8
        .value_kind:     global_buffer
      - .actual_access:  read_only
        .address_space:  global
        .offset:         24
        .size:           8
        .value_kind:     global_buffer
      - .actual_access:  read_only
        .address_space:  global
        .offset:         32
        .size:           8
        .value_kind:     global_buffer
      - .actual_access:  read_only
        .address_space:  global
        .offset:         40
        .size:           8
        .value_kind:     global_buffer
      - .offset:         48
        .size:           4
        .value_kind:     hidden_block_count_x
      - .offset:         52
        .size:           4
        .value_kind:     hidden_block_count_y
      - .offset:         56
        .size:           4
        .value_kind:     hidden_block_count_z
      - .offset:         60
        .size:           2
        .value_kind:     hidden_group_size_x
      - .offset:         62
        .size:           2
        .value_kind:     hidden_group_size_y
      - .offset:         64
        .size:           2
        .value_kind:     hidden_group_size_z
      - .offset:         66
        .size:           2
        .value_kind:     hidden_remainder_x
      - .offset:         68
        .size:           2
        .value_kind:     hidden_remainder_y
      - .offset:         70
        .size:           2
        .value_kind:     hidden_remainder_z
      - .offset:         88
        .size:           8
        .value_kind:     hidden_global_offset_x
      - .offset:         96
        .size:           8
        .value_kind:     hidden_global_offset_y
      - .offset:         104
        .size:           8
        .value_kind:     hidden_global_offset_z
      - .offset:         112
        .size:           2
        .value_kind:     hidden_grid_dims
    .group_segment_fixed_size: 24608
    .kernarg_segment_align: 8
    .kernarg_segment_size: 304
    .language:       OpenCL C
    .language_version:
      - 2
      - 0
    .max_flat_workgroup_size: 256
    .name:           _ZN9rocsparseL33gtsv_solve_spike_propagate_kernelILj256ELj16E21rocsparse_complex_numIdEEEviiiPT1_PKS3_S6_S6_
    .private_segment_fixed_size: 0
    .sgpr_count:     28
    .sgpr_spill_count: 0
    .symbol:         _ZN9rocsparseL33gtsv_solve_spike_propagate_kernelILj256ELj16E21rocsparse_complex_numIdEEEviiiPT1_PKS3_S6_S6_.kd
    .uniform_work_group_size: 1
    .uses_dynamic_stack: false
    .vgpr_count:     35
    .vgpr_spill_count: 0
    .wavefront_size: 64
  - .agpr_count:     0
    .args:
      - .offset:         0
        .size:           4
        .value_kind:     by_value
      - .offset:         4
        .size:           4
        .value_kind:     by_value
      - .offset:         8
        .size:           4
        .value_kind:     by_value
      - .address_space:  global
        .offset:         16
        .size:           8
        .value_kind:     global_buffer
      - .actual_access:  read_only
        .address_space:  global
        .offset:         24
        .size:           8
        .value_kind:     global_buffer
      - .actual_access:  read_only
        .address_space:  global
        .offset:         32
        .size:           8
        .value_kind:     global_buffer
    .group_segment_fixed_size: 0
    .kernarg_segment_align: 8
    .kernarg_segment_size: 40
    .language:       OpenCL C
    .language_version:
      - 2
      - 0
    .max_flat_workgroup_size: 256
    .name:           _ZN9rocsparseL39gtsv_spike_backward_substitution_kernelILj256ELj16E21rocsparse_complex_numIdEEEviiiPT1_PKS3_S6_
    .private_segment_fixed_size: 0
    .sgpr_count:     18
    .sgpr_spill_count: 0
    .symbol:         _ZN9rocsparseL39gtsv_spike_backward_substitution_kernelILj256ELj16E21rocsparse_complex_numIdEEEviiiPT1_PKS3_S6_.kd
    .uniform_work_group_size: 1
    .uses_dynamic_stack: false
    .vgpr_count:     46
    .vgpr_spill_count: 0
    .wavefront_size: 64
  - .agpr_count:     0
    .args:
      - .offset:         0
        .size:           4
        .value_kind:     by_value
      - .offset:         4
        .size:           4
        .value_kind:     by_value
      - .offset:         8
        .size:           4
        .value_kind:     by_value
      - .actual_access:  read_only
        .address_space:  global
        .offset:         16
        .size:           8
        .value_kind:     global_buffer
      - .actual_access:  write_only
        .address_space:  global
        .offset:         24
        .size:           8
        .value_kind:     global_buffer
    .group_segment_fixed_size: 0
    .kernarg_segment_align: 8
    .kernarg_segment_size: 32
    .language:       OpenCL C
    .language_version:
      - 2
      - 0
    .max_flat_workgroup_size: 256
    .name:           _ZN9rocsparseL32gtsv_transpose_back_array_kernelILj256ELj16E21rocsparse_complex_numIdEEEviiiPKT1_PS3_
    .private_segment_fixed_size: 0
    .sgpr_count:     18
    .sgpr_spill_count: 0
    .symbol:         _ZN9rocsparseL32gtsv_transpose_back_array_kernelILj256ELj16E21rocsparse_complex_numIdEEEviiiPKT1_PS3_.kd
    .uniform_work_group_size: 1
    .uses_dynamic_stack: false
    .vgpr_count:     6
    .vgpr_spill_count: 0
    .wavefront_size: 64
  - .agpr_count:     0
    .args:
      - .offset:         0
        .size:           4
        .value_kind:     by_value
      - .offset:         4
        .size:           4
        .value_kind:     by_value
      - .offset:         8
        .size:           4
        .value_kind:     by_value
      - .actual_access:  read_only
        .address_space:  global
        .offset:         16
        .size:           8
        .value_kind:     global_buffer
      - .actual_access:  write_only
        .address_space:  global
        .offset:         24
        .size:           8
        .value_kind:     global_buffer
      - .offset:         32
        .size:           16
        .value_kind:     by_value
    .group_segment_fixed_size: 4096
    .kernarg_segment_align: 8
    .kernarg_segment_size: 48
    .language:       OpenCL C
    .language_version:
      - 2
      - 0
    .max_flat_workgroup_size: 256
    .name:           _ZN9rocsparseL42gtsv_transpose_and_pad_array_shared_kernelILj256ELj32E21rocsparse_complex_numIdEEEviiiPKT1_PS3_S3_
    .private_segment_fixed_size: 0
    .sgpr_count:     22
    .sgpr_spill_count: 0
    .symbol:         _ZN9rocsparseL42gtsv_transpose_and_pad_array_shared_kernelILj256ELj32E21rocsparse_complex_numIdEEEviiiPKT1_PS3_S3_.kd
    .uniform_work_group_size: 1
    .uses_dynamic_stack: false
    .vgpr_count:     6
    .vgpr_spill_count: 0
    .wavefront_size: 64
  - .agpr_count:     0
    .args:
      - .offset:         0
        .size:           4
        .value_kind:     by_value
      - .offset:         4
        .size:           4
        .value_kind:     by_value
      - .offset:         8
        .size:           4
        .value_kind:     by_value
      - .actual_access:  read_only
        .address_space:  global
        .offset:         16
        .size:           8
        .value_kind:     global_buffer
      - .actual_access:  read_only
        .address_space:  global
        .offset:         24
        .size:           8
        .value_kind:     global_buffer
      - .actual_access:  read_only
        .address_space:  global
        .offset:         32
        .size:           8
        .value_kind:     global_buffer
      - .address_space:  global
        .offset:         40
        .size:           8
        .value_kind:     global_buffer
      - .address_space:  global
        .offset:         48
        .size:           8
        .value_kind:     global_buffer
      - .address_space:  global
        .offset:         56
        .size:           8
        .value_kind:     global_buffer
      - .address_space:  global
        .offset:         64
        .size:           8
        .value_kind:     global_buffer
    .group_segment_fixed_size: 0
    .kernarg_segment_align: 8
    .kernarg_segment_size: 72
    .language:       OpenCL C
    .language_version:
      - 2
      - 0
    .max_flat_workgroup_size: 256
    .name:           _ZN9rocsparseL18gtsv_LBM_wv_kernelILj256ELj32E21rocsparse_complex_numIdEEEviiiPKT1_S5_S5_PS3_S6_S6_Pi
    .private_segment_fixed_size: 0
    .sgpr_count:     42
    .sgpr_spill_count: 0
    .symbol:         _ZN9rocsparseL18gtsv_LBM_wv_kernelILj256ELj32E21rocsparse_complex_numIdEEEviiiPKT1_S5_S5_PS3_S6_S6_Pi.kd
    .uniform_work_group_size: 1
    .uses_dynamic_stack: false
    .vgpr_count:     84
    .vgpr_spill_count: 0
    .wavefront_size: 64
  - .agpr_count:     0
    .args:
      - .offset:         0
        .size:           4
        .value_kind:     by_value
      - .offset:         4
        .size:           4
        .value_kind:     by_value
      - .offset:         8
        .size:           4
        .value_kind:     by_value
      - .actual_access:  read_only
        .address_space:  global
        .offset:         16
        .size:           8
        .value_kind:     global_buffer
      - .actual_access:  read_only
        .address_space:  global
        .offset:         24
        .size:           8
        .value_kind:     global_buffer
      - .actual_access:  read_only
        .address_space:  global
        .offset:         32
        .size:           8
        .value_kind:     global_buffer
      - .address_space:  global
        .offset:         40
        .size:           8
        .value_kind:     global_buffer
      - .actual_access:  read_only
        .address_space:  global
        .offset:         48
        .size:           8
        .value_kind:     global_buffer
      - .actual_access:  read_only
        .address_space:  global
        .offset:         56
        .size:           8
        .value_kind:     global_buffer
    .group_segment_fixed_size: 0
    .kernarg_segment_align: 8
    .kernarg_segment_size: 64
    .language:       OpenCL C
    .language_version:
      - 2
      - 0
    .max_flat_workgroup_size: 256
    .name:           _ZN9rocsparseL19gtsv_LBM_rhs_kernelILj256ELj32ELj8E21rocsparse_complex_numIdEEEviiiPKT2_S5_S5_PS3_S5_PKi
    .private_segment_fixed_size: 0
    .sgpr_count:     43
    .sgpr_spill_count: 0
    .symbol:         _ZN9rocsparseL19gtsv_LBM_rhs_kernelILj256ELj32ELj8E21rocsparse_complex_numIdEEEviiiPKT2_S5_S5_PS3_S5_PKi.kd
    .uniform_work_group_size: 1
    .uses_dynamic_stack: false
    .vgpr_count:     156
    .vgpr_spill_count: 0
    .wavefront_size: 64
  - .agpr_count:     0
    .args:
      - .offset:         0
        .size:           4
        .value_kind:     by_value
      - .offset:         4
        .size:           4
        .value_kind:     by_value
      - .offset:         8
        .size:           4
        .value_kind:     by_value
      - .actual_access:  read_only
        .address_space:  global
        .offset:         16
        .size:           8
        .value_kind:     global_buffer
      - .actual_access:  read_only
        .address_space:  global
        .offset:         24
        .size:           8
        .value_kind:     global_buffer
      - .actual_access:  read_only
        .address_space:  global
        .offset:         32
        .size:           8
        .value_kind:     global_buffer
      - .address_space:  global
        .offset:         40
        .size:           8
        .value_kind:     global_buffer
      - .actual_access:  read_only
        .address_space:  global
        .offset:         48
        .size:           8
        .value_kind:     global_buffer
      - .actual_access:  read_only
        .address_space:  global
        .offset:         56
        .size:           8
        .value_kind:     global_buffer
    .group_segment_fixed_size: 0
    .kernarg_segment_align: 8
    .kernarg_segment_size: 64
    .language:       OpenCL C
    .language_version:
      - 2
      - 0
    .max_flat_workgroup_size: 256
    .name:           _ZN9rocsparseL19gtsv_LBM_rhs_kernelILj256ELj32ELj4E21rocsparse_complex_numIdEEEviiiPKT2_S5_S5_PS3_S5_PKi
    .private_segment_fixed_size: 0
    .sgpr_count:     38
    .sgpr_spill_count: 0
    .symbol:         _ZN9rocsparseL19gtsv_LBM_rhs_kernelILj256ELj32ELj4E21rocsparse_complex_numIdEEEviiiPKT2_S5_S5_PS3_S5_PKi.kd
    .uniform_work_group_size: 1
    .uses_dynamic_stack: false
    .vgpr_count:     98
    .vgpr_spill_count: 0
    .wavefront_size: 64
  - .agpr_count:     0
    .args:
      - .offset:         0
        .size:           4
        .value_kind:     by_value
      - .offset:         4
        .size:           4
        .value_kind:     by_value
      - .offset:         8
        .size:           4
        .value_kind:     by_value
      - .actual_access:  read_only
        .address_space:  global
        .offset:         16
        .size:           8
        .value_kind:     global_buffer
      - .actual_access:  read_only
        .address_space:  global
        .offset:         24
        .size:           8
        .value_kind:     global_buffer
      - .actual_access:  read_only
        .address_space:  global
        .offset:         32
        .size:           8
        .value_kind:     global_buffer
      - .address_space:  global
        .offset:         40
        .size:           8
        .value_kind:     global_buffer
      - .actual_access:  read_only
        .address_space:  global
        .offset:         48
        .size:           8
        .value_kind:     global_buffer
      - .actual_access:  read_only
        .address_space:  global
        .offset:         56
        .size:           8
        .value_kind:     global_buffer
    .group_segment_fixed_size: 0
    .kernarg_segment_align: 8
    .kernarg_segment_size: 64
    .language:       OpenCL C
    .language_version:
      - 2
      - 0
    .max_flat_workgroup_size: 256
    .name:           _ZN9rocsparseL19gtsv_LBM_rhs_kernelILj256ELj32ELj2E21rocsparse_complex_numIdEEEviiiPKT2_S5_S5_PS3_S5_PKi
    .private_segment_fixed_size: 0
    .sgpr_count:     36
    .sgpr_spill_count: 0
    .symbol:         _ZN9rocsparseL19gtsv_LBM_rhs_kernelILj256ELj32ELj2E21rocsparse_complex_numIdEEEviiiPKT2_S5_S5_PS3_S5_PKi.kd
    .uniform_work_group_size: 1
    .uses_dynamic_stack: false
    .vgpr_count:     78
    .vgpr_spill_count: 0
    .wavefront_size: 64
  - .agpr_count:     0
    .args:
      - .offset:         0
        .size:           4
        .value_kind:     by_value
      - .offset:         4
        .size:           4
        .value_kind:     by_value
      - .offset:         8
        .size:           4
        .value_kind:     by_value
      - .actual_access:  read_only
        .address_space:  global
        .offset:         16
        .size:           8
        .value_kind:     global_buffer
      - .actual_access:  read_only
        .address_space:  global
        .offset:         24
        .size:           8
        .value_kind:     global_buffer
      - .actual_access:  read_only
        .address_space:  global
        .offset:         32
        .size:           8
        .value_kind:     global_buffer
      - .address_space:  global
        .offset:         40
        .size:           8
        .value_kind:     global_buffer
      - .actual_access:  read_only
        .address_space:  global
        .offset:         48
        .size:           8
        .value_kind:     global_buffer
      - .actual_access:  read_only
        .address_space:  global
        .offset:         56
        .size:           8
        .value_kind:     global_buffer
    .group_segment_fixed_size: 0
    .kernarg_segment_align: 8
    .kernarg_segment_size: 64
    .language:       OpenCL C
    .language_version:
      - 2
      - 0
    .max_flat_workgroup_size: 256
    .name:           _ZN9rocsparseL19gtsv_LBM_rhs_kernelILj256ELj32ELj1E21rocsparse_complex_numIdEEEviiiPKT2_S5_S5_PS3_S5_PKi
    .private_segment_fixed_size: 0
    .sgpr_count:     34
    .sgpr_spill_count: 0
    .symbol:         _ZN9rocsparseL19gtsv_LBM_rhs_kernelILj256ELj32ELj1E21rocsparse_complex_numIdEEEviiiPKT2_S5_S5_PS3_S5_PKi.kd
    .uniform_work_group_size: 1
    .uses_dynamic_stack: false
    .vgpr_count:     62
    .vgpr_spill_count: 0
    .wavefront_size: 64
  - .agpr_count:     0
    .args:
      - .offset:         0
        .size:           4
        .value_kind:     by_value
      - .offset:         4
        .size:           4
        .value_kind:     by_value
      - .offset:         8
        .size:           4
        .value_kind:     by_value
      - .address_space:  global
        .offset:         16
        .size:           8
        .value_kind:     global_buffer
      - .actual_access:  read_only
        .address_space:  global
        .offset:         24
        .size:           8
        .value_kind:     global_buffer
      - .actual_access:  read_only
        .address_space:  global
        .offset:         32
        .size:           8
        .value_kind:     global_buffer
      - .actual_access:  write_only
        .address_space:  global
        .offset:         40
        .size:           8
        .value_kind:     global_buffer
      - .actual_access:  write_only
        .address_space:  global
        .offset:         48
        .size:           8
        .value_kind:     global_buffer
      - .actual_access:  write_only
        .address_space:  global
        .offset:         56
        .size:           8
        .value_kind:     global_buffer
      - .actual_access:  write_only
        .address_space:  global
        .offset:         64
        .size:           8
        .value_kind:     global_buffer
      - .actual_access:  write_only
        .address_space:  global
        .offset:         72
        .size:           8
        .value_kind:     global_buffer
      - .offset:         80
        .size:           4
        .value_kind:     hidden_block_count_x
      - .offset:         84
        .size:           4
        .value_kind:     hidden_block_count_y
      - .offset:         88
        .size:           4
        .value_kind:     hidden_block_count_z
      - .offset:         92
        .size:           2
        .value_kind:     hidden_group_size_x
      - .offset:         94
        .size:           2
        .value_kind:     hidden_group_size_y
      - .offset:         96
        .size:           2
        .value_kind:     hidden_group_size_z
      - .offset:         98
        .size:           2
        .value_kind:     hidden_remainder_x
      - .offset:         100
        .size:           2
        .value_kind:     hidden_remainder_y
      - .offset:         102
        .size:           2
        .value_kind:     hidden_remainder_z
      - .offset:         120
        .size:           8
        .value_kind:     hidden_global_offset_x
      - .offset:         128
        .size:           8
        .value_kind:     hidden_global_offset_y
      - .offset:         136
        .size:           8
        .value_kind:     hidden_global_offset_z
      - .offset:         144
        .size:           2
        .value_kind:     hidden_grid_dims
    .group_segment_fixed_size: 24576
    .kernarg_segment_align: 8
    .kernarg_segment_size: 336
    .language:       OpenCL C
    .language_version:
      - 2
      - 0
    .max_flat_workgroup_size: 256
    .name:           _ZN9rocsparseL29gtsv_spike_block_level_kernelILj256ELj32E21rocsparse_complex_numIdEEEviiiPT1_PKS3_S6_S4_S4_S4_S4_S4_
    .private_segment_fixed_size: 0
    .sgpr_count:     32
    .sgpr_spill_count: 0
    .symbol:         _ZN9rocsparseL29gtsv_spike_block_level_kernelILj256ELj32E21rocsparse_complex_numIdEEEviiiPT1_PKS3_S6_S4_S4_S4_S4_S4_.kd
    .uniform_work_group_size: 1
    .uses_dynamic_stack: false
    .vgpr_count:     48
    .vgpr_spill_count: 0
    .wavefront_size: 64
  - .agpr_count:     0
    .args:
      - .offset:         0
        .size:           4
        .value_kind:     by_value
      - .offset:         4
        .size:           4
        .value_kind:     by_value
      - .offset:         8
        .size:           4
        .value_kind:     by_value
      - .address_space:  global
        .offset:         16
        .size:           8
        .value_kind:     global_buffer
      - .actual_access:  read_only
        .address_space:  global
        .offset:         24
        .size:           8
        .value_kind:     global_buffer
      - .actual_access:  read_only
        .address_space:  global
        .offset:         32
        .size:           8
        .value_kind:     global_buffer
      - .actual_access:  read_only
        .address_space:  global
        .offset:         40
        .size:           8
        .value_kind:     global_buffer
      - .offset:         48
        .size:           4
        .value_kind:     hidden_block_count_x
      - .offset:         52
        .size:           4
        .value_kind:     hidden_block_count_y
      - .offset:         56
        .size:           4
        .value_kind:     hidden_block_count_z
      - .offset:         60
        .size:           2
        .value_kind:     hidden_group_size_x
      - .offset:         62
        .size:           2
        .value_kind:     hidden_group_size_y
      - .offset:         64
        .size:           2
        .value_kind:     hidden_group_size_z
      - .offset:         66
        .size:           2
        .value_kind:     hidden_remainder_x
      - .offset:         68
        .size:           2
        .value_kind:     hidden_remainder_y
      - .offset:         70
        .size:           2
        .value_kind:     hidden_remainder_z
      - .offset:         88
        .size:           8
        .value_kind:     hidden_global_offset_x
      - .offset:         96
        .size:           8
        .value_kind:     hidden_global_offset_y
      - .offset:         104
        .size:           8
        .value_kind:     hidden_global_offset_z
      - .offset:         112
        .size:           2
        .value_kind:     hidden_grid_dims
    .group_segment_fixed_size: 24608
    .kernarg_segment_align: 8
    .kernarg_segment_size: 304
    .language:       OpenCL C
    .language_version:
      - 2
      - 0
    .max_flat_workgroup_size: 256
    .name:           _ZN9rocsparseL33gtsv_solve_spike_propagate_kernelILj256ELj32E21rocsparse_complex_numIdEEEviiiPT1_PKS3_S6_S6_
    .private_segment_fixed_size: 0
    .sgpr_count:     28
    .sgpr_spill_count: 0
    .symbol:         _ZN9rocsparseL33gtsv_solve_spike_propagate_kernelILj256ELj32E21rocsparse_complex_numIdEEEviiiPT1_PKS3_S6_S6_.kd
    .uniform_work_group_size: 1
    .uses_dynamic_stack: false
    .vgpr_count:     35
    .vgpr_spill_count: 0
    .wavefront_size: 64
  - .agpr_count:     0
    .args:
      - .offset:         0
        .size:           4
        .value_kind:     by_value
      - .offset:         4
        .size:           4
        .value_kind:     by_value
      - .offset:         8
        .size:           4
        .value_kind:     by_value
      - .address_space:  global
        .offset:         16
        .size:           8
        .value_kind:     global_buffer
      - .actual_access:  read_only
        .address_space:  global
        .offset:         24
        .size:           8
        .value_kind:     global_buffer
      - .actual_access:  read_only
        .address_space:  global
        .offset:         32
        .size:           8
        .value_kind:     global_buffer
    .group_segment_fixed_size: 0
    .kernarg_segment_align: 8
    .kernarg_segment_size: 40
    .language:       OpenCL C
    .language_version:
      - 2
      - 0
    .max_flat_workgroup_size: 256
    .name:           _ZN9rocsparseL39gtsv_spike_backward_substitution_kernelILj256ELj32E21rocsparse_complex_numIdEEEviiiPT1_PKS3_S6_
    .private_segment_fixed_size: 0
    .sgpr_count:     18
    .sgpr_spill_count: 0
    .symbol:         _ZN9rocsparseL39gtsv_spike_backward_substitution_kernelILj256ELj32E21rocsparse_complex_numIdEEEviiiPT1_PKS3_S6_.kd
    .uniform_work_group_size: 1
    .uses_dynamic_stack: false
    .vgpr_count:     46
    .vgpr_spill_count: 0
    .wavefront_size: 64
  - .agpr_count:     0
    .args:
      - .offset:         0
        .size:           4
        .value_kind:     by_value
      - .offset:         4
        .size:           4
        .value_kind:     by_value
      - .offset:         8
        .size:           4
        .value_kind:     by_value
      - .actual_access:  read_only
        .address_space:  global
        .offset:         16
        .size:           8
        .value_kind:     global_buffer
      - .actual_access:  write_only
        .address_space:  global
        .offset:         24
        .size:           8
        .value_kind:     global_buffer
    .group_segment_fixed_size: 0
    .kernarg_segment_align: 8
    .kernarg_segment_size: 32
    .language:       OpenCL C
    .language_version:
      - 2
      - 0
    .max_flat_workgroup_size: 256
    .name:           _ZN9rocsparseL32gtsv_transpose_back_array_kernelILj256ELj32E21rocsparse_complex_numIdEEEviiiPKT1_PS3_
    .private_segment_fixed_size: 0
    .sgpr_count:     18
    .sgpr_spill_count: 0
    .symbol:         _ZN9rocsparseL32gtsv_transpose_back_array_kernelILj256ELj32E21rocsparse_complex_numIdEEEviiiPKT1_PS3_.kd
    .uniform_work_group_size: 1
    .uses_dynamic_stack: false
    .vgpr_count:     6
    .vgpr_spill_count: 0
    .wavefront_size: 64
  - .agpr_count:     0
    .args:
      - .offset:         0
        .size:           4
        .value_kind:     by_value
      - .offset:         4
        .size:           4
        .value_kind:     by_value
      - .offset:         8
        .size:           4
        .value_kind:     by_value
      - .actual_access:  read_only
        .address_space:  global
        .offset:         16
        .size:           8
        .value_kind:     global_buffer
      - .actual_access:  write_only
        .address_space:  global
        .offset:         24
        .size:           8
        .value_kind:     global_buffer
      - .offset:         32
        .size:           16
        .value_kind:     by_value
    .group_segment_fixed_size: 4096
    .kernarg_segment_align: 8
    .kernarg_segment_size: 48
    .language:       OpenCL C
    .language_version:
      - 2
      - 0
    .max_flat_workgroup_size: 256
    .name:           _ZN9rocsparseL42gtsv_transpose_and_pad_array_shared_kernelILj256ELj64E21rocsparse_complex_numIdEEEviiiPKT1_PS3_S3_
    .private_segment_fixed_size: 0
    .sgpr_count:     22
    .sgpr_spill_count: 0
    .symbol:         _ZN9rocsparseL42gtsv_transpose_and_pad_array_shared_kernelILj256ELj64E21rocsparse_complex_numIdEEEviiiPKT1_PS3_S3_.kd
    .uniform_work_group_size: 1
    .uses_dynamic_stack: false
    .vgpr_count:     6
    .vgpr_spill_count: 0
    .wavefront_size: 64
  - .agpr_count:     0
    .args:
      - .offset:         0
        .size:           4
        .value_kind:     by_value
      - .offset:         4
        .size:           4
        .value_kind:     by_value
      - .offset:         8
        .size:           4
        .value_kind:     by_value
      - .actual_access:  read_only
        .address_space:  global
        .offset:         16
        .size:           8
        .value_kind:     global_buffer
      - .actual_access:  read_only
        .address_space:  global
        .offset:         24
        .size:           8
        .value_kind:     global_buffer
      - .actual_access:  read_only
        .address_space:  global
        .offset:         32
        .size:           8
        .value_kind:     global_buffer
      - .address_space:  global
        .offset:         40
        .size:           8
        .value_kind:     global_buffer
      - .address_space:  global
        .offset:         48
        .size:           8
        .value_kind:     global_buffer
      - .address_space:  global
        .offset:         56
        .size:           8
        .value_kind:     global_buffer
      - .address_space:  global
        .offset:         64
        .size:           8
        .value_kind:     global_buffer
    .group_segment_fixed_size: 0
    .kernarg_segment_align: 8
    .kernarg_segment_size: 72
    .language:       OpenCL C
    .language_version:
      - 2
      - 0
    .max_flat_workgroup_size: 256
    .name:           _ZN9rocsparseL18gtsv_LBM_wv_kernelILj256ELj64E21rocsparse_complex_numIdEEEviiiPKT1_S5_S5_PS3_S6_S6_Pi
    .private_segment_fixed_size: 0
    .sgpr_count:     42
    .sgpr_spill_count: 0
    .symbol:         _ZN9rocsparseL18gtsv_LBM_wv_kernelILj256ELj64E21rocsparse_complex_numIdEEEviiiPKT1_S5_S5_PS3_S6_S6_Pi.kd
    .uniform_work_group_size: 1
    .uses_dynamic_stack: false
    .vgpr_count:     84
    .vgpr_spill_count: 0
    .wavefront_size: 64
  - .agpr_count:     0
    .args:
      - .offset:         0
        .size:           4
        .value_kind:     by_value
      - .offset:         4
        .size:           4
        .value_kind:     by_value
      - .offset:         8
        .size:           4
        .value_kind:     by_value
      - .actual_access:  read_only
        .address_space:  global
        .offset:         16
        .size:           8
        .value_kind:     global_buffer
      - .actual_access:  read_only
        .address_space:  global
        .offset:         24
        .size:           8
        .value_kind:     global_buffer
      - .actual_access:  read_only
        .address_space:  global
        .offset:         32
        .size:           8
        .value_kind:     global_buffer
      - .address_space:  global
        .offset:         40
        .size:           8
        .value_kind:     global_buffer
      - .actual_access:  read_only
        .address_space:  global
        .offset:         48
        .size:           8
        .value_kind:     global_buffer
      - .actual_access:  read_only
        .address_space:  global
        .offset:         56
        .size:           8
        .value_kind:     global_buffer
    .group_segment_fixed_size: 0
    .kernarg_segment_align: 8
    .kernarg_segment_size: 64
    .language:       OpenCL C
    .language_version:
      - 2
      - 0
    .max_flat_workgroup_size: 256
    .name:           _ZN9rocsparseL19gtsv_LBM_rhs_kernelILj256ELj64ELj8E21rocsparse_complex_numIdEEEviiiPKT2_S5_S5_PS3_S5_PKi
    .private_segment_fixed_size: 0
    .sgpr_count:     43
    .sgpr_spill_count: 0
    .symbol:         _ZN9rocsparseL19gtsv_LBM_rhs_kernelILj256ELj64ELj8E21rocsparse_complex_numIdEEEviiiPKT2_S5_S5_PS3_S5_PKi.kd
    .uniform_work_group_size: 1
    .uses_dynamic_stack: false
    .vgpr_count:     156
    .vgpr_spill_count: 0
    .wavefront_size: 64
  - .agpr_count:     0
    .args:
      - .offset:         0
        .size:           4
        .value_kind:     by_value
      - .offset:         4
        .size:           4
        .value_kind:     by_value
      - .offset:         8
        .size:           4
        .value_kind:     by_value
      - .actual_access:  read_only
        .address_space:  global
        .offset:         16
        .size:           8
        .value_kind:     global_buffer
      - .actual_access:  read_only
        .address_space:  global
        .offset:         24
        .size:           8
        .value_kind:     global_buffer
      - .actual_access:  read_only
        .address_space:  global
        .offset:         32
        .size:           8
        .value_kind:     global_buffer
      - .address_space:  global
        .offset:         40
        .size:           8
        .value_kind:     global_buffer
      - .actual_access:  read_only
        .address_space:  global
        .offset:         48
        .size:           8
        .value_kind:     global_buffer
      - .actual_access:  read_only
        .address_space:  global
        .offset:         56
        .size:           8
        .value_kind:     global_buffer
    .group_segment_fixed_size: 0
    .kernarg_segment_align: 8
    .kernarg_segment_size: 64
    .language:       OpenCL C
    .language_version:
      - 2
      - 0
    .max_flat_workgroup_size: 256
    .name:           _ZN9rocsparseL19gtsv_LBM_rhs_kernelILj256ELj64ELj4E21rocsparse_complex_numIdEEEviiiPKT2_S5_S5_PS3_S5_PKi
    .private_segment_fixed_size: 0
    .sgpr_count:     38
    .sgpr_spill_count: 0
    .symbol:         _ZN9rocsparseL19gtsv_LBM_rhs_kernelILj256ELj64ELj4E21rocsparse_complex_numIdEEEviiiPKT2_S5_S5_PS3_S5_PKi.kd
    .uniform_work_group_size: 1
    .uses_dynamic_stack: false
    .vgpr_count:     98
    .vgpr_spill_count: 0
    .wavefront_size: 64
  - .agpr_count:     0
    .args:
      - .offset:         0
        .size:           4
        .value_kind:     by_value
      - .offset:         4
        .size:           4
        .value_kind:     by_value
      - .offset:         8
        .size:           4
        .value_kind:     by_value
      - .actual_access:  read_only
        .address_space:  global
        .offset:         16
        .size:           8
        .value_kind:     global_buffer
      - .actual_access:  read_only
        .address_space:  global
        .offset:         24
        .size:           8
        .value_kind:     global_buffer
      - .actual_access:  read_only
        .address_space:  global
        .offset:         32
        .size:           8
        .value_kind:     global_buffer
      - .address_space:  global
        .offset:         40
        .size:           8
        .value_kind:     global_buffer
      - .actual_access:  read_only
        .address_space:  global
        .offset:         48
        .size:           8
        .value_kind:     global_buffer
      - .actual_access:  read_only
        .address_space:  global
        .offset:         56
        .size:           8
        .value_kind:     global_buffer
    .group_segment_fixed_size: 0
    .kernarg_segment_align: 8
    .kernarg_segment_size: 64
    .language:       OpenCL C
    .language_version:
      - 2
      - 0
    .max_flat_workgroup_size: 256
    .name:           _ZN9rocsparseL19gtsv_LBM_rhs_kernelILj256ELj64ELj2E21rocsparse_complex_numIdEEEviiiPKT2_S5_S5_PS3_S5_PKi
    .private_segment_fixed_size: 0
    .sgpr_count:     36
    .sgpr_spill_count: 0
    .symbol:         _ZN9rocsparseL19gtsv_LBM_rhs_kernelILj256ELj64ELj2E21rocsparse_complex_numIdEEEviiiPKT2_S5_S5_PS3_S5_PKi.kd
    .uniform_work_group_size: 1
    .uses_dynamic_stack: false
    .vgpr_count:     78
    .vgpr_spill_count: 0
    .wavefront_size: 64
  - .agpr_count:     0
    .args:
      - .offset:         0
        .size:           4
        .value_kind:     by_value
      - .offset:         4
        .size:           4
        .value_kind:     by_value
      - .offset:         8
        .size:           4
        .value_kind:     by_value
      - .actual_access:  read_only
        .address_space:  global
        .offset:         16
        .size:           8
        .value_kind:     global_buffer
      - .actual_access:  read_only
        .address_space:  global
        .offset:         24
        .size:           8
        .value_kind:     global_buffer
      - .actual_access:  read_only
        .address_space:  global
        .offset:         32
        .size:           8
        .value_kind:     global_buffer
      - .address_space:  global
        .offset:         40
        .size:           8
        .value_kind:     global_buffer
      - .actual_access:  read_only
        .address_space:  global
        .offset:         48
        .size:           8
        .value_kind:     global_buffer
      - .actual_access:  read_only
        .address_space:  global
        .offset:         56
        .size:           8
        .value_kind:     global_buffer
    .group_segment_fixed_size: 0
    .kernarg_segment_align: 8
    .kernarg_segment_size: 64
    .language:       OpenCL C
    .language_version:
      - 2
      - 0
    .max_flat_workgroup_size: 256
    .name:           _ZN9rocsparseL19gtsv_LBM_rhs_kernelILj256ELj64ELj1E21rocsparse_complex_numIdEEEviiiPKT2_S5_S5_PS3_S5_PKi
    .private_segment_fixed_size: 0
    .sgpr_count:     34
    .sgpr_spill_count: 0
    .symbol:         _ZN9rocsparseL19gtsv_LBM_rhs_kernelILj256ELj64ELj1E21rocsparse_complex_numIdEEEviiiPKT2_S5_S5_PS3_S5_PKi.kd
    .uniform_work_group_size: 1
    .uses_dynamic_stack: false
    .vgpr_count:     62
    .vgpr_spill_count: 0
    .wavefront_size: 64
  - .agpr_count:     0
    .args:
      - .offset:         0
        .size:           4
        .value_kind:     by_value
      - .offset:         4
        .size:           4
        .value_kind:     by_value
      - .offset:         8
        .size:           4
        .value_kind:     by_value
      - .address_space:  global
        .offset:         16
        .size:           8
        .value_kind:     global_buffer
      - .actual_access:  read_only
        .address_space:  global
        .offset:         24
        .size:           8
        .value_kind:     global_buffer
      - .actual_access:  read_only
        .address_space:  global
        .offset:         32
        .size:           8
        .value_kind:     global_buffer
      - .actual_access:  write_only
        .address_space:  global
        .offset:         40
        .size:           8
        .value_kind:     global_buffer
      - .actual_access:  write_only
        .address_space:  global
        .offset:         48
        .size:           8
        .value_kind:     global_buffer
      - .actual_access:  write_only
        .address_space:  global
        .offset:         56
        .size:           8
        .value_kind:     global_buffer
      - .actual_access:  write_only
        .address_space:  global
        .offset:         64
        .size:           8
        .value_kind:     global_buffer
      - .actual_access:  write_only
        .address_space:  global
        .offset:         72
        .size:           8
        .value_kind:     global_buffer
      - .offset:         80
        .size:           4
        .value_kind:     hidden_block_count_x
      - .offset:         84
        .size:           4
        .value_kind:     hidden_block_count_y
      - .offset:         88
        .size:           4
        .value_kind:     hidden_block_count_z
      - .offset:         92
        .size:           2
        .value_kind:     hidden_group_size_x
      - .offset:         94
        .size:           2
        .value_kind:     hidden_group_size_y
      - .offset:         96
        .size:           2
        .value_kind:     hidden_group_size_z
      - .offset:         98
        .size:           2
        .value_kind:     hidden_remainder_x
      - .offset:         100
        .size:           2
        .value_kind:     hidden_remainder_y
      - .offset:         102
        .size:           2
        .value_kind:     hidden_remainder_z
      - .offset:         120
        .size:           8
        .value_kind:     hidden_global_offset_x
      - .offset:         128
        .size:           8
        .value_kind:     hidden_global_offset_y
      - .offset:         136
        .size:           8
        .value_kind:     hidden_global_offset_z
      - .offset:         144
        .size:           2
        .value_kind:     hidden_grid_dims
    .group_segment_fixed_size: 24576
    .kernarg_segment_align: 8
    .kernarg_segment_size: 336
    .language:       OpenCL C
    .language_version:
      - 2
      - 0
    .max_flat_workgroup_size: 256
    .name:           _ZN9rocsparseL29gtsv_spike_block_level_kernelILj256ELj64E21rocsparse_complex_numIdEEEviiiPT1_PKS3_S6_S4_S4_S4_S4_S4_
    .private_segment_fixed_size: 0
    .sgpr_count:     32
    .sgpr_spill_count: 0
    .symbol:         _ZN9rocsparseL29gtsv_spike_block_level_kernelILj256ELj64E21rocsparse_complex_numIdEEEviiiPT1_PKS3_S6_S4_S4_S4_S4_S4_.kd
    .uniform_work_group_size: 1
    .uses_dynamic_stack: false
    .vgpr_count:     48
    .vgpr_spill_count: 0
    .wavefront_size: 64
  - .agpr_count:     0
    .args:
      - .offset:         0
        .size:           4
        .value_kind:     by_value
      - .offset:         4
        .size:           4
        .value_kind:     by_value
      - .offset:         8
        .size:           4
        .value_kind:     by_value
      - .address_space:  global
        .offset:         16
        .size:           8
        .value_kind:     global_buffer
      - .actual_access:  read_only
        .address_space:  global
        .offset:         24
        .size:           8
        .value_kind:     global_buffer
      - .actual_access:  read_only
        .address_space:  global
        .offset:         32
        .size:           8
        .value_kind:     global_buffer
      - .actual_access:  read_only
        .address_space:  global
        .offset:         40
        .size:           8
        .value_kind:     global_buffer
      - .offset:         48
        .size:           4
        .value_kind:     hidden_block_count_x
      - .offset:         52
        .size:           4
        .value_kind:     hidden_block_count_y
      - .offset:         56
        .size:           4
        .value_kind:     hidden_block_count_z
      - .offset:         60
        .size:           2
        .value_kind:     hidden_group_size_x
      - .offset:         62
        .size:           2
        .value_kind:     hidden_group_size_y
      - .offset:         64
        .size:           2
        .value_kind:     hidden_group_size_z
      - .offset:         66
        .size:           2
        .value_kind:     hidden_remainder_x
      - .offset:         68
        .size:           2
        .value_kind:     hidden_remainder_y
      - .offset:         70
        .size:           2
        .value_kind:     hidden_remainder_z
      - .offset:         88
        .size:           8
        .value_kind:     hidden_global_offset_x
      - .offset:         96
        .size:           8
        .value_kind:     hidden_global_offset_y
      - .offset:         104
        .size:           8
        .value_kind:     hidden_global_offset_z
      - .offset:         112
        .size:           2
        .value_kind:     hidden_grid_dims
    .group_segment_fixed_size: 24608
    .kernarg_segment_align: 8
    .kernarg_segment_size: 304
    .language:       OpenCL C
    .language_version:
      - 2
      - 0
    .max_flat_workgroup_size: 256
    .name:           _ZN9rocsparseL33gtsv_solve_spike_propagate_kernelILj256ELj64E21rocsparse_complex_numIdEEEviiiPT1_PKS3_S6_S6_
    .private_segment_fixed_size: 0
    .sgpr_count:     28
    .sgpr_spill_count: 0
    .symbol:         _ZN9rocsparseL33gtsv_solve_spike_propagate_kernelILj256ELj64E21rocsparse_complex_numIdEEEviiiPT1_PKS3_S6_S6_.kd
    .uniform_work_group_size: 1
    .uses_dynamic_stack: false
    .vgpr_count:     35
    .vgpr_spill_count: 0
    .wavefront_size: 64
  - .agpr_count:     0
    .args:
      - .offset:         0
        .size:           4
        .value_kind:     by_value
      - .offset:         4
        .size:           4
        .value_kind:     by_value
      - .offset:         8
        .size:           4
        .value_kind:     by_value
      - .address_space:  global
        .offset:         16
        .size:           8
        .value_kind:     global_buffer
      - .actual_access:  read_only
        .address_space:  global
        .offset:         24
        .size:           8
        .value_kind:     global_buffer
      - .actual_access:  read_only
        .address_space:  global
        .offset:         32
        .size:           8
        .value_kind:     global_buffer
    .group_segment_fixed_size: 0
    .kernarg_segment_align: 8
    .kernarg_segment_size: 40
    .language:       OpenCL C
    .language_version:
      - 2
      - 0
    .max_flat_workgroup_size: 256
    .name:           _ZN9rocsparseL39gtsv_spike_backward_substitution_kernelILj256ELj64E21rocsparse_complex_numIdEEEviiiPT1_PKS3_S6_
    .private_segment_fixed_size: 0
    .sgpr_count:     18
    .sgpr_spill_count: 0
    .symbol:         _ZN9rocsparseL39gtsv_spike_backward_substitution_kernelILj256ELj64E21rocsparse_complex_numIdEEEviiiPT1_PKS3_S6_.kd
    .uniform_work_group_size: 1
    .uses_dynamic_stack: false
    .vgpr_count:     46
    .vgpr_spill_count: 0
    .wavefront_size: 64
  - .agpr_count:     0
    .args:
      - .offset:         0
        .size:           4
        .value_kind:     by_value
      - .offset:         4
        .size:           4
        .value_kind:     by_value
      - .offset:         8
        .size:           4
        .value_kind:     by_value
      - .actual_access:  read_only
        .address_space:  global
        .offset:         16
        .size:           8
        .value_kind:     global_buffer
      - .actual_access:  write_only
        .address_space:  global
        .offset:         24
        .size:           8
        .value_kind:     global_buffer
    .group_segment_fixed_size: 0
    .kernarg_segment_align: 8
    .kernarg_segment_size: 32
    .language:       OpenCL C
    .language_version:
      - 2
      - 0
    .max_flat_workgroup_size: 256
    .name:           _ZN9rocsparseL32gtsv_transpose_back_array_kernelILj256ELj64E21rocsparse_complex_numIdEEEviiiPKT1_PS3_
    .private_segment_fixed_size: 0
    .sgpr_count:     18
    .sgpr_spill_count: 0
    .symbol:         _ZN9rocsparseL32gtsv_transpose_back_array_kernelILj256ELj64E21rocsparse_complex_numIdEEEviiiPKT1_PS3_.kd
    .uniform_work_group_size: 1
    .uses_dynamic_stack: false
    .vgpr_count:     6
    .vgpr_spill_count: 0
    .wavefront_size: 64
  - .agpr_count:     0
    .args:
      - .offset:         0
        .size:           4
        .value_kind:     by_value
      - .offset:         4
        .size:           4
        .value_kind:     by_value
      - .offset:         8
        .size:           4
        .value_kind:     by_value
      - .actual_access:  read_only
        .address_space:  global
        .offset:         16
        .size:           8
        .value_kind:     global_buffer
      - .actual_access:  write_only
        .address_space:  global
        .offset:         24
        .size:           8
        .value_kind:     global_buffer
      - .offset:         32
        .size:           16
        .value_kind:     by_value
    .group_segment_fixed_size: 4096
    .kernarg_segment_align: 8
    .kernarg_segment_size: 48
    .language:       OpenCL C
    .language_version:
      - 2
      - 0
    .max_flat_workgroup_size: 256
    .name:           _ZN9rocsparseL42gtsv_transpose_and_pad_array_shared_kernelILj256ELj128E21rocsparse_complex_numIdEEEviiiPKT1_PS3_S3_
    .private_segment_fixed_size: 0
    .sgpr_count:     22
    .sgpr_spill_count: 0
    .symbol:         _ZN9rocsparseL42gtsv_transpose_and_pad_array_shared_kernelILj256ELj128E21rocsparse_complex_numIdEEEviiiPKT1_PS3_S3_.kd
    .uniform_work_group_size: 1
    .uses_dynamic_stack: false
    .vgpr_count:     6
    .vgpr_spill_count: 0
    .wavefront_size: 64
  - .agpr_count:     0
    .args:
      - .offset:         0
        .size:           4
        .value_kind:     by_value
      - .offset:         4
        .size:           4
        .value_kind:     by_value
      - .offset:         8
        .size:           4
        .value_kind:     by_value
      - .actual_access:  read_only
        .address_space:  global
        .offset:         16
        .size:           8
        .value_kind:     global_buffer
      - .actual_access:  read_only
        .address_space:  global
        .offset:         24
        .size:           8
        .value_kind:     global_buffer
      - .actual_access:  read_only
        .address_space:  global
        .offset:         32
        .size:           8
        .value_kind:     global_buffer
      - .address_space:  global
        .offset:         40
        .size:           8
        .value_kind:     global_buffer
      - .address_space:  global
        .offset:         48
        .size:           8
        .value_kind:     global_buffer
      - .address_space:  global
        .offset:         56
        .size:           8
        .value_kind:     global_buffer
      - .address_space:  global
        .offset:         64
        .size:           8
        .value_kind:     global_buffer
    .group_segment_fixed_size: 0
    .kernarg_segment_align: 8
    .kernarg_segment_size: 72
    .language:       OpenCL C
    .language_version:
      - 2
      - 0
    .max_flat_workgroup_size: 256
    .name:           _ZN9rocsparseL18gtsv_LBM_wv_kernelILj256ELj128E21rocsparse_complex_numIdEEEviiiPKT1_S5_S5_PS3_S6_S6_Pi
    .private_segment_fixed_size: 0
    .sgpr_count:     42
    .sgpr_spill_count: 0
    .symbol:         _ZN9rocsparseL18gtsv_LBM_wv_kernelILj256ELj128E21rocsparse_complex_numIdEEEviiiPKT1_S5_S5_PS3_S6_S6_Pi.kd
    .uniform_work_group_size: 1
    .uses_dynamic_stack: false
    .vgpr_count:     84
    .vgpr_spill_count: 0
    .wavefront_size: 64
  - .agpr_count:     0
    .args:
      - .offset:         0
        .size:           4
        .value_kind:     by_value
      - .offset:         4
        .size:           4
        .value_kind:     by_value
      - .offset:         8
        .size:           4
        .value_kind:     by_value
      - .actual_access:  read_only
        .address_space:  global
        .offset:         16
        .size:           8
        .value_kind:     global_buffer
      - .actual_access:  read_only
        .address_space:  global
        .offset:         24
        .size:           8
        .value_kind:     global_buffer
      - .actual_access:  read_only
        .address_space:  global
        .offset:         32
        .size:           8
        .value_kind:     global_buffer
      - .address_space:  global
        .offset:         40
        .size:           8
        .value_kind:     global_buffer
      - .actual_access:  read_only
        .address_space:  global
        .offset:         48
        .size:           8
        .value_kind:     global_buffer
      - .actual_access:  read_only
        .address_space:  global
        .offset:         56
        .size:           8
        .value_kind:     global_buffer
    .group_segment_fixed_size: 0
    .kernarg_segment_align: 8
    .kernarg_segment_size: 64
    .language:       OpenCL C
    .language_version:
      - 2
      - 0
    .max_flat_workgroup_size: 256
    .name:           _ZN9rocsparseL19gtsv_LBM_rhs_kernelILj256ELj128ELj8E21rocsparse_complex_numIdEEEviiiPKT2_S5_S5_PS3_S5_PKi
    .private_segment_fixed_size: 0
    .sgpr_count:     43
    .sgpr_spill_count: 0
    .symbol:         _ZN9rocsparseL19gtsv_LBM_rhs_kernelILj256ELj128ELj8E21rocsparse_complex_numIdEEEviiiPKT2_S5_S5_PS3_S5_PKi.kd
    .uniform_work_group_size: 1
    .uses_dynamic_stack: false
    .vgpr_count:     156
    .vgpr_spill_count: 0
    .wavefront_size: 64
  - .agpr_count:     0
    .args:
      - .offset:         0
        .size:           4
        .value_kind:     by_value
      - .offset:         4
        .size:           4
        .value_kind:     by_value
      - .offset:         8
        .size:           4
        .value_kind:     by_value
      - .actual_access:  read_only
        .address_space:  global
        .offset:         16
        .size:           8
        .value_kind:     global_buffer
      - .actual_access:  read_only
        .address_space:  global
        .offset:         24
        .size:           8
        .value_kind:     global_buffer
      - .actual_access:  read_only
        .address_space:  global
        .offset:         32
        .size:           8
        .value_kind:     global_buffer
      - .address_space:  global
        .offset:         40
        .size:           8
        .value_kind:     global_buffer
      - .actual_access:  read_only
        .address_space:  global
        .offset:         48
        .size:           8
        .value_kind:     global_buffer
      - .actual_access:  read_only
        .address_space:  global
        .offset:         56
        .size:           8
        .value_kind:     global_buffer
    .group_segment_fixed_size: 0
    .kernarg_segment_align: 8
    .kernarg_segment_size: 64
    .language:       OpenCL C
    .language_version:
      - 2
      - 0
    .max_flat_workgroup_size: 256
    .name:           _ZN9rocsparseL19gtsv_LBM_rhs_kernelILj256ELj128ELj4E21rocsparse_complex_numIdEEEviiiPKT2_S5_S5_PS3_S5_PKi
    .private_segment_fixed_size: 0
    .sgpr_count:     38
    .sgpr_spill_count: 0
    .symbol:         _ZN9rocsparseL19gtsv_LBM_rhs_kernelILj256ELj128ELj4E21rocsparse_complex_numIdEEEviiiPKT2_S5_S5_PS3_S5_PKi.kd
    .uniform_work_group_size: 1
    .uses_dynamic_stack: false
    .vgpr_count:     98
    .vgpr_spill_count: 0
    .wavefront_size: 64
  - .agpr_count:     0
    .args:
      - .offset:         0
        .size:           4
        .value_kind:     by_value
      - .offset:         4
        .size:           4
        .value_kind:     by_value
      - .offset:         8
        .size:           4
        .value_kind:     by_value
      - .actual_access:  read_only
        .address_space:  global
        .offset:         16
        .size:           8
        .value_kind:     global_buffer
      - .actual_access:  read_only
        .address_space:  global
        .offset:         24
        .size:           8
        .value_kind:     global_buffer
      - .actual_access:  read_only
        .address_space:  global
        .offset:         32
        .size:           8
        .value_kind:     global_buffer
      - .address_space:  global
        .offset:         40
        .size:           8
        .value_kind:     global_buffer
      - .actual_access:  read_only
        .address_space:  global
        .offset:         48
        .size:           8
        .value_kind:     global_buffer
      - .actual_access:  read_only
        .address_space:  global
        .offset:         56
        .size:           8
        .value_kind:     global_buffer
    .group_segment_fixed_size: 0
    .kernarg_segment_align: 8
    .kernarg_segment_size: 64
    .language:       OpenCL C
    .language_version:
      - 2
      - 0
    .max_flat_workgroup_size: 256
    .name:           _ZN9rocsparseL19gtsv_LBM_rhs_kernelILj256ELj128ELj2E21rocsparse_complex_numIdEEEviiiPKT2_S5_S5_PS3_S5_PKi
    .private_segment_fixed_size: 0
    .sgpr_count:     36
    .sgpr_spill_count: 0
    .symbol:         _ZN9rocsparseL19gtsv_LBM_rhs_kernelILj256ELj128ELj2E21rocsparse_complex_numIdEEEviiiPKT2_S5_S5_PS3_S5_PKi.kd
    .uniform_work_group_size: 1
    .uses_dynamic_stack: false
    .vgpr_count:     78
    .vgpr_spill_count: 0
    .wavefront_size: 64
  - .agpr_count:     0
    .args:
      - .offset:         0
        .size:           4
        .value_kind:     by_value
      - .offset:         4
        .size:           4
        .value_kind:     by_value
      - .offset:         8
        .size:           4
        .value_kind:     by_value
      - .actual_access:  read_only
        .address_space:  global
        .offset:         16
        .size:           8
        .value_kind:     global_buffer
      - .actual_access:  read_only
        .address_space:  global
        .offset:         24
        .size:           8
        .value_kind:     global_buffer
      - .actual_access:  read_only
        .address_space:  global
        .offset:         32
        .size:           8
        .value_kind:     global_buffer
      - .address_space:  global
        .offset:         40
        .size:           8
        .value_kind:     global_buffer
      - .actual_access:  read_only
        .address_space:  global
        .offset:         48
        .size:           8
        .value_kind:     global_buffer
      - .actual_access:  read_only
        .address_space:  global
        .offset:         56
        .size:           8
        .value_kind:     global_buffer
    .group_segment_fixed_size: 0
    .kernarg_segment_align: 8
    .kernarg_segment_size: 64
    .language:       OpenCL C
    .language_version:
      - 2
      - 0
    .max_flat_workgroup_size: 256
    .name:           _ZN9rocsparseL19gtsv_LBM_rhs_kernelILj256ELj128ELj1E21rocsparse_complex_numIdEEEviiiPKT2_S5_S5_PS3_S5_PKi
    .private_segment_fixed_size: 0
    .sgpr_count:     34
    .sgpr_spill_count: 0
    .symbol:         _ZN9rocsparseL19gtsv_LBM_rhs_kernelILj256ELj128ELj1E21rocsparse_complex_numIdEEEviiiPKT2_S5_S5_PS3_S5_PKi.kd
    .uniform_work_group_size: 1
    .uses_dynamic_stack: false
    .vgpr_count:     62
    .vgpr_spill_count: 0
    .wavefront_size: 64
  - .agpr_count:     0
    .args:
      - .offset:         0
        .size:           4
        .value_kind:     by_value
      - .offset:         4
        .size:           4
        .value_kind:     by_value
      - .offset:         8
        .size:           4
        .value_kind:     by_value
      - .address_space:  global
        .offset:         16
        .size:           8
        .value_kind:     global_buffer
      - .actual_access:  read_only
        .address_space:  global
        .offset:         24
        .size:           8
        .value_kind:     global_buffer
      - .actual_access:  read_only
        .address_space:  global
        .offset:         32
        .size:           8
        .value_kind:     global_buffer
      - .actual_access:  write_only
        .address_space:  global
        .offset:         40
        .size:           8
        .value_kind:     global_buffer
      - .actual_access:  write_only
        .address_space:  global
        .offset:         48
        .size:           8
        .value_kind:     global_buffer
      - .actual_access:  write_only
        .address_space:  global
        .offset:         56
        .size:           8
        .value_kind:     global_buffer
      - .actual_access:  write_only
        .address_space:  global
        .offset:         64
        .size:           8
        .value_kind:     global_buffer
      - .actual_access:  write_only
        .address_space:  global
        .offset:         72
        .size:           8
        .value_kind:     global_buffer
      - .offset:         80
        .size:           4
        .value_kind:     hidden_block_count_x
      - .offset:         84
        .size:           4
        .value_kind:     hidden_block_count_y
      - .offset:         88
        .size:           4
        .value_kind:     hidden_block_count_z
      - .offset:         92
        .size:           2
        .value_kind:     hidden_group_size_x
      - .offset:         94
        .size:           2
        .value_kind:     hidden_group_size_y
      - .offset:         96
        .size:           2
        .value_kind:     hidden_group_size_z
      - .offset:         98
        .size:           2
        .value_kind:     hidden_remainder_x
      - .offset:         100
        .size:           2
        .value_kind:     hidden_remainder_y
      - .offset:         102
        .size:           2
        .value_kind:     hidden_remainder_z
      - .offset:         120
        .size:           8
        .value_kind:     hidden_global_offset_x
      - .offset:         128
        .size:           8
        .value_kind:     hidden_global_offset_y
      - .offset:         136
        .size:           8
        .value_kind:     hidden_global_offset_z
      - .offset:         144
        .size:           2
        .value_kind:     hidden_grid_dims
    .group_segment_fixed_size: 24576
    .kernarg_segment_align: 8
    .kernarg_segment_size: 336
    .language:       OpenCL C
    .language_version:
      - 2
      - 0
    .max_flat_workgroup_size: 256
    .name:           _ZN9rocsparseL29gtsv_spike_block_level_kernelILj256ELj128E21rocsparse_complex_numIdEEEviiiPT1_PKS3_S6_S4_S4_S4_S4_S4_
    .private_segment_fixed_size: 0
    .sgpr_count:     32
    .sgpr_spill_count: 0
    .symbol:         _ZN9rocsparseL29gtsv_spike_block_level_kernelILj256ELj128E21rocsparse_complex_numIdEEEviiiPT1_PKS3_S6_S4_S4_S4_S4_S4_.kd
    .uniform_work_group_size: 1
    .uses_dynamic_stack: false
    .vgpr_count:     48
    .vgpr_spill_count: 0
    .wavefront_size: 64
  - .agpr_count:     0
    .args:
      - .offset:         0
        .size:           4
        .value_kind:     by_value
      - .offset:         4
        .size:           4
        .value_kind:     by_value
      - .offset:         8
        .size:           4
        .value_kind:     by_value
      - .address_space:  global
        .offset:         16
        .size:           8
        .value_kind:     global_buffer
      - .actual_access:  read_only
        .address_space:  global
        .offset:         24
        .size:           8
        .value_kind:     global_buffer
      - .actual_access:  read_only
        .address_space:  global
        .offset:         32
        .size:           8
        .value_kind:     global_buffer
      - .actual_access:  read_only
        .address_space:  global
        .offset:         40
        .size:           8
        .value_kind:     global_buffer
      - .offset:         48
        .size:           4
        .value_kind:     hidden_block_count_x
      - .offset:         52
        .size:           4
        .value_kind:     hidden_block_count_y
      - .offset:         56
        .size:           4
        .value_kind:     hidden_block_count_z
      - .offset:         60
        .size:           2
        .value_kind:     hidden_group_size_x
      - .offset:         62
        .size:           2
        .value_kind:     hidden_group_size_y
      - .offset:         64
        .size:           2
        .value_kind:     hidden_group_size_z
      - .offset:         66
        .size:           2
        .value_kind:     hidden_remainder_x
      - .offset:         68
        .size:           2
        .value_kind:     hidden_remainder_y
      - .offset:         70
        .size:           2
        .value_kind:     hidden_remainder_z
      - .offset:         88
        .size:           8
        .value_kind:     hidden_global_offset_x
      - .offset:         96
        .size:           8
        .value_kind:     hidden_global_offset_y
      - .offset:         104
        .size:           8
        .value_kind:     hidden_global_offset_z
      - .offset:         112
        .size:           2
        .value_kind:     hidden_grid_dims
    .group_segment_fixed_size: 24608
    .kernarg_segment_align: 8
    .kernarg_segment_size: 304
    .language:       OpenCL C
    .language_version:
      - 2
      - 0
    .max_flat_workgroup_size: 256
    .name:           _ZN9rocsparseL33gtsv_solve_spike_propagate_kernelILj256ELj128E21rocsparse_complex_numIdEEEviiiPT1_PKS3_S6_S6_
    .private_segment_fixed_size: 0
    .sgpr_count:     28
    .sgpr_spill_count: 0
    .symbol:         _ZN9rocsparseL33gtsv_solve_spike_propagate_kernelILj256ELj128E21rocsparse_complex_numIdEEEviiiPT1_PKS3_S6_S6_.kd
    .uniform_work_group_size: 1
    .uses_dynamic_stack: false
    .vgpr_count:     35
    .vgpr_spill_count: 0
    .wavefront_size: 64
  - .agpr_count:     0
    .args:
      - .offset:         0
        .size:           4
        .value_kind:     by_value
      - .offset:         4
        .size:           4
        .value_kind:     by_value
      - .offset:         8
        .size:           4
        .value_kind:     by_value
      - .address_space:  global
        .offset:         16
        .size:           8
        .value_kind:     global_buffer
      - .actual_access:  read_only
        .address_space:  global
        .offset:         24
        .size:           8
        .value_kind:     global_buffer
      - .actual_access:  read_only
        .address_space:  global
        .offset:         32
        .size:           8
        .value_kind:     global_buffer
    .group_segment_fixed_size: 0
    .kernarg_segment_align: 8
    .kernarg_segment_size: 40
    .language:       OpenCL C
    .language_version:
      - 2
      - 0
    .max_flat_workgroup_size: 256
    .name:           _ZN9rocsparseL39gtsv_spike_backward_substitution_kernelILj256ELj128E21rocsparse_complex_numIdEEEviiiPT1_PKS3_S6_
    .private_segment_fixed_size: 0
    .sgpr_count:     18
    .sgpr_spill_count: 0
    .symbol:         _ZN9rocsparseL39gtsv_spike_backward_substitution_kernelILj256ELj128E21rocsparse_complex_numIdEEEviiiPT1_PKS3_S6_.kd
    .uniform_work_group_size: 1
    .uses_dynamic_stack: false
    .vgpr_count:     46
    .vgpr_spill_count: 0
    .wavefront_size: 64
  - .agpr_count:     0
    .args:
      - .offset:         0
        .size:           4
        .value_kind:     by_value
      - .offset:         4
        .size:           4
        .value_kind:     by_value
      - .offset:         8
        .size:           4
        .value_kind:     by_value
      - .actual_access:  read_only
        .address_space:  global
        .offset:         16
        .size:           8
        .value_kind:     global_buffer
      - .actual_access:  write_only
        .address_space:  global
        .offset:         24
        .size:           8
        .value_kind:     global_buffer
    .group_segment_fixed_size: 0
    .kernarg_segment_align: 8
    .kernarg_segment_size: 32
    .language:       OpenCL C
    .language_version:
      - 2
      - 0
    .max_flat_workgroup_size: 256
    .name:           _ZN9rocsparseL32gtsv_transpose_back_array_kernelILj256ELj128E21rocsparse_complex_numIdEEEviiiPKT1_PS3_
    .private_segment_fixed_size: 0
    .sgpr_count:     18
    .sgpr_spill_count: 0
    .symbol:         _ZN9rocsparseL32gtsv_transpose_back_array_kernelILj256ELj128E21rocsparse_complex_numIdEEEviiiPKT1_PS3_.kd
    .uniform_work_group_size: 1
    .uses_dynamic_stack: false
    .vgpr_count:     6
    .vgpr_spill_count: 0
    .wavefront_size: 64
  - .agpr_count:     0
    .args:
      - .offset:         0
        .size:           4
        .value_kind:     by_value
      - .offset:         4
        .size:           4
        .value_kind:     by_value
      - .offset:         8
        .size:           4
        .value_kind:     by_value
      - .actual_access:  read_only
        .address_space:  global
        .offset:         16
        .size:           8
        .value_kind:     global_buffer
      - .actual_access:  write_only
        .address_space:  global
        .offset:         24
        .size:           8
        .value_kind:     global_buffer
      - .offset:         32
        .size:           16
        .value_kind:     by_value
    .group_segment_fixed_size: 4096
    .kernarg_segment_align: 8
    .kernarg_segment_size: 48
    .language:       OpenCL C
    .language_version:
      - 2
      - 0
    .max_flat_workgroup_size: 256
    .name:           _ZN9rocsparseL42gtsv_transpose_and_pad_array_shared_kernelILj256ELj256E21rocsparse_complex_numIdEEEviiiPKT1_PS3_S3_
    .private_segment_fixed_size: 0
    .sgpr_count:     22
    .sgpr_spill_count: 0
    .symbol:         _ZN9rocsparseL42gtsv_transpose_and_pad_array_shared_kernelILj256ELj256E21rocsparse_complex_numIdEEEviiiPKT1_PS3_S3_.kd
    .uniform_work_group_size: 1
    .uses_dynamic_stack: false
    .vgpr_count:     6
    .vgpr_spill_count: 0
    .wavefront_size: 64
  - .agpr_count:     0
    .args:
      - .offset:         0
        .size:           4
        .value_kind:     by_value
      - .offset:         4
        .size:           4
        .value_kind:     by_value
      - .offset:         8
        .size:           4
        .value_kind:     by_value
      - .actual_access:  read_only
        .address_space:  global
        .offset:         16
        .size:           8
        .value_kind:     global_buffer
      - .actual_access:  read_only
        .address_space:  global
        .offset:         24
        .size:           8
        .value_kind:     global_buffer
      - .actual_access:  read_only
        .address_space:  global
        .offset:         32
        .size:           8
        .value_kind:     global_buffer
      - .address_space:  global
        .offset:         40
        .size:           8
        .value_kind:     global_buffer
      - .address_space:  global
        .offset:         48
        .size:           8
        .value_kind:     global_buffer
      - .address_space:  global
        .offset:         56
        .size:           8
        .value_kind:     global_buffer
      - .address_space:  global
        .offset:         64
        .size:           8
        .value_kind:     global_buffer
    .group_segment_fixed_size: 0
    .kernarg_segment_align: 8
    .kernarg_segment_size: 72
    .language:       OpenCL C
    .language_version:
      - 2
      - 0
    .max_flat_workgroup_size: 256
    .name:           _ZN9rocsparseL18gtsv_LBM_wv_kernelILj256ELj256E21rocsparse_complex_numIdEEEviiiPKT1_S5_S5_PS3_S6_S6_Pi
    .private_segment_fixed_size: 0
    .sgpr_count:     42
    .sgpr_spill_count: 0
    .symbol:         _ZN9rocsparseL18gtsv_LBM_wv_kernelILj256ELj256E21rocsparse_complex_numIdEEEviiiPKT1_S5_S5_PS3_S6_S6_Pi.kd
    .uniform_work_group_size: 1
    .uses_dynamic_stack: false
    .vgpr_count:     84
    .vgpr_spill_count: 0
    .wavefront_size: 64
  - .agpr_count:     0
    .args:
      - .offset:         0
        .size:           4
        .value_kind:     by_value
      - .offset:         4
        .size:           4
        .value_kind:     by_value
      - .offset:         8
        .size:           4
        .value_kind:     by_value
      - .actual_access:  read_only
        .address_space:  global
        .offset:         16
        .size:           8
        .value_kind:     global_buffer
      - .actual_access:  read_only
        .address_space:  global
        .offset:         24
        .size:           8
        .value_kind:     global_buffer
      - .actual_access:  read_only
        .address_space:  global
        .offset:         32
        .size:           8
        .value_kind:     global_buffer
      - .address_space:  global
        .offset:         40
        .size:           8
        .value_kind:     global_buffer
      - .actual_access:  read_only
        .address_space:  global
        .offset:         48
        .size:           8
        .value_kind:     global_buffer
      - .actual_access:  read_only
        .address_space:  global
        .offset:         56
        .size:           8
        .value_kind:     global_buffer
    .group_segment_fixed_size: 0
    .kernarg_segment_align: 8
    .kernarg_segment_size: 64
    .language:       OpenCL C
    .language_version:
      - 2
      - 0
    .max_flat_workgroup_size: 256
    .name:           _ZN9rocsparseL19gtsv_LBM_rhs_kernelILj256ELj256ELj8E21rocsparse_complex_numIdEEEviiiPKT2_S5_S5_PS3_S5_PKi
    .private_segment_fixed_size: 0
    .sgpr_count:     43
    .sgpr_spill_count: 0
    .symbol:         _ZN9rocsparseL19gtsv_LBM_rhs_kernelILj256ELj256ELj8E21rocsparse_complex_numIdEEEviiiPKT2_S5_S5_PS3_S5_PKi.kd
    .uniform_work_group_size: 1
    .uses_dynamic_stack: false
    .vgpr_count:     156
    .vgpr_spill_count: 0
    .wavefront_size: 64
  - .agpr_count:     0
    .args:
      - .offset:         0
        .size:           4
        .value_kind:     by_value
      - .offset:         4
        .size:           4
        .value_kind:     by_value
      - .offset:         8
        .size:           4
        .value_kind:     by_value
      - .actual_access:  read_only
        .address_space:  global
        .offset:         16
        .size:           8
        .value_kind:     global_buffer
      - .actual_access:  read_only
        .address_space:  global
        .offset:         24
        .size:           8
        .value_kind:     global_buffer
      - .actual_access:  read_only
        .address_space:  global
        .offset:         32
        .size:           8
        .value_kind:     global_buffer
      - .address_space:  global
        .offset:         40
        .size:           8
        .value_kind:     global_buffer
      - .actual_access:  read_only
        .address_space:  global
        .offset:         48
        .size:           8
        .value_kind:     global_buffer
      - .actual_access:  read_only
        .address_space:  global
        .offset:         56
        .size:           8
        .value_kind:     global_buffer
    .group_segment_fixed_size: 0
    .kernarg_segment_align: 8
    .kernarg_segment_size: 64
    .language:       OpenCL C
    .language_version:
      - 2
      - 0
    .max_flat_workgroup_size: 256
    .name:           _ZN9rocsparseL19gtsv_LBM_rhs_kernelILj256ELj256ELj4E21rocsparse_complex_numIdEEEviiiPKT2_S5_S5_PS3_S5_PKi
    .private_segment_fixed_size: 0
    .sgpr_count:     38
    .sgpr_spill_count: 0
    .symbol:         _ZN9rocsparseL19gtsv_LBM_rhs_kernelILj256ELj256ELj4E21rocsparse_complex_numIdEEEviiiPKT2_S5_S5_PS3_S5_PKi.kd
    .uniform_work_group_size: 1
    .uses_dynamic_stack: false
    .vgpr_count:     98
    .vgpr_spill_count: 0
    .wavefront_size: 64
  - .agpr_count:     0
    .args:
      - .offset:         0
        .size:           4
        .value_kind:     by_value
      - .offset:         4
        .size:           4
        .value_kind:     by_value
      - .offset:         8
        .size:           4
        .value_kind:     by_value
      - .actual_access:  read_only
        .address_space:  global
        .offset:         16
        .size:           8
        .value_kind:     global_buffer
      - .actual_access:  read_only
        .address_space:  global
        .offset:         24
        .size:           8
        .value_kind:     global_buffer
      - .actual_access:  read_only
        .address_space:  global
        .offset:         32
        .size:           8
        .value_kind:     global_buffer
      - .address_space:  global
        .offset:         40
        .size:           8
        .value_kind:     global_buffer
      - .actual_access:  read_only
        .address_space:  global
        .offset:         48
        .size:           8
        .value_kind:     global_buffer
      - .actual_access:  read_only
        .address_space:  global
        .offset:         56
        .size:           8
        .value_kind:     global_buffer
    .group_segment_fixed_size: 0
    .kernarg_segment_align: 8
    .kernarg_segment_size: 64
    .language:       OpenCL C
    .language_version:
      - 2
      - 0
    .max_flat_workgroup_size: 256
    .name:           _ZN9rocsparseL19gtsv_LBM_rhs_kernelILj256ELj256ELj2E21rocsparse_complex_numIdEEEviiiPKT2_S5_S5_PS3_S5_PKi
    .private_segment_fixed_size: 0
    .sgpr_count:     36
    .sgpr_spill_count: 0
    .symbol:         _ZN9rocsparseL19gtsv_LBM_rhs_kernelILj256ELj256ELj2E21rocsparse_complex_numIdEEEviiiPKT2_S5_S5_PS3_S5_PKi.kd
    .uniform_work_group_size: 1
    .uses_dynamic_stack: false
    .vgpr_count:     78
    .vgpr_spill_count: 0
    .wavefront_size: 64
  - .agpr_count:     0
    .args:
      - .offset:         0
        .size:           4
        .value_kind:     by_value
      - .offset:         4
        .size:           4
        .value_kind:     by_value
      - .offset:         8
        .size:           4
        .value_kind:     by_value
      - .actual_access:  read_only
        .address_space:  global
        .offset:         16
        .size:           8
        .value_kind:     global_buffer
      - .actual_access:  read_only
        .address_space:  global
        .offset:         24
        .size:           8
        .value_kind:     global_buffer
      - .actual_access:  read_only
        .address_space:  global
        .offset:         32
        .size:           8
        .value_kind:     global_buffer
      - .address_space:  global
        .offset:         40
        .size:           8
        .value_kind:     global_buffer
      - .actual_access:  read_only
        .address_space:  global
        .offset:         48
        .size:           8
        .value_kind:     global_buffer
      - .actual_access:  read_only
        .address_space:  global
        .offset:         56
        .size:           8
        .value_kind:     global_buffer
    .group_segment_fixed_size: 0
    .kernarg_segment_align: 8
    .kernarg_segment_size: 64
    .language:       OpenCL C
    .language_version:
      - 2
      - 0
    .max_flat_workgroup_size: 256
    .name:           _ZN9rocsparseL19gtsv_LBM_rhs_kernelILj256ELj256ELj1E21rocsparse_complex_numIdEEEviiiPKT2_S5_S5_PS3_S5_PKi
    .private_segment_fixed_size: 0
    .sgpr_count:     34
    .sgpr_spill_count: 0
    .symbol:         _ZN9rocsparseL19gtsv_LBM_rhs_kernelILj256ELj256ELj1E21rocsparse_complex_numIdEEEviiiPKT2_S5_S5_PS3_S5_PKi.kd
    .uniform_work_group_size: 1
    .uses_dynamic_stack: false
    .vgpr_count:     62
    .vgpr_spill_count: 0
    .wavefront_size: 64
  - .agpr_count:     0
    .args:
      - .offset:         0
        .size:           4
        .value_kind:     by_value
      - .offset:         4
        .size:           4
        .value_kind:     by_value
      - .offset:         8
        .size:           4
        .value_kind:     by_value
      - .address_space:  global
        .offset:         16
        .size:           8
        .value_kind:     global_buffer
      - .actual_access:  read_only
        .address_space:  global
        .offset:         24
        .size:           8
        .value_kind:     global_buffer
      - .actual_access:  read_only
        .address_space:  global
        .offset:         32
        .size:           8
        .value_kind:     global_buffer
      - .actual_access:  write_only
        .address_space:  global
        .offset:         40
        .size:           8
        .value_kind:     global_buffer
      - .actual_access:  write_only
        .address_space:  global
        .offset:         48
        .size:           8
        .value_kind:     global_buffer
      - .actual_access:  write_only
        .address_space:  global
        .offset:         56
        .size:           8
        .value_kind:     global_buffer
      - .actual_access:  write_only
        .address_space:  global
        .offset:         64
        .size:           8
        .value_kind:     global_buffer
      - .actual_access:  write_only
        .address_space:  global
        .offset:         72
        .size:           8
        .value_kind:     global_buffer
      - .offset:         80
        .size:           4
        .value_kind:     hidden_block_count_x
      - .offset:         84
        .size:           4
        .value_kind:     hidden_block_count_y
      - .offset:         88
        .size:           4
        .value_kind:     hidden_block_count_z
      - .offset:         92
        .size:           2
        .value_kind:     hidden_group_size_x
      - .offset:         94
        .size:           2
        .value_kind:     hidden_group_size_y
      - .offset:         96
        .size:           2
        .value_kind:     hidden_group_size_z
      - .offset:         98
        .size:           2
        .value_kind:     hidden_remainder_x
      - .offset:         100
        .size:           2
        .value_kind:     hidden_remainder_y
      - .offset:         102
        .size:           2
        .value_kind:     hidden_remainder_z
      - .offset:         120
        .size:           8
        .value_kind:     hidden_global_offset_x
      - .offset:         128
        .size:           8
        .value_kind:     hidden_global_offset_y
      - .offset:         136
        .size:           8
        .value_kind:     hidden_global_offset_z
      - .offset:         144
        .size:           2
        .value_kind:     hidden_grid_dims
    .group_segment_fixed_size: 24576
    .kernarg_segment_align: 8
    .kernarg_segment_size: 336
    .language:       OpenCL C
    .language_version:
      - 2
      - 0
    .max_flat_workgroup_size: 256
    .name:           _ZN9rocsparseL29gtsv_spike_block_level_kernelILj256ELj256E21rocsparse_complex_numIdEEEviiiPT1_PKS3_S6_S4_S4_S4_S4_S4_
    .private_segment_fixed_size: 0
    .sgpr_count:     32
    .sgpr_spill_count: 0
    .symbol:         _ZN9rocsparseL29gtsv_spike_block_level_kernelILj256ELj256E21rocsparse_complex_numIdEEEviiiPT1_PKS3_S6_S4_S4_S4_S4_S4_.kd
    .uniform_work_group_size: 1
    .uses_dynamic_stack: false
    .vgpr_count:     48
    .vgpr_spill_count: 0
    .wavefront_size: 64
  - .agpr_count:     0
    .args:
      - .offset:         0
        .size:           4
        .value_kind:     by_value
      - .offset:         4
        .size:           4
        .value_kind:     by_value
      - .offset:         8
        .size:           4
        .value_kind:     by_value
      - .address_space:  global
        .offset:         16
        .size:           8
        .value_kind:     global_buffer
      - .actual_access:  read_only
        .address_space:  global
        .offset:         24
        .size:           8
        .value_kind:     global_buffer
      - .actual_access:  read_only
        .address_space:  global
        .offset:         32
        .size:           8
        .value_kind:     global_buffer
      - .actual_access:  read_only
        .address_space:  global
        .offset:         40
        .size:           8
        .value_kind:     global_buffer
      - .offset:         48
        .size:           4
        .value_kind:     hidden_block_count_x
      - .offset:         52
        .size:           4
        .value_kind:     hidden_block_count_y
      - .offset:         56
        .size:           4
        .value_kind:     hidden_block_count_z
      - .offset:         60
        .size:           2
        .value_kind:     hidden_group_size_x
      - .offset:         62
        .size:           2
        .value_kind:     hidden_group_size_y
      - .offset:         64
        .size:           2
        .value_kind:     hidden_group_size_z
      - .offset:         66
        .size:           2
        .value_kind:     hidden_remainder_x
      - .offset:         68
        .size:           2
        .value_kind:     hidden_remainder_y
      - .offset:         70
        .size:           2
        .value_kind:     hidden_remainder_z
      - .offset:         88
        .size:           8
        .value_kind:     hidden_global_offset_x
      - .offset:         96
        .size:           8
        .value_kind:     hidden_global_offset_y
      - .offset:         104
        .size:           8
        .value_kind:     hidden_global_offset_z
      - .offset:         112
        .size:           2
        .value_kind:     hidden_grid_dims
    .group_segment_fixed_size: 24608
    .kernarg_segment_align: 8
    .kernarg_segment_size: 304
    .language:       OpenCL C
    .language_version:
      - 2
      - 0
    .max_flat_workgroup_size: 256
    .name:           _ZN9rocsparseL33gtsv_solve_spike_propagate_kernelILj256ELj256E21rocsparse_complex_numIdEEEviiiPT1_PKS3_S6_S6_
    .private_segment_fixed_size: 0
    .sgpr_count:     28
    .sgpr_spill_count: 0
    .symbol:         _ZN9rocsparseL33gtsv_solve_spike_propagate_kernelILj256ELj256E21rocsparse_complex_numIdEEEviiiPT1_PKS3_S6_S6_.kd
    .uniform_work_group_size: 1
    .uses_dynamic_stack: false
    .vgpr_count:     35
    .vgpr_spill_count: 0
    .wavefront_size: 64
  - .agpr_count:     0
    .args:
      - .offset:         0
        .size:           4
        .value_kind:     by_value
      - .offset:         4
        .size:           4
        .value_kind:     by_value
      - .offset:         8
        .size:           4
        .value_kind:     by_value
      - .address_space:  global
        .offset:         16
        .size:           8
        .value_kind:     global_buffer
      - .actual_access:  read_only
        .address_space:  global
        .offset:         24
        .size:           8
        .value_kind:     global_buffer
      - .actual_access:  read_only
        .address_space:  global
        .offset:         32
        .size:           8
        .value_kind:     global_buffer
    .group_segment_fixed_size: 0
    .kernarg_segment_align: 8
    .kernarg_segment_size: 40
    .language:       OpenCL C
    .language_version:
      - 2
      - 0
    .max_flat_workgroup_size: 256
    .name:           _ZN9rocsparseL39gtsv_spike_backward_substitution_kernelILj256ELj256E21rocsparse_complex_numIdEEEviiiPT1_PKS3_S6_
    .private_segment_fixed_size: 0
    .sgpr_count:     18
    .sgpr_spill_count: 0
    .symbol:         _ZN9rocsparseL39gtsv_spike_backward_substitution_kernelILj256ELj256E21rocsparse_complex_numIdEEEviiiPT1_PKS3_S6_.kd
    .uniform_work_group_size: 1
    .uses_dynamic_stack: false
    .vgpr_count:     46
    .vgpr_spill_count: 0
    .wavefront_size: 64
  - .agpr_count:     0
    .args:
      - .offset:         0
        .size:           4
        .value_kind:     by_value
      - .offset:         4
        .size:           4
        .value_kind:     by_value
      - .offset:         8
        .size:           4
        .value_kind:     by_value
      - .actual_access:  read_only
        .address_space:  global
        .offset:         16
        .size:           8
        .value_kind:     global_buffer
      - .actual_access:  write_only
        .address_space:  global
        .offset:         24
        .size:           8
        .value_kind:     global_buffer
    .group_segment_fixed_size: 0
    .kernarg_segment_align: 8
    .kernarg_segment_size: 32
    .language:       OpenCL C
    .language_version:
      - 2
      - 0
    .max_flat_workgroup_size: 256
    .name:           _ZN9rocsparseL32gtsv_transpose_back_array_kernelILj256ELj256E21rocsparse_complex_numIdEEEviiiPKT1_PS3_
    .private_segment_fixed_size: 0
    .sgpr_count:     18
    .sgpr_spill_count: 0
    .symbol:         _ZN9rocsparseL32gtsv_transpose_back_array_kernelILj256ELj256E21rocsparse_complex_numIdEEEviiiPKT1_PS3_.kd
    .uniform_work_group_size: 1
    .uses_dynamic_stack: false
    .vgpr_count:     6
    .vgpr_spill_count: 0
    .wavefront_size: 64
amdhsa.target:   amdgcn-amd-amdhsa--gfx950
amdhsa.version:
  - 1
  - 2
...

	.end_amdgpu_metadata
